;; amdgpu-corpus repo=vllm-project/vllm kind=compiled arch=gfx1100 opt=O3
	.text
	.amdgcn_target "amdgcn-amd-amdhsa--gfx1100"
	.amdhsa_code_object_version 6
	.section	.text._ZN4vllm38concat_and_cache_mla_rope_fused_kernelIffLb1EffLNS_18Fp8KVCacheDataTypeE0EEEvPKlPT_S5_PKS4_PKT0_illlliPT3_S3_iiiiPKf,"axG",@progbits,_ZN4vllm38concat_and_cache_mla_rope_fused_kernelIffLb1EffLNS_18Fp8KVCacheDataTypeE0EEEvPKlPT_S5_PKS4_PKT0_illlliPT3_S3_iiiiPKf,comdat
	.protected	_ZN4vllm38concat_and_cache_mla_rope_fused_kernelIffLb1EffLNS_18Fp8KVCacheDataTypeE0EEEvPKlPT_S5_PKS4_PKT0_illlliPT3_S3_iiiiPKf ; -- Begin function _ZN4vllm38concat_and_cache_mla_rope_fused_kernelIffLb1EffLNS_18Fp8KVCacheDataTypeE0EEEvPKlPT_S5_PKS4_PKT0_illlliPT3_S3_iiiiPKf
	.globl	_ZN4vllm38concat_and_cache_mla_rope_fused_kernelIffLb1EffLNS_18Fp8KVCacheDataTypeE0EEEvPKlPT_S5_PKS4_PKT0_illlliPT3_S3_iiiiPKf
	.p2align	8
	.type	_ZN4vllm38concat_and_cache_mla_rope_fused_kernelIffLb1EffLNS_18Fp8KVCacheDataTypeE0EEEvPKlPT_S5_PKS4_PKT0_illlliPT3_S3_iiiiPKf,@function
_ZN4vllm38concat_and_cache_mla_rope_fused_kernelIffLb1EffLNS_18Fp8KVCacheDataTypeE0EEEvPKlPT_S5_PKS4_PKT0_illlliPT3_S3_iiiiPKf: ; @_ZN4vllm38concat_and_cache_mla_rope_fused_kernelIffLb1EffLNS_18Fp8KVCacheDataTypeE0EEEvPKlPT_S5_PKS4_PKT0_illlliPT3_S3_iiiiPKf
; %bb.0:
	s_load_b64 s[6:7], s[0:1], 0x60
	s_mov_b32 s2, s15
	s_mov_b32 s3, 0
	s_delay_alu instid0(SALU_CYCLE_1)
	s_lshl_b64 s[4:5], s[2:3], 3
	s_waitcnt lgkmcnt(0)
	s_add_u32 s6, s6, s4
	s_addc_u32 s7, s7, s5
	s_load_b64 s[24:25], s[6:7], 0x0
	s_waitcnt lgkmcnt(0)
	v_cmp_lt_i64_e64 s3, s[24:25], 0
	s_delay_alu instid0(VALU_DEP_1)
	s_and_b32 vcc_lo, exec_lo, s3
	s_cbranch_vccnz .LBB0_13
; %bb.1:
	s_clause 0x2
	s_load_b32 s26, s[0:1], 0x28
	s_load_b64 s[6:7], s[0:1], 0x0
	s_load_b128 s[12:15], s[0:1], 0x10
	s_waitcnt lgkmcnt(0)
	s_ashr_i32 s3, s26, 31
	s_add_u32 s4, s6, s4
	s_addc_u32 s5, s7, s5
	s_load_b64 s[18:19], s[4:5], 0x0
	s_clause 0x3
	s_load_b64 s[20:21], s[0:1], 0x20
	s_load_b32 s27, s[0:1], 0x50
	s_load_b64 s[16:17], s[0:1], 0x58
	s_load_b256 s[4:11], s[0:1], 0x30
	s_waitcnt lgkmcnt(0)
	s_mul_i32 s3, s18, s3
	s_mul_hi_u32 s22, s18, s26
	s_mul_i32 s19, s19, s26
	s_add_i32 s3, s22, s3
	s_mul_i32 s18, s18, s26
	s_add_i32 s19, s3, s19
	s_delay_alu instid0(SALU_CYCLE_1) | instskip(NEXT) | instid1(SALU_CYCLE_1)
	s_lshl_b64 s[22:23], s[18:19], 2
	s_add_u32 s3, s20, s22
	s_addc_u32 s33, s21, s23
	s_lshr_b32 s18, s26, 31
	s_delay_alu instid0(SALU_CYCLE_1) | instskip(NEXT) | instid1(SALU_CYCLE_1)
	s_add_i32 s26, s26, s18
	s_ashr_i32 s18, s26, 1
	s_delay_alu instid0(SALU_CYCLE_1)
	s_mul_i32 s26, s18, s27
	s_mov_b32 s27, exec_lo
	v_cmpx_gt_i32_e64 s26, v0
	s_cbranch_execz .LBB0_4
; %bb.2:
	s_clause 0x1
	s_load_b64 s[28:29], s[0:1], 0x8
	s_load_b32 s31, s[0:1], 0x8c
	s_mul_i32 s5, s2, s5
	s_mul_hi_u32 s19, s2, s4
	s_mul_i32 s4, s2, s4
	s_add_i32 s5, s19, s5
	s_ashr_i32 s19, s18, 31
	s_lshl_b64 s[4:5], s[4:5], 2
	s_mov_b32 s34, 0
	s_waitcnt lgkmcnt(0)
	s_add_u32 s28, s28, s4
	s_addc_u32 s29, s29, s5
	s_abs_i32 s30, s18
	s_and_b32 s31, s31, 0xffff
	v_cvt_f32_u32_e32 v1, s30
	s_sub_i32 s4, 0, s30
	s_sub_i32 s35, 0, s18
	s_delay_alu instid0(VALU_DEP_1) | instskip(SKIP_2) | instid1(VALU_DEP_1)
	v_rcp_iflag_f32_e32 v1, v1
	s_waitcnt_depctr 0xfff
	v_mul_f32_e32 v1, 0x4f7ffffe, v1
	v_cvt_u32_f32_e32 v1, v1
	s_delay_alu instid0(VALU_DEP_1) | instskip(SKIP_1) | instid1(VALU_DEP_1)
	v_mul_lo_u32 v2, s4, v1
	s_lshl_b64 s[4:5], s[18:19], 2
	v_mul_hi_u32 v2, v1, v2
	s_delay_alu instid0(VALU_DEP_1)
	v_dual_mov_b32 v1, v0 :: v_dual_add_nc_u32 v2, v1, v2
.LBB0_3:                                ; =>This Inner Loop Header: Depth=1
	s_delay_alu instid0(VALU_DEP_1) | instskip(SKIP_1) | instid1(VALU_DEP_2)
	v_sub_nc_u32_e32 v3, 0, v1
	v_ashrrev_i32_e32 v4, 31, v1
	v_max_i32_e32 v3, v1, v3
	s_delay_alu instid0(VALU_DEP_2) | instskip(NEXT) | instid1(VALU_DEP_2)
	v_xor_b32_e32 v4, s19, v4
	v_mul_hi_u32 v5, v3, v2
	s_delay_alu instid0(VALU_DEP_1) | instskip(SKIP_1) | instid1(VALU_DEP_2)
	v_mul_lo_u32 v6, v5, s30
	v_add_nc_u32_e32 v7, 1, v5
	v_sub_nc_u32_e32 v3, v3, v6
	s_delay_alu instid0(VALU_DEP_1) | instskip(SKIP_1) | instid1(VALU_DEP_4)
	v_subrev_nc_u32_e32 v6, s30, v3
	v_cmp_le_u32_e32 vcc_lo, s30, v3
	v_cndmask_b32_e32 v5, v5, v7, vcc_lo
	s_delay_alu instid0(VALU_DEP_1) | instskip(NEXT) | instid1(VALU_DEP_1)
	v_dual_cndmask_b32 v3, v3, v6 :: v_dual_add_nc_u32 v6, 1, v5
	v_cmp_le_u32_e32 vcc_lo, s30, v3
	s_delay_alu instid0(VALU_DEP_2) | instskip(NEXT) | instid1(VALU_DEP_1)
	v_cndmask_b32_e32 v3, v5, v6, vcc_lo
	v_xor_b32_e32 v3, v3, v4
	s_delay_alu instid0(VALU_DEP_1) | instskip(NEXT) | instid1(VALU_DEP_1)
	v_sub_nc_u32_e32 v7, v3, v4
	v_ashrrev_i32_e32 v8, 31, v7
	v_mad_u64_u32 v[3:4], null, s35, v7, v[1:2]
	v_mul_lo_u32 v9, v7, s7
	v_mad_u64_u32 v[5:6], null, v7, s6, 0
	s_delay_alu instid0(VALU_DEP_4) | instskip(SKIP_2) | instid1(VALU_DEP_3)
	v_mul_lo_u32 v7, v8, s6
	v_add_nc_u32_e32 v1, s31, v1
	v_ashrrev_i32_e32 v4, 31, v3
	v_add3_u32 v6, v6, v9, v7
	s_delay_alu instid0(VALU_DEP_2) | instskip(NEXT) | instid1(VALU_DEP_2)
	v_lshlrev_b64 v[3:4], 2, v[3:4]
	v_lshlrev_b64 v[5:6], 2, v[5:6]
	s_delay_alu instid0(VALU_DEP_2) | instskip(NEXT) | instid1(VALU_DEP_3)
	v_add_co_u32 v7, vcc_lo, s3, v3
	v_add_co_ci_u32_e32 v8, vcc_lo, s33, v4, vcc_lo
	s_delay_alu instid0(VALU_DEP_3) | instskip(NEXT) | instid1(VALU_DEP_4)
	v_add_co_u32 v9, vcc_lo, s28, v5
	v_add_co_ci_u32_e32 v10, vcc_lo, s29, v6, vcc_lo
	s_delay_alu instid0(VALU_DEP_4) | instskip(NEXT) | instid1(VALU_DEP_4)
	v_add_co_u32 v5, vcc_lo, v7, s4
	v_add_co_ci_u32_e32 v6, vcc_lo, s5, v8, vcc_lo
	s_delay_alu instid0(VALU_DEP_4) | instskip(NEXT) | instid1(VALU_DEP_4)
	v_add_co_u32 v3, vcc_lo, v9, v3
	v_add_co_ci_u32_e32 v4, vcc_lo, v10, v4, vcc_lo
	s_delay_alu instid0(VALU_DEP_2) | instskip(NEXT) | instid1(VALU_DEP_2)
	v_add_co_u32 v9, vcc_lo, v3, s4
	v_add_co_ci_u32_e32 v10, vcc_lo, s5, v4, vcc_lo
	s_clause 0x1
	global_load_b32 v7, v[7:8], off
	global_load_b32 v5, v[5:6], off
	s_clause 0x1
	global_load_b32 v6, v[3:4], off
	global_load_b32 v8, v[9:10], off
	v_cmp_le_i32_e32 vcc_lo, s26, v1
	s_or_b32 s34, vcc_lo, s34
	s_waitcnt vmcnt(0)
	v_mul_f32_e32 v11, v5, v8
	v_mul_f32_e32 v8, v7, v8
	s_delay_alu instid0(VALU_DEP_2) | instskip(NEXT) | instid1(VALU_DEP_2)
	v_fma_f32 v7, v7, v6, -v11
	v_fmac_f32_e32 v8, v5, v6
	s_clause 0x1
	global_store_b32 v[3:4], v7, off
	global_store_b32 v[9:10], v8, off
	s_and_not1_b32 exec_lo, exec_lo, s34
	s_cbranch_execnz .LBB0_3
.LBB0_4:
	s_or_b32 exec_lo, exec_lo, s27
	s_load_b128 s[4:7], s[0:1], 0x68
	s_waitcnt lgkmcnt(0)
	s_ashr_i32 s29, s7, 31
	s_mov_b32 s28, s7
	s_delay_alu instid0(SALU_CYCLE_1) | instskip(SKIP_1) | instid1(SALU_CYCLE_1)
	s_or_b64 s[30:31], s[24:25], s[28:29]
	s_mov_b32 s30, 0
	s_cmp_lg_u64 s[30:31], 0
	s_cbranch_scc0 .LBB0_14
; %bb.5:
	s_add_u32 s34, s28, s29
	s_mov_b32 s26, s29
	s_mov_b32 s27, s29
	s_addc_u32 s35, s29, s29
	s_delay_alu instid0(SALU_CYCLE_1) | instskip(NEXT) | instid1(SALU_CYCLE_1)
	s_xor_b64 s[34:35], s[34:35], s[26:27]
	v_cvt_f32_u32_e32 v1, s34
	v_cvt_f32_u32_e32 v2, s35
	s_sub_u32 s31, 0, s34
	s_subb_u32 s36, 0, s35
	s_delay_alu instid0(VALU_DEP_1) | instskip(NEXT) | instid1(VALU_DEP_1)
	v_fmamk_f32 v1, v2, 0x4f800000, v1
	v_rcp_f32_e32 v1, v1
	s_waitcnt_depctr 0xfff
	v_mul_f32_e32 v1, 0x5f7ffffc, v1
	s_delay_alu instid0(VALU_DEP_1) | instskip(NEXT) | instid1(VALU_DEP_1)
	v_mul_f32_e32 v2, 0x2f800000, v1
	v_trunc_f32_e32 v2, v2
	s_delay_alu instid0(VALU_DEP_1) | instskip(SKIP_1) | instid1(VALU_DEP_2)
	v_fmamk_f32 v1, v2, 0xcf800000, v1
	v_cvt_u32_f32_e32 v2, v2
	v_cvt_u32_f32_e32 v1, v1
	s_delay_alu instid0(VALU_DEP_2) | instskip(NEXT) | instid1(VALU_DEP_2)
	v_readfirstlane_b32 s7, v2
	v_readfirstlane_b32 s19, v1
	s_delay_alu instid0(VALU_DEP_2) | instskip(NEXT) | instid1(VALU_DEP_1)
	s_mul_i32 s37, s31, s7
	s_mul_hi_u32 s39, s31, s19
	s_mul_i32 s38, s36, s19
	s_add_i32 s37, s39, s37
	s_mul_i32 s40, s31, s19
	s_add_i32 s37, s37, s38
	s_mul_hi_u32 s39, s19, s40
	s_mul_hi_u32 s41, s7, s40
	s_mul_i32 s38, s7, s40
	s_mul_hi_u32 s40, s19, s37
	s_mul_i32 s19, s19, s37
	s_mul_hi_u32 s42, s7, s37
	s_add_u32 s19, s39, s19
	s_addc_u32 s39, 0, s40
	s_add_u32 s19, s19, s38
	s_mul_i32 s37, s7, s37
	s_addc_u32 s19, s39, s41
	s_addc_u32 s38, s42, 0
	s_add_u32 s19, s19, s37
	s_addc_u32 s37, 0, s38
	v_add_co_u32 v1, s19, v1, s19
	s_delay_alu instid0(VALU_DEP_1) | instskip(SKIP_1) | instid1(VALU_DEP_1)
	s_cmp_lg_u32 s19, 0
	s_addc_u32 s7, s7, s37
	v_readfirstlane_b32 s19, v1
	s_mul_i32 s37, s31, s7
	s_delay_alu instid0(VALU_DEP_1)
	s_mul_hi_u32 s38, s31, s19
	s_mul_i32 s36, s36, s19
	s_add_i32 s37, s38, s37
	s_mul_i32 s31, s31, s19
	s_add_i32 s37, s37, s36
	s_mul_hi_u32 s38, s7, s31
	s_mul_i32 s39, s7, s31
	s_mul_hi_u32 s31, s19, s31
	s_mul_hi_u32 s40, s19, s37
	s_mul_i32 s19, s19, s37
	s_mul_hi_u32 s36, s7, s37
	s_add_u32 s19, s31, s19
	s_addc_u32 s31, 0, s40
	s_add_u32 s19, s19, s39
	s_mul_i32 s37, s7, s37
	s_addc_u32 s19, s31, s38
	s_addc_u32 s31, s36, 0
	s_add_u32 s19, s19, s37
	s_addc_u32 s31, 0, s31
	v_add_co_u32 v1, s19, v1, s19
	s_delay_alu instid0(VALU_DEP_1) | instskip(SKIP_2) | instid1(VALU_DEP_1)
	s_cmp_lg_u32 s19, 0
	s_addc_u32 s7, s7, s31
	s_ashr_i32 s36, s25, 31
	v_readfirstlane_b32 s19, v1
	s_add_u32 s38, s24, s36
	s_mov_b32 s37, s36
	s_addc_u32 s39, s25, s36
	s_delay_alu instid0(SALU_CYCLE_1) | instskip(NEXT) | instid1(SALU_CYCLE_1)
	s_xor_b64 s[38:39], s[38:39], s[36:37]
	s_mul_i32 s40, s38, s7
	s_mul_hi_u32 s41, s38, s19
	s_mul_hi_u32 s31, s38, s7
	;; [unrolled: 1-line block ×3, first 2 shown]
	s_mul_i32 s19, s39, s19
	s_add_u32 s40, s41, s40
	s_addc_u32 s31, 0, s31
	s_mul_hi_u32 s42, s39, s7
	s_add_u32 s19, s40, s19
	s_mul_i32 s7, s39, s7
	s_addc_u32 s19, s31, s43
	s_addc_u32 s31, s42, 0
	s_add_u32 s7, s19, s7
	s_addc_u32 s19, 0, s31
	s_mul_i32 s42, s34, s7
	s_mul_hi_u32 s31, s34, s7
	s_mul_i32 s41, s34, s19
	v_sub_co_u32 v1, s38, s38, s42
	s_mul_i32 s40, s35, s7
	s_add_i32 s31, s31, s41
	s_delay_alu instid0(SALU_CYCLE_1) | instskip(NEXT) | instid1(VALU_DEP_1)
	s_add_i32 s31, s31, s40
	v_sub_co_u32 v2, s41, v1, s34
	s_sub_i32 s40, s39, s31
	s_cmp_lg_u32 s38, 0
	s_subb_u32 s40, s40, s35
	s_cmp_lg_u32 s41, 0
	v_readfirstlane_b32 s41, v2
	s_subb_u32 s40, s40, 0
	s_delay_alu instid0(SALU_CYCLE_1) | instskip(SKIP_1) | instid1(VALU_DEP_1)
	s_cmp_ge_u32 s40, s35
	s_cselect_b32 s42, -1, 0
	s_cmp_ge_u32 s41, s34
	s_cselect_b32 s41, -1, 0
	s_cmp_eq_u32 s40, s35
	s_cselect_b32 s40, s41, s42
	s_add_u32 s41, s7, 1
	s_addc_u32 s42, s19, 0
	s_add_u32 s43, s7, 2
	s_addc_u32 s44, s19, 0
	s_cmp_lg_u32 s40, 0
	s_cselect_b32 s40, s43, s41
	s_cselect_b32 s41, s44, s42
	s_cmp_lg_u32 s38, 0
	v_readfirstlane_b32 s38, v1
	s_subb_u32 s31, s39, s31
	s_delay_alu instid0(SALU_CYCLE_1) | instskip(SKIP_1) | instid1(VALU_DEP_1)
	s_cmp_ge_u32 s31, s35
	s_cselect_b32 s39, -1, 0
	s_cmp_ge_u32 s38, s34
	s_cselect_b32 s34, -1, 0
	s_cmp_eq_u32 s31, s35
	s_cselect_b32 s31, s34, s39
	s_delay_alu instid0(SALU_CYCLE_1) | instskip(SKIP_3) | instid1(SALU_CYCLE_1)
	s_cmp_lg_u32 s31, 0
	s_cselect_b32 s35, s41, s19
	s_cselect_b32 s34, s40, s7
	s_xor_b64 s[26:27], s[36:37], s[26:27]
	s_xor_b64 s[34:35], s[34:35], s[26:27]
	s_delay_alu instid0(SALU_CYCLE_1)
	s_sub_u32 s26, s34, s26
	s_subb_u32 s27, s35, s27
	s_and_not1_b32 vcc_lo, exec_lo, s30
	s_cbranch_vccnz .LBB0_7
.LBB0_6:
	v_cvt_f32_u32_e32 v1, s28
	s_sub_i32 s19, 0, s28
	s_delay_alu instid0(VALU_DEP_1) | instskip(SKIP_2) | instid1(VALU_DEP_1)
	v_rcp_iflag_f32_e32 v1, v1
	s_waitcnt_depctr 0xfff
	v_mul_f32_e32 v1, 0x4f7ffffe, v1
	v_cvt_u32_f32_e32 v1, v1
	s_delay_alu instid0(VALU_DEP_1) | instskip(NEXT) | instid1(VALU_DEP_1)
	v_readfirstlane_b32 s7, v1
	s_mul_i32 s19, s19, s7
	s_delay_alu instid0(SALU_CYCLE_1) | instskip(NEXT) | instid1(SALU_CYCLE_1)
	s_mul_hi_u32 s19, s7, s19
	s_add_i32 s7, s7, s19
	s_delay_alu instid0(SALU_CYCLE_1) | instskip(NEXT) | instid1(SALU_CYCLE_1)
	s_mul_hi_u32 s7, s24, s7
	s_mul_i32 s19, s7, s28
	s_add_i32 s26, s7, 1
	s_sub_i32 s19, s24, s19
	s_delay_alu instid0(SALU_CYCLE_1)
	s_sub_i32 s27, s19, s28
	s_cmp_ge_u32 s19, s28
	s_cselect_b32 s7, s26, s7
	s_cselect_b32 s19, s27, s19
	s_add_i32 s26, s7, 1
	s_cmp_ge_u32 s19, s28
	s_mov_b32 s27, 0
	s_cselect_b32 s26, s26, s7
.LBB0_7:
	s_delay_alu instid0(SALU_CYCLE_1)
	s_mul_i32 s7, s26, s29
	s_mul_hi_u32 s19, s26, s28
	s_mul_hi_u32 s34, s26, s4
	s_add_i32 s7, s19, s7
	s_mul_i32 s19, s27, s28
	s_mul_i32 s28, s26, s28
	s_add_i32 s7, s7, s19
	s_sub_u32 s30, s24, s28
	s_subb_u32 s31, s25, s7
	s_mul_i32 s35, s27, s4
	s_mul_i32 s28, s26, s4
	s_mul_hi_u32 s27, s30, s5
	s_mul_i32 s31, s31, s5
	s_mul_i32 s24, s30, s5
	s_mov_b32 s36, exec_lo
	v_cmpx_gt_i32_e64 s18, v0
	s_cbranch_execz .LBB0_10
; %bb.8:
	s_mul_i32 s7, s2, s9
	s_mul_hi_u32 s9, s2, s8
	s_mul_i32 s8, s2, s8
	s_add_i32 s9, s9, s7
	s_ashr_i32 s19, s18, 31
	s_lshl_b64 s[38:39], s[8:9], 2
	s_load_b32 s37, s[0:1], 0x8c
	s_add_u32 s8, s12, s38
	s_addc_u32 s9, s13, s39
	s_ashr_i32 s7, s4, 31
	s_ashr_i32 s25, s5, 31
	s_mul_i32 s7, s26, s7
	s_mul_i32 s25, s30, s25
	s_add_i32 s7, s34, s7
	s_add_i32 s25, s27, s25
	;; [unrolled: 1-line block ×4, first 2 shown]
	s_lshl_b64 s[40:41], s[28:29], 2
	s_lshl_b64 s[42:43], s[24:25], 2
	v_dual_mov_b32 v2, v0 :: v_dual_lshlrev_b32 v1, 2, v0
	s_add_u32 s44, s40, s42
	s_addc_u32 s45, s41, s43
	s_add_u32 s25, s44, s16
	s_addc_u32 s29, s45, s17
	s_ashr_i32 s7, s6, 31
	s_delay_alu instid0(SALU_CYCLE_1) | instskip(NEXT) | instid1(SALU_CYCLE_1)
	s_lshl_b64 s[40:41], s[6:7], 2
	s_add_u32 s7, s25, s40
	s_addc_u32 s25, s29, s41
	s_waitcnt lgkmcnt(0)
	s_and_b32 s29, s37, 0xffff
	s_lshl_b64 s[42:43], s[18:19], 2
	s_lshl_b32 s19, s29, 2
	s_add_u32 s22, s22, s42
	s_addc_u32 s23, s23, s43
	s_add_u32 s20, s20, s22
	s_addc_u32 s21, s21, s23
	;; [unrolled: 2-line block ×6, first 2 shown]
	s_add_u32 s22, s16, s22
	s_mov_b32 s37, 0
	s_addc_u32 s23, s17, s23
.LBB0_9:                                ; =>This Inner Loop Header: Depth=1
	v_add_co_u32 v3, s38, s3, v1
	s_delay_alu instid0(VALU_DEP_1) | instskip(SKIP_1) | instid1(VALU_DEP_1)
	v_add_co_ci_u32_e64 v4, null, s33, 0, s38
	v_add_co_u32 v5, s38, s20, v1
	v_add_co_ci_u32_e64 v6, null, s21, 0, s38
	v_add_co_u32 v7, s38, s12, v1
	s_delay_alu instid0(VALU_DEP_1) | instskip(SKIP_1) | instid1(VALU_DEP_1)
	v_add_co_ci_u32_e64 v8, null, s13, 0, s38
	v_add_co_u32 v9, s38, s8, v1
	v_add_co_ci_u32_e64 v10, null, s9, 0, s38
	global_load_b32 v11, v[5:6], off
	global_load_b32 v12, v[7:8], off
	;; [unrolled: 1-line block ×4, first 2 shown]
	s_add_u32 s3, s3, s19
	s_addc_u32 s33, s33, 0
	v_add_nc_u32_e32 v2, s29, v2
	s_add_u32 s20, s20, s19
	s_addc_u32 s21, s21, 0
	s_add_u32 s12, s12, s19
	v_add_co_u32 v3, s38, s7, v1
	s_addc_u32 s13, s13, 0
	s_add_u32 s8, s8, s19
	v_add_co_ci_u32_e64 v4, null, s25, 0, s38
	v_add_co_u32 v5, s38, s22, v1
	s_addc_u32 s9, s9, 0
	s_add_u32 s22, s22, s19
	v_add_co_ci_u32_e64 v6, null, s23, 0, s38
	s_addc_u32 s23, s23, 0
	s_add_u32 s7, s7, s19
	s_addc_u32 s25, s25, 0
	s_waitcnt vmcnt(2)
	v_mul_f32_e32 v15, v11, v12
	s_waitcnt vmcnt(1)
	v_mul_f32_e32 v12, v13, v12
	v_cmp_le_i32_e32 vcc_lo, s18, v2
	s_waitcnt vmcnt(0)
	v_fma_f32 v13, v13, v14, -v15
	s_delay_alu instid0(VALU_DEP_3)
	v_fmac_f32_e32 v12, v11, v14
	s_or_b32 s37, vcc_lo, s37
	global_store_b32 v[9:10], v13, off
	global_store_b32 v[7:8], v12, off
	global_store_b32 v[3:4], v13, off
	global_store_b32 v[5:6], v12, off
	s_and_not1_b32 exec_lo, exec_lo, s37
	s_cbranch_execnz .LBB0_9
.LBB0_10:
	s_or_b32 exec_lo, exec_lo, s36
	s_delay_alu instid0(SALU_CYCLE_1)
	s_mov_b32 s3, exec_lo
	v_cmpx_gt_i32_e64 s6, v0
	s_cbranch_execz .LBB0_13
; %bb.11:
	s_mul_i32 s3, s2, s11
	s_mul_hi_u32 s7, s2, s10
	s_mul_i32 s2, s2, s10
	s_add_i32 s3, s7, s3
	s_load_b32 s7, s[0:1], 0x8c
	s_lshl_b64 s[2:3], s[2:3], 2
	s_delay_alu instid0(SALU_CYCLE_1) | instskip(SKIP_2) | instid1(SALU_CYCLE_1)
	s_add_u32 s2, s14, s2
	s_addc_u32 s3, s15, s3
	s_ashr_i32 s4, s4, 31
	s_mul_i32 s4, s26, s4
	s_delay_alu instid0(SALU_CYCLE_1) | instskip(NEXT) | instid1(SALU_CYCLE_1)
	s_add_i32 s0, s34, s4
	s_add_i32 s29, s0, s35
	s_delay_alu instid0(SALU_CYCLE_1) | instskip(NEXT) | instid1(SALU_CYCLE_1)
	s_lshl_b64 s[0:1], s[28:29], 2
	s_add_u32 s0, s16, s0
	s_addc_u32 s8, s17, s1
	s_ashr_i32 s1, s5, 31
	s_delay_alu instid0(SALU_CYCLE_1) | instskip(NEXT) | instid1(SALU_CYCLE_1)
	s_mul_i32 s30, s30, s1
	s_add_i32 s1, s27, s30
	s_delay_alu instid0(SALU_CYCLE_1) | instskip(NEXT) | instid1(SALU_CYCLE_1)
	s_add_i32 s25, s1, s31
	s_lshl_b64 s[4:5], s[24:25], 2
	s_delay_alu instid0(SALU_CYCLE_1)
	s_add_u32 s1, s0, s4
	s_addc_u32 s4, s8, s5
	s_waitcnt lgkmcnt(0)
	s_and_b32 s5, s7, 0xffff
	s_mov_b32 s7, 0
	.p2align	6
.LBB0_12:                               ; =>This Inner Loop Header: Depth=1
	v_ashrrev_i32_e32 v1, 31, v0
	s_delay_alu instid0(VALU_DEP_1) | instskip(SKIP_1) | instid1(VALU_DEP_2)
	v_lshlrev_b64 v[1:2], 2, v[0:1]
	v_add_nc_u32_e32 v0, s5, v0
	v_add_co_u32 v3, vcc_lo, s2, v1
	s_delay_alu instid0(VALU_DEP_3) | instskip(NEXT) | instid1(VALU_DEP_3)
	v_add_co_ci_u32_e32 v4, vcc_lo, s3, v2, vcc_lo
	v_cmp_le_i32_e32 vcc_lo, s6, v0
	v_add_co_u32 v1, s0, s1, v1
	global_load_b32 v3, v[3:4], off
	v_add_co_ci_u32_e64 v2, s0, s4, v2, s0
	s_or_b32 s7, vcc_lo, s7
	s_waitcnt vmcnt(0)
	global_store_b32 v[1:2], v3, off
	s_and_not1_b32 exec_lo, exec_lo, s7
	s_cbranch_execnz .LBB0_12
.LBB0_13:
	s_nop 0
	s_sendmsg sendmsg(MSG_DEALLOC_VGPRS)
	s_endpgm
.LBB0_14:
                                        ; implicit-def: $sgpr26_sgpr27
	s_branch .LBB0_6
	.section	.rodata,"a",@progbits
	.p2align	6, 0x0
	.amdhsa_kernel _ZN4vllm38concat_and_cache_mla_rope_fused_kernelIffLb1EffLNS_18Fp8KVCacheDataTypeE0EEEvPKlPT_S5_PKS4_PKT0_illlliPT3_S3_iiiiPKf
		.amdhsa_group_segment_fixed_size 0
		.amdhsa_private_segment_fixed_size 0
		.amdhsa_kernarg_size 384
		.amdhsa_user_sgpr_count 15
		.amdhsa_user_sgpr_dispatch_ptr 0
		.amdhsa_user_sgpr_queue_ptr 0
		.amdhsa_user_sgpr_kernarg_segment_ptr 1
		.amdhsa_user_sgpr_dispatch_id 0
		.amdhsa_user_sgpr_private_segment_size 0
		.amdhsa_wavefront_size32 1
		.amdhsa_uses_dynamic_stack 0
		.amdhsa_enable_private_segment 0
		.amdhsa_system_sgpr_workgroup_id_x 1
		.amdhsa_system_sgpr_workgroup_id_y 0
		.amdhsa_system_sgpr_workgroup_id_z 0
		.amdhsa_system_sgpr_workgroup_info 0
		.amdhsa_system_vgpr_workitem_id 0
		.amdhsa_next_free_vgpr 16
		.amdhsa_next_free_sgpr 46
		.amdhsa_reserve_vcc 1
		.amdhsa_float_round_mode_32 0
		.amdhsa_float_round_mode_16_64 0
		.amdhsa_float_denorm_mode_32 3
		.amdhsa_float_denorm_mode_16_64 3
		.amdhsa_dx10_clamp 1
		.amdhsa_ieee_mode 1
		.amdhsa_fp16_overflow 0
		.amdhsa_workgroup_processor_mode 1
		.amdhsa_memory_ordered 1
		.amdhsa_forward_progress 0
		.amdhsa_shared_vgpr_count 0
		.amdhsa_exception_fp_ieee_invalid_op 0
		.amdhsa_exception_fp_denorm_src 0
		.amdhsa_exception_fp_ieee_div_zero 0
		.amdhsa_exception_fp_ieee_overflow 0
		.amdhsa_exception_fp_ieee_underflow 0
		.amdhsa_exception_fp_ieee_inexact 0
		.amdhsa_exception_int_div_zero 0
	.end_amdhsa_kernel
	.section	.text._ZN4vllm38concat_and_cache_mla_rope_fused_kernelIffLb1EffLNS_18Fp8KVCacheDataTypeE0EEEvPKlPT_S5_PKS4_PKT0_illlliPT3_S3_iiiiPKf,"axG",@progbits,_ZN4vllm38concat_and_cache_mla_rope_fused_kernelIffLb1EffLNS_18Fp8KVCacheDataTypeE0EEEvPKlPT_S5_PKS4_PKT0_illlliPT3_S3_iiiiPKf,comdat
.Lfunc_end0:
	.size	_ZN4vllm38concat_and_cache_mla_rope_fused_kernelIffLb1EffLNS_18Fp8KVCacheDataTypeE0EEEvPKlPT_S5_PKS4_PKT0_illlliPT3_S3_iiiiPKf, .Lfunc_end0-_ZN4vllm38concat_and_cache_mla_rope_fused_kernelIffLb1EffLNS_18Fp8KVCacheDataTypeE0EEEvPKlPT_S5_PKS4_PKT0_illlliPT3_S3_iiiiPKf
                                        ; -- End function
	.section	.AMDGPU.csdata,"",@progbits
; Kernel info:
; codeLenInByte = 2336
; NumSgprs: 48
; NumVgprs: 16
; ScratchSize: 0
; MemoryBound: 0
; FloatMode: 240
; IeeeMode: 1
; LDSByteSize: 0 bytes/workgroup (compile time only)
; SGPRBlocks: 5
; VGPRBlocks: 1
; NumSGPRsForWavesPerEU: 48
; NumVGPRsForWavesPerEU: 16
; Occupancy: 16
; WaveLimiterHint : 1
; COMPUTE_PGM_RSRC2:SCRATCH_EN: 0
; COMPUTE_PGM_RSRC2:USER_SGPR: 15
; COMPUTE_PGM_RSRC2:TRAP_HANDLER: 0
; COMPUTE_PGM_RSRC2:TGID_X_EN: 1
; COMPUTE_PGM_RSRC2:TGID_Y_EN: 0
; COMPUTE_PGM_RSRC2:TGID_Z_EN: 0
; COMPUTE_PGM_RSRC2:TIDIG_COMP_CNT: 0
	.section	.text._ZN4vllm38concat_and_cache_mla_rope_fused_kernelIffLb0EffLNS_18Fp8KVCacheDataTypeE0EEEvPKlPT_S5_PKS4_PKT0_illlliPT3_S3_iiiiPKf,"axG",@progbits,_ZN4vllm38concat_and_cache_mla_rope_fused_kernelIffLb0EffLNS_18Fp8KVCacheDataTypeE0EEEvPKlPT_S5_PKS4_PKT0_illlliPT3_S3_iiiiPKf,comdat
	.protected	_ZN4vllm38concat_and_cache_mla_rope_fused_kernelIffLb0EffLNS_18Fp8KVCacheDataTypeE0EEEvPKlPT_S5_PKS4_PKT0_illlliPT3_S3_iiiiPKf ; -- Begin function _ZN4vllm38concat_and_cache_mla_rope_fused_kernelIffLb0EffLNS_18Fp8KVCacheDataTypeE0EEEvPKlPT_S5_PKS4_PKT0_illlliPT3_S3_iiiiPKf
	.globl	_ZN4vllm38concat_and_cache_mla_rope_fused_kernelIffLb0EffLNS_18Fp8KVCacheDataTypeE0EEEvPKlPT_S5_PKS4_PKT0_illlliPT3_S3_iiiiPKf
	.p2align	8
	.type	_ZN4vllm38concat_and_cache_mla_rope_fused_kernelIffLb0EffLNS_18Fp8KVCacheDataTypeE0EEEvPKlPT_S5_PKS4_PKT0_illlliPT3_S3_iiiiPKf,@function
_ZN4vllm38concat_and_cache_mla_rope_fused_kernelIffLb0EffLNS_18Fp8KVCacheDataTypeE0EEEvPKlPT_S5_PKS4_PKT0_illlliPT3_S3_iiiiPKf: ; @_ZN4vllm38concat_and_cache_mla_rope_fused_kernelIffLb0EffLNS_18Fp8KVCacheDataTypeE0EEEvPKlPT_S5_PKS4_PKT0_illlliPT3_S3_iiiiPKf
; %bb.0:
	s_load_b64 s[6:7], s[0:1], 0x60
	s_mov_b32 s2, s15
	s_mov_b32 s3, 0
	s_delay_alu instid0(SALU_CYCLE_1)
	s_lshl_b64 s[4:5], s[2:3], 3
	s_waitcnt lgkmcnt(0)
	s_add_u32 s6, s6, s4
	s_addc_u32 s7, s7, s5
	s_load_b64 s[22:23], s[6:7], 0x0
	s_waitcnt lgkmcnt(0)
	v_cmp_lt_i64_e64 s3, s[22:23], 0
	s_delay_alu instid0(VALU_DEP_1)
	s_and_b32 vcc_lo, exec_lo, s3
	s_cbranch_vccnz .LBB1_13
; %bb.1:
	s_clause 0x3
	s_load_b32 s19, s[0:1], 0x28
	s_load_b64 s[6:7], s[0:1], 0x0
	s_load_b128 s[12:15], s[0:1], 0x10
	s_load_b32 s3, s[0:1], 0x50
	s_waitcnt lgkmcnt(0)
	s_ashr_i32 s26, s19, 31
	s_add_u32 s4, s6, s4
	s_addc_u32 s5, s7, s5
	s_lshr_b32 s18, s19, 31
	s_load_b64 s[24:25], s[4:5], 0x0
	s_clause 0x2
	s_load_b64 s[20:21], s[0:1], 0x20
	s_load_b64 s[16:17], s[0:1], 0x58
	s_load_b256 s[4:11], s[0:1], 0x30
	s_add_i32 s18, s19, s18
	s_delay_alu instid0(SALU_CYCLE_1) | instskip(NEXT) | instid1(SALU_CYCLE_1)
	s_ashr_i32 s18, s18, 1
	s_mul_i32 s3, s18, s3
	s_waitcnt lgkmcnt(0)
	s_mul_i32 s26, s24, s26
	s_mul_hi_u32 s27, s24, s19
	s_mul_i32 s25, s25, s19
	s_add_i32 s26, s27, s26
	s_mul_i32 s24, s24, s19
	s_add_i32 s25, s26, s25
	s_mov_b32 s26, exec_lo
	v_cmpx_gt_i32_e64 s3, v0
	s_cbranch_execz .LBB1_4
; %bb.2:
	s_clause 0x1
	s_load_b64 s[30:31], s[0:1], 0x8
	s_load_b32 s34, s[0:1], 0x8c
	s_lshl_b64 s[28:29], s[24:25], 2
	s_mul_i32 s5, s2, s5
	s_mul_hi_u32 s19, s2, s4
	s_add_u32 s27, s20, s28
	s_mul_i32 s4, s2, s4
	s_addc_u32 s28, s21, s29
	s_add_i32 s5, s19, s5
	s_ashr_i32 s19, s18, 31
	s_lshl_b64 s[4:5], s[4:5], 2
	s_mov_b32 s33, 0
	s_waitcnt lgkmcnt(0)
	s_add_u32 s29, s30, s4
	s_addc_u32 s30, s31, s5
	s_abs_i32 s31, s18
	s_and_b32 s34, s34, 0xffff
	v_cvt_f32_u32_e32 v1, s31
	s_sub_i32 s4, 0, s31
	s_sub_i32 s35, 0, s18
	s_lshl_b32 s37, s34, 1
	s_delay_alu instid0(VALU_DEP_1) | instskip(SKIP_2) | instid1(VALU_DEP_1)
	v_rcp_iflag_f32_e32 v1, v1
	s_waitcnt_depctr 0xfff
	v_mul_f32_e32 v1, 0x4f7ffffe, v1
	v_cvt_u32_f32_e32 v2, v1
	s_delay_alu instid0(VALU_DEP_1) | instskip(SKIP_1) | instid1(SALU_CYCLE_1)
	v_mul_lo_u32 v1, s4, v2
	s_lshl_b32 s4, s18, 1
	s_sub_i32 s36, 0, s4
	s_lshl_b64 s[4:5], s[18:19], 2
	s_delay_alu instid0(VALU_DEP_1) | instskip(SKIP_1) | instid1(VALU_DEP_2)
	v_mul_hi_u32 v3, v2, v1
	v_lshlrev_b32_e32 v1, 1, v0
	v_dual_mov_b32 v2, v0 :: v_dual_add_nc_u32 v3, v2, v3
.LBB1_3:                                ; =>This Inner Loop Header: Depth=1
	s_delay_alu instid0(VALU_DEP_1) | instskip(SKIP_1) | instid1(VALU_DEP_2)
	v_sub_nc_u32_e32 v4, 0, v2
	v_ashrrev_i32_e32 v5, 31, v2
	v_max_i32_e32 v4, v2, v4
	s_delay_alu instid0(VALU_DEP_2) | instskip(NEXT) | instid1(VALU_DEP_2)
	v_xor_b32_e32 v5, s19, v5
	v_mul_hi_u32 v6, v4, v3
	s_delay_alu instid0(VALU_DEP_1) | instskip(SKIP_1) | instid1(VALU_DEP_2)
	v_mul_lo_u32 v7, v6, s31
	v_add_nc_u32_e32 v8, 1, v6
	v_sub_nc_u32_e32 v4, v4, v7
	s_delay_alu instid0(VALU_DEP_1) | instskip(SKIP_1) | instid1(VALU_DEP_4)
	v_subrev_nc_u32_e32 v7, s31, v4
	v_cmp_le_u32_e32 vcc_lo, s31, v4
	v_cndmask_b32_e32 v6, v6, v8, vcc_lo
	s_delay_alu instid0(VALU_DEP_1) | instskip(NEXT) | instid1(VALU_DEP_1)
	v_dual_cndmask_b32 v4, v4, v7 :: v_dual_add_nc_u32 v7, 1, v6
	v_cmp_le_u32_e32 vcc_lo, s31, v4
	s_delay_alu instid0(VALU_DEP_2) | instskip(NEXT) | instid1(VALU_DEP_1)
	v_cndmask_b32_e32 v4, v6, v7, vcc_lo
	v_xor_b32_e32 v4, v4, v5
	s_delay_alu instid0(VALU_DEP_1) | instskip(NEXT) | instid1(VALU_DEP_1)
	v_sub_nc_u32_e32 v10, v4, v5
	v_mad_u64_u32 v[4:5], null, s35, v10, v[2:3]
	v_ashrrev_i32_e32 v5, 31, v10
	v_mul_lo_u32 v11, v10, s7
	v_mad_u64_u32 v[6:7], null, v10, s6, 0
	v_mad_u64_u32 v[8:9], null, s36, v10, v[1:2]
	s_delay_alu instid0(VALU_DEP_4) | instskip(SKIP_3) | instid1(VALU_DEP_3)
	v_mul_lo_u32 v10, v5, s6
	v_ashrrev_i32_e32 v5, 31, v4
	v_add_nc_u32_e32 v2, s34, v2
	v_add_nc_u32_e32 v1, s37, v1
	v_lshlrev_b64 v[4:5], 2, v[4:5]
	v_ashrrev_i32_e32 v9, 31, v8
	v_add3_u32 v7, v7, v11, v10
	s_delay_alu instid0(VALU_DEP_3) | instskip(NEXT) | instid1(VALU_DEP_2)
	v_add_co_u32 v4, vcc_lo, s27, v4
	v_lshlrev_b64 v[6:7], 2, v[6:7]
	v_add_co_ci_u32_e32 v5, vcc_lo, s28, v5, vcc_lo
	v_lshlrev_b64 v[8:9], 2, v[8:9]
	s_delay_alu instid0(VALU_DEP_3) | instskip(NEXT) | instid1(VALU_DEP_4)
	v_add_co_u32 v10, vcc_lo, s29, v6
	v_add_co_ci_u32_e32 v11, vcc_lo, s30, v7, vcc_lo
	v_add_co_u32 v6, vcc_lo, v4, s4
	v_add_co_ci_u32_e32 v7, vcc_lo, s5, v5, vcc_lo
	s_delay_alu instid0(VALU_DEP_4) | instskip(NEXT) | instid1(VALU_DEP_4)
	v_add_co_u32 v8, vcc_lo, v10, v8
	v_add_co_ci_u32_e32 v9, vcc_lo, v11, v9, vcc_lo
	s_clause 0x1
	global_load_b32 v10, v[4:5], off
	global_load_b32 v7, v[6:7], off
	global_load_b64 v[4:5], v[8:9], off
	v_cmp_le_i32_e32 vcc_lo, s3, v2
	s_or_b32 s33, vcc_lo, s33
	s_waitcnt vmcnt(0)
	v_mul_f32_e32 v11, v7, v5
	v_mul_f32_e32 v6, v10, v5
	s_delay_alu instid0(VALU_DEP_2) | instskip(NEXT) | instid1(VALU_DEP_2)
	v_fma_f32 v5, v10, v4, -v11
	v_fmac_f32_e32 v6, v7, v4
	global_store_b64 v[8:9], v[5:6], off
	s_and_not1_b32 exec_lo, exec_lo, s33
	s_cbranch_execnz .LBB1_3
.LBB1_4:
	s_or_b32 exec_lo, exec_lo, s26
	s_load_b128 s[4:7], s[0:1], 0x68
	s_waitcnt lgkmcnt(0)
	s_ashr_i32 s27, s7, 31
	s_mov_b32 s26, s7
	s_delay_alu instid0(SALU_CYCLE_1) | instskip(SKIP_1) | instid1(SALU_CYCLE_1)
	s_or_b64 s[30:31], s[22:23], s[26:27]
	s_mov_b32 s30, 0
	s_cmp_lg_u64 s[30:31], 0
	s_cbranch_scc0 .LBB1_14
; %bb.5:
	s_add_u32 s34, s26, s27
	s_mov_b32 s28, s27
	s_mov_b32 s29, s27
	s_addc_u32 s35, s27, s27
	s_delay_alu instid0(SALU_CYCLE_1) | instskip(NEXT) | instid1(SALU_CYCLE_1)
	s_xor_b64 s[34:35], s[34:35], s[28:29]
	v_cvt_f32_u32_e32 v1, s34
	v_cvt_f32_u32_e32 v2, s35
	s_sub_u32 s19, 0, s34
	s_subb_u32 s31, 0, s35
	s_delay_alu instid0(VALU_DEP_1) | instskip(NEXT) | instid1(VALU_DEP_1)
	v_fmamk_f32 v1, v2, 0x4f800000, v1
	v_rcp_f32_e32 v1, v1
	s_waitcnt_depctr 0xfff
	v_mul_f32_e32 v1, 0x5f7ffffc, v1
	s_delay_alu instid0(VALU_DEP_1) | instskip(NEXT) | instid1(VALU_DEP_1)
	v_mul_f32_e32 v2, 0x2f800000, v1
	v_trunc_f32_e32 v2, v2
	s_delay_alu instid0(VALU_DEP_1) | instskip(SKIP_1) | instid1(VALU_DEP_2)
	v_fmamk_f32 v1, v2, 0xcf800000, v1
	v_cvt_u32_f32_e32 v2, v2
	v_cvt_u32_f32_e32 v1, v1
	s_delay_alu instid0(VALU_DEP_2) | instskip(NEXT) | instid1(VALU_DEP_2)
	v_readfirstlane_b32 s3, v2
	v_readfirstlane_b32 s7, v1
	s_delay_alu instid0(VALU_DEP_2) | instskip(NEXT) | instid1(VALU_DEP_1)
	s_mul_i32 s33, s19, s3
	s_mul_hi_u32 s37, s19, s7
	s_mul_i32 s36, s31, s7
	s_add_i32 s33, s37, s33
	s_mul_i32 s38, s19, s7
	s_add_i32 s33, s33, s36
	s_mul_hi_u32 s37, s7, s38
	s_mul_hi_u32 s39, s3, s38
	s_mul_i32 s36, s3, s38
	s_mul_hi_u32 s38, s7, s33
	s_mul_i32 s7, s7, s33
	s_mul_hi_u32 s40, s3, s33
	s_add_u32 s7, s37, s7
	s_addc_u32 s37, 0, s38
	s_add_u32 s7, s7, s36
	s_mul_i32 s33, s3, s33
	s_addc_u32 s7, s37, s39
	s_addc_u32 s36, s40, 0
	s_add_u32 s7, s7, s33
	s_addc_u32 s33, 0, s36
	v_add_co_u32 v1, s7, v1, s7
	s_delay_alu instid0(VALU_DEP_1) | instskip(SKIP_1) | instid1(VALU_DEP_1)
	s_cmp_lg_u32 s7, 0
	s_addc_u32 s3, s3, s33
	v_readfirstlane_b32 s7, v1
	s_mul_i32 s33, s19, s3
	s_delay_alu instid0(VALU_DEP_1)
	s_mul_hi_u32 s36, s19, s7
	s_mul_i32 s31, s31, s7
	s_add_i32 s33, s36, s33
	s_mul_i32 s19, s19, s7
	s_add_i32 s33, s33, s31
	s_mul_hi_u32 s36, s3, s19
	s_mul_i32 s37, s3, s19
	s_mul_hi_u32 s19, s7, s19
	s_mul_hi_u32 s38, s7, s33
	s_mul_i32 s7, s7, s33
	s_mul_hi_u32 s31, s3, s33
	s_add_u32 s7, s19, s7
	s_addc_u32 s19, 0, s38
	s_add_u32 s7, s7, s37
	s_mul_i32 s33, s3, s33
	s_addc_u32 s7, s19, s36
	s_addc_u32 s19, s31, 0
	s_add_u32 s7, s7, s33
	s_addc_u32 s19, 0, s19
	v_add_co_u32 v1, s7, v1, s7
	s_delay_alu instid0(VALU_DEP_1) | instskip(SKIP_2) | instid1(VALU_DEP_1)
	s_cmp_lg_u32 s7, 0
	s_addc_u32 s3, s3, s19
	s_ashr_i32 s36, s23, 31
	v_readfirstlane_b32 s7, v1
	s_add_u32 s38, s22, s36
	s_mov_b32 s37, s36
	s_addc_u32 s39, s23, s36
	s_delay_alu instid0(SALU_CYCLE_1) | instskip(NEXT) | instid1(SALU_CYCLE_1)
	s_xor_b64 s[38:39], s[38:39], s[36:37]
	s_mul_i32 s31, s38, s3
	s_mul_hi_u32 s33, s38, s7
	s_mul_hi_u32 s19, s38, s3
	;; [unrolled: 1-line block ×3, first 2 shown]
	s_mul_i32 s7, s39, s7
	s_add_u32 s31, s33, s31
	s_addc_u32 s19, 0, s19
	s_mul_hi_u32 s40, s39, s3
	s_add_u32 s7, s31, s7
	s_mul_i32 s3, s39, s3
	s_addc_u32 s7, s19, s41
	s_addc_u32 s19, s40, 0
	s_add_u32 s3, s7, s3
	s_addc_u32 s7, 0, s19
	s_mul_hi_u32 s19, s34, s3
	s_mul_i32 s33, s34, s7
	s_mul_i32 s40, s34, s3
	s_add_i32 s19, s19, s33
	v_sub_co_u32 v1, s33, s38, s40
	s_mul_i32 s31, s35, s3
	s_delay_alu instid0(SALU_CYCLE_1) | instskip(NEXT) | instid1(VALU_DEP_1)
	s_add_i32 s19, s19, s31
	v_sub_co_u32 v2, s38, v1, s34
	s_sub_i32 s31, s39, s19
	s_cmp_lg_u32 s33, 0
	s_subb_u32 s31, s31, s35
	s_cmp_lg_u32 s38, 0
	v_readfirstlane_b32 s38, v2
	s_subb_u32 s31, s31, 0
	s_delay_alu instid0(SALU_CYCLE_1) | instskip(SKIP_1) | instid1(VALU_DEP_1)
	s_cmp_ge_u32 s31, s35
	s_cselect_b32 s40, -1, 0
	s_cmp_ge_u32 s38, s34
	s_cselect_b32 s38, -1, 0
	s_cmp_eq_u32 s31, s35
	s_cselect_b32 s31, s38, s40
	s_add_u32 s38, s3, 1
	s_addc_u32 s40, s7, 0
	s_add_u32 s41, s3, 2
	s_addc_u32 s42, s7, 0
	s_cmp_lg_u32 s31, 0
	s_cselect_b32 s31, s41, s38
	s_cselect_b32 s38, s42, s40
	s_cmp_lg_u32 s33, 0
	v_readfirstlane_b32 s33, v1
	s_subb_u32 s19, s39, s19
	s_delay_alu instid0(SALU_CYCLE_1) | instskip(SKIP_1) | instid1(VALU_DEP_1)
	s_cmp_ge_u32 s19, s35
	s_cselect_b32 s39, -1, 0
	s_cmp_ge_u32 s33, s34
	s_cselect_b32 s33, -1, 0
	s_cmp_eq_u32 s19, s35
	s_cselect_b32 s19, s33, s39
	s_delay_alu instid0(SALU_CYCLE_1) | instskip(SKIP_3) | instid1(SALU_CYCLE_1)
	s_cmp_lg_u32 s19, 0
	s_cselect_b32 s35, s38, s7
	s_cselect_b32 s34, s31, s3
	s_xor_b64 s[28:29], s[36:37], s[28:29]
	s_xor_b64 s[34:35], s[34:35], s[28:29]
	s_delay_alu instid0(SALU_CYCLE_1)
	s_sub_u32 s28, s34, s28
	s_subb_u32 s29, s35, s29
	s_and_not1_b32 vcc_lo, exec_lo, s30
	s_cbranch_vccnz .LBB1_7
.LBB1_6:
	v_cvt_f32_u32_e32 v1, s26
	s_sub_i32 s7, 0, s26
	s_mov_b32 s29, 0
	s_delay_alu instid0(VALU_DEP_1) | instskip(SKIP_2) | instid1(VALU_DEP_1)
	v_rcp_iflag_f32_e32 v1, v1
	s_waitcnt_depctr 0xfff
	v_mul_f32_e32 v1, 0x4f7ffffe, v1
	v_cvt_u32_f32_e32 v1, v1
	s_delay_alu instid0(VALU_DEP_1) | instskip(NEXT) | instid1(VALU_DEP_1)
	v_readfirstlane_b32 s3, v1
	s_mul_i32 s7, s7, s3
	s_delay_alu instid0(SALU_CYCLE_1) | instskip(NEXT) | instid1(SALU_CYCLE_1)
	s_mul_hi_u32 s7, s3, s7
	s_add_i32 s3, s3, s7
	s_delay_alu instid0(SALU_CYCLE_1) | instskip(NEXT) | instid1(SALU_CYCLE_1)
	s_mul_hi_u32 s3, s22, s3
	s_mul_i32 s7, s3, s26
	s_add_i32 s19, s3, 1
	s_sub_i32 s7, s22, s7
	s_delay_alu instid0(SALU_CYCLE_1)
	s_sub_i32 s28, s7, s26
	s_cmp_ge_u32 s7, s26
	s_cselect_b32 s3, s19, s3
	s_cselect_b32 s7, s28, s7
	s_add_i32 s19, s3, 1
	s_cmp_ge_u32 s7, s26
	s_cselect_b32 s28, s19, s3
.LBB1_7:
	s_delay_alu instid0(SALU_CYCLE_1)
	s_mul_i32 s3, s28, s27
	s_mul_hi_u32 s7, s28, s26
	s_mul_i32 s19, s28, s26
	s_add_i32 s3, s7, s3
	s_mul_i32 s7, s29, s26
	s_mul_hi_u32 s31, s28, s4
	s_add_i32 s7, s3, s7
	s_sub_u32 s3, s22, s19
	s_subb_u32 s30, s23, s7
	s_mul_i32 s33, s29, s4
	s_mul_i32 s26, s28, s4
	s_mul_hi_u32 s29, s3, s5
	s_mul_i32 s30, s30, s5
	s_mul_i32 s22, s3, s5
	s_mov_b32 s34, exec_lo
	v_cmpx_gt_i32_e64 s18, v0
	s_cbranch_execz .LBB1_10
; %bb.8:
	s_load_b32 s23, s[0:1], 0x8c
	s_ashr_i32 s27, s4, 31
	s_ashr_i32 s35, s5, 31
	s_lshl_b64 s[36:37], s[24:25], 2
	s_ashr_i32 s19, s18, 31
	s_ashr_i32 s7, s6, 31
	s_mul_i32 s27, s28, s27
	s_mul_i32 s35, s3, s35
	v_lshlrev_b32_e32 v1, 2, v0
	v_lshlrev_b32_e32 v5, 3, v0
	s_mul_i32 s9, s9, s2
	s_mul_hi_u32 s40, s8, s2
	s_mul_i32 s8, s8, s2
	v_mov_b32_e32 v7, v0
	s_waitcnt lgkmcnt(0)
	s_and_b32 s24, s23, 0xffff
	s_add_u32 s41, s20, s36
	s_addc_u32 s42, s21, s37
	s_add_i32 s20, s31, s27
	s_add_i32 s21, s29, s35
	;; [unrolled: 1-line block ×4, first 2 shown]
	s_lshl_b64 s[36:37], s[26:27], 2
	s_lshl_b64 s[38:39], s[22:23], 2
	s_lshl_b32 s25, s24, 2
	s_lshl_b64 s[20:21], s[18:19], 2
	s_add_u32 s19, s36, s38
	s_addc_u32 s23, s37, s39
	s_lshl_b64 s[36:37], s[6:7], 2
	v_add_co_u32 v1, s7, s41, v1
	s_delay_alu instid0(VALU_DEP_1)
	v_add_co_ci_u32_e64 v2, null, s42, 0, s7
	s_add_u32 s7, s16, s36
	s_addc_u32 s27, s17, s37
	s_add_u32 s7, s7, s19
	s_addc_u32 s19, s27, s23
	s_add_i32 s9, s40, s9
	v_add_co_u32 v3, s7, s7, v5
	s_lshl_b64 s[8:9], s[8:9], 2
	v_add_co_ci_u32_e64 v4, null, s19, 0, s7
	s_lshl_b32 s7, s24, 3
	s_add_u32 s8, s12, s8
	v_add_co_u32 v3, vcc_lo, v3, 4
	s_addc_u32 s9, s13, s9
	v_add_co_u32 v5, s8, s8, v5
	v_add_co_ci_u32_e32 v4, vcc_lo, 0, v4, vcc_lo
	v_add_co_ci_u32_e64 v6, null, s9, 0, s8
	s_mov_b32 s12, 0
	s_mov_b64 s[8:9], 0
	s_set_inst_prefetch_distance 0x1
	.p2align	6
.LBB1_9:                                ; =>This Inner Loop Header: Depth=1
	v_add_co_u32 v8, vcc_lo, v1, s20
	v_add_co_ci_u32_e32 v9, vcc_lo, s21, v2, vcc_lo
	v_add_co_u32 v10, vcc_lo, v5, s8
	v_add_co_ci_u32_e32 v11, vcc_lo, s9, v6, vcc_lo
	s_clause 0x1
	global_load_b32 v14, v[1:2], off
	global_load_b32 v16, v[8:9], off
	global_load_b64 v[8:9], v[10:11], off
	v_add_co_u32 v12, vcc_lo, v3, s8
	v_add_nc_u32_e32 v7, s24, v7
	v_add_co_ci_u32_e32 v13, vcc_lo, s9, v4, vcc_lo
	v_add_co_u32 v1, vcc_lo, v1, s25
	v_add_co_ci_u32_e32 v2, vcc_lo, 0, v2, vcc_lo
	s_delay_alu instid0(VALU_DEP_4)
	v_cmp_le_i32_e32 vcc_lo, s18, v7
	s_add_u32 s8, s8, s7
	s_addc_u32 s9, s9, 0
	s_or_b32 s12, vcc_lo, s12
	s_waitcnt vmcnt(0)
	v_mul_f32_e32 v17, v16, v9
	v_mul_f32_e32 v15, v14, v9
	s_delay_alu instid0(VALU_DEP_2) | instskip(NEXT) | instid1(VALU_DEP_2)
	v_fma_f32 v14, v14, v8, -v17
	v_fmac_f32_e32 v15, v16, v8
	global_store_b64 v[10:11], v[14:15], off
	global_store_b64 v[12:13], v[14:15], off offset:-4
	s_and_not1_b32 exec_lo, exec_lo, s12
	s_cbranch_execnz .LBB1_9
.LBB1_10:
	s_set_inst_prefetch_distance 0x2
	s_or_b32 exec_lo, exec_lo, s34
	s_delay_alu instid0(SALU_CYCLE_1)
	s_mov_b32 s7, exec_lo
	v_cmpx_gt_i32_e64 s6, v0
	s_cbranch_execz .LBB1_13
; %bb.11:
	s_mul_i32 s7, s2, s11
	s_mul_hi_u32 s9, s2, s10
	s_mul_i32 s8, s2, s10
	s_add_i32 s9, s9, s7
	s_delay_alu instid0(SALU_CYCLE_1) | instskip(NEXT) | instid1(SALU_CYCLE_1)
	s_lshl_b64 s[8:9], s[8:9], 2
	s_add_u32 s2, s14, s8
	s_addc_u32 s7, s15, s9
	s_ashr_i32 s4, s4, 31
	s_load_b32 s8, s[0:1], 0x8c
	s_mul_i32 s4, s28, s4
	s_delay_alu instid0(SALU_CYCLE_1) | instskip(NEXT) | instid1(SALU_CYCLE_1)
	s_add_i32 s0, s31, s4
	s_add_i32 s27, s0, s33
	s_delay_alu instid0(SALU_CYCLE_1) | instskip(NEXT) | instid1(SALU_CYCLE_1)
	s_lshl_b64 s[0:1], s[26:27], 2
	s_add_u32 s0, s16, s0
	s_addc_u32 s9, s17, s1
	s_ashr_i32 s1, s5, 31
	s_delay_alu instid0(SALU_CYCLE_1) | instskip(NEXT) | instid1(SALU_CYCLE_1)
	s_mul_i32 s3, s3, s1
	s_add_i32 s1, s29, s3
	s_delay_alu instid0(SALU_CYCLE_1) | instskip(NEXT) | instid1(SALU_CYCLE_1)
	s_add_i32 s23, s1, s30
	s_lshl_b64 s[4:5], s[22:23], 2
	s_delay_alu instid0(SALU_CYCLE_1)
	s_add_u32 s1, s0, s4
	s_addc_u32 s3, s9, s5
	s_waitcnt lgkmcnt(0)
	s_and_b32 s4, s8, 0xffff
	s_mov_b32 s5, 0
	.p2align	6
.LBB1_12:                               ; =>This Inner Loop Header: Depth=1
	v_ashrrev_i32_e32 v1, 31, v0
	s_delay_alu instid0(VALU_DEP_1) | instskip(SKIP_1) | instid1(VALU_DEP_2)
	v_lshlrev_b64 v[1:2], 2, v[0:1]
	v_add_nc_u32_e32 v0, s4, v0
	v_add_co_u32 v3, vcc_lo, s2, v1
	s_delay_alu instid0(VALU_DEP_3) | instskip(NEXT) | instid1(VALU_DEP_3)
	v_add_co_ci_u32_e32 v4, vcc_lo, s7, v2, vcc_lo
	v_cmp_le_i32_e32 vcc_lo, s6, v0
	v_add_co_u32 v1, s0, s1, v1
	global_load_b32 v3, v[3:4], off
	v_add_co_ci_u32_e64 v2, s0, s3, v2, s0
	s_or_b32 s5, vcc_lo, s5
	s_waitcnt vmcnt(0)
	global_store_b32 v[1:2], v3, off
	s_and_not1_b32 exec_lo, exec_lo, s5
	s_cbranch_execnz .LBB1_12
.LBB1_13:
	s_nop 0
	s_sendmsg sendmsg(MSG_DEALLOC_VGPRS)
	s_endpgm
.LBB1_14:
                                        ; implicit-def: $sgpr28_sgpr29
	s_branch .LBB1_6
	.section	.rodata,"a",@progbits
	.p2align	6, 0x0
	.amdhsa_kernel _ZN4vllm38concat_and_cache_mla_rope_fused_kernelIffLb0EffLNS_18Fp8KVCacheDataTypeE0EEEvPKlPT_S5_PKS4_PKT0_illlliPT3_S3_iiiiPKf
		.amdhsa_group_segment_fixed_size 0
		.amdhsa_private_segment_fixed_size 0
		.amdhsa_kernarg_size 384
		.amdhsa_user_sgpr_count 15
		.amdhsa_user_sgpr_dispatch_ptr 0
		.amdhsa_user_sgpr_queue_ptr 0
		.amdhsa_user_sgpr_kernarg_segment_ptr 1
		.amdhsa_user_sgpr_dispatch_id 0
		.amdhsa_user_sgpr_private_segment_size 0
		.amdhsa_wavefront_size32 1
		.amdhsa_uses_dynamic_stack 0
		.amdhsa_enable_private_segment 0
		.amdhsa_system_sgpr_workgroup_id_x 1
		.amdhsa_system_sgpr_workgroup_id_y 0
		.amdhsa_system_sgpr_workgroup_id_z 0
		.amdhsa_system_sgpr_workgroup_info 0
		.amdhsa_system_vgpr_workitem_id 0
		.amdhsa_next_free_vgpr 18
		.amdhsa_next_free_sgpr 43
		.amdhsa_reserve_vcc 1
		.amdhsa_float_round_mode_32 0
		.amdhsa_float_round_mode_16_64 0
		.amdhsa_float_denorm_mode_32 3
		.amdhsa_float_denorm_mode_16_64 3
		.amdhsa_dx10_clamp 1
		.amdhsa_ieee_mode 1
		.amdhsa_fp16_overflow 0
		.amdhsa_workgroup_processor_mode 1
		.amdhsa_memory_ordered 1
		.amdhsa_forward_progress 0
		.amdhsa_shared_vgpr_count 0
		.amdhsa_exception_fp_ieee_invalid_op 0
		.amdhsa_exception_fp_denorm_src 0
		.amdhsa_exception_fp_ieee_div_zero 0
		.amdhsa_exception_fp_ieee_overflow 0
		.amdhsa_exception_fp_ieee_underflow 0
		.amdhsa_exception_fp_ieee_inexact 0
		.amdhsa_exception_int_div_zero 0
	.end_amdhsa_kernel
	.section	.text._ZN4vllm38concat_and_cache_mla_rope_fused_kernelIffLb0EffLNS_18Fp8KVCacheDataTypeE0EEEvPKlPT_S5_PKS4_PKT0_illlliPT3_S3_iiiiPKf,"axG",@progbits,_ZN4vllm38concat_and_cache_mla_rope_fused_kernelIffLb0EffLNS_18Fp8KVCacheDataTypeE0EEEvPKlPT_S5_PKS4_PKT0_illlliPT3_S3_iiiiPKf,comdat
.Lfunc_end1:
	.size	_ZN4vllm38concat_and_cache_mla_rope_fused_kernelIffLb0EffLNS_18Fp8KVCacheDataTypeE0EEEvPKlPT_S5_PKS4_PKT0_illlliPT3_S3_iiiiPKf, .Lfunc_end1-_ZN4vllm38concat_and_cache_mla_rope_fused_kernelIffLb0EffLNS_18Fp8KVCacheDataTypeE0EEEvPKlPT_S5_PKS4_PKT0_illlliPT3_S3_iiiiPKf
                                        ; -- End function
	.section	.AMDGPU.csdata,"",@progbits
; Kernel info:
; codeLenInByte = 2236
; NumSgprs: 45
; NumVgprs: 18
; ScratchSize: 0
; MemoryBound: 0
; FloatMode: 240
; IeeeMode: 1
; LDSByteSize: 0 bytes/workgroup (compile time only)
; SGPRBlocks: 5
; VGPRBlocks: 2
; NumSGPRsForWavesPerEU: 45
; NumVGPRsForWavesPerEU: 18
; Occupancy: 16
; WaveLimiterHint : 1
; COMPUTE_PGM_RSRC2:SCRATCH_EN: 0
; COMPUTE_PGM_RSRC2:USER_SGPR: 15
; COMPUTE_PGM_RSRC2:TRAP_HANDLER: 0
; COMPUTE_PGM_RSRC2:TGID_X_EN: 1
; COMPUTE_PGM_RSRC2:TGID_Y_EN: 0
; COMPUTE_PGM_RSRC2:TGID_Z_EN: 0
; COMPUTE_PGM_RSRC2:TIDIG_COMP_CNT: 0
	.section	.text._ZN4vllm38concat_and_cache_mla_rope_fused_kernelIfN3c104HalfELb1EffLNS_18Fp8KVCacheDataTypeE0EEEvPKlPT_S7_PKS6_PKT0_illlliPT3_S5_iiiiPKf,"axG",@progbits,_ZN4vllm38concat_and_cache_mla_rope_fused_kernelIfN3c104HalfELb1EffLNS_18Fp8KVCacheDataTypeE0EEEvPKlPT_S7_PKS6_PKT0_illlliPT3_S5_iiiiPKf,comdat
	.protected	_ZN4vllm38concat_and_cache_mla_rope_fused_kernelIfN3c104HalfELb1EffLNS_18Fp8KVCacheDataTypeE0EEEvPKlPT_S7_PKS6_PKT0_illlliPT3_S5_iiiiPKf ; -- Begin function _ZN4vllm38concat_and_cache_mla_rope_fused_kernelIfN3c104HalfELb1EffLNS_18Fp8KVCacheDataTypeE0EEEvPKlPT_S7_PKS6_PKT0_illlliPT3_S5_iiiiPKf
	.globl	_ZN4vllm38concat_and_cache_mla_rope_fused_kernelIfN3c104HalfELb1EffLNS_18Fp8KVCacheDataTypeE0EEEvPKlPT_S7_PKS6_PKT0_illlliPT3_S5_iiiiPKf
	.p2align	8
	.type	_ZN4vllm38concat_and_cache_mla_rope_fused_kernelIfN3c104HalfELb1EffLNS_18Fp8KVCacheDataTypeE0EEEvPKlPT_S7_PKS6_PKT0_illlliPT3_S5_iiiiPKf,@function
_ZN4vllm38concat_and_cache_mla_rope_fused_kernelIfN3c104HalfELb1EffLNS_18Fp8KVCacheDataTypeE0EEEvPKlPT_S7_PKS6_PKT0_illlliPT3_S5_iiiiPKf: ; @_ZN4vllm38concat_and_cache_mla_rope_fused_kernelIfN3c104HalfELb1EffLNS_18Fp8KVCacheDataTypeE0EEEvPKlPT_S7_PKS6_PKT0_illlliPT3_S5_iiiiPKf
; %bb.0:
	s_load_b64 s[6:7], s[0:1], 0x60
	s_mov_b32 s2, s15
	s_mov_b32 s3, 0
	s_delay_alu instid0(SALU_CYCLE_1)
	s_lshl_b64 s[4:5], s[2:3], 3
	s_waitcnt lgkmcnt(0)
	s_add_u32 s6, s6, s4
	s_addc_u32 s7, s7, s5
	s_load_b64 s[24:25], s[6:7], 0x0
	s_waitcnt lgkmcnt(0)
	v_cmp_lt_i64_e64 s3, s[24:25], 0
	s_delay_alu instid0(VALU_DEP_1)
	s_and_b32 vcc_lo, exec_lo, s3
	s_cbranch_vccnz .LBB2_13
; %bb.1:
	s_clause 0x3
	s_load_b32 s19, s[0:1], 0x28
	s_load_b64 s[6:7], s[0:1], 0x0
	s_load_b128 s[12:15], s[0:1], 0x10
	s_load_b32 s3, s[0:1], 0x50
	s_mov_b32 s28, exec_lo
	s_waitcnt lgkmcnt(0)
	s_ashr_i32 s26, s19, 31
	s_add_u32 s4, s6, s4
	s_addc_u32 s5, s7, s5
	s_lshr_b32 s18, s19, 31
	s_load_b64 s[22:23], s[4:5], 0x0
	s_clause 0x2
	s_load_b64 s[20:21], s[0:1], 0x20
	s_load_b64 s[16:17], s[0:1], 0x58
	s_load_b256 s[4:11], s[0:1], 0x30
	s_add_i32 s18, s19, s18
	s_delay_alu instid0(SALU_CYCLE_1) | instskip(NEXT) | instid1(SALU_CYCLE_1)
	s_ashr_i32 s18, s18, 1
	s_mul_i32 s3, s18, s3
	s_waitcnt lgkmcnt(0)
	s_mul_i32 s26, s22, s26
	s_mul_hi_u32 s27, s22, s19
	s_mul_i32 s23, s23, s19
	s_add_i32 s26, s27, s26
	s_mul_i32 s22, s22, s19
	s_add_i32 s23, s26, s23
	v_cmpx_gt_i32_e64 s3, v0
	s_cbranch_execz .LBB2_4
; %bb.2:
	s_clause 0x1
	s_load_b64 s[26:27], s[0:1], 0x8
	s_load_b32 s36, s[0:1], 0x8c
	s_lshl_b64 s[30:31], s[22:23], 1
	s_mul_i32 s5, s2, s5
	s_mul_hi_u32 s19, s2, s4
	s_add_u32 s29, s20, s30
	s_mul_i32 s4, s2, s4
	s_addc_u32 s30, s21, s31
	s_add_i32 s5, s19, s5
	s_ashr_i32 s19, s18, 31
	s_lshl_b64 s[4:5], s[4:5], 2
	s_mov_b32 s35, 0
	s_waitcnt lgkmcnt(0)
	s_add_u32 s31, s26, s4
	s_addc_u32 s33, s27, s5
	s_abs_i32 s34, s18
	s_and_b32 s36, s36, 0xffff
	v_cvt_f32_u32_e32 v1, s34
	s_sub_i32 s4, 0, s34
	s_sub_i32 s37, 0, s18
	s_lshl_b64 s[26:27], s[18:19], 2
	s_delay_alu instid0(VALU_DEP_1) | instskip(SKIP_2) | instid1(VALU_DEP_1)
	v_rcp_iflag_f32_e32 v1, v1
	s_waitcnt_depctr 0xfff
	v_mul_f32_e32 v1, 0x4f7ffffe, v1
	v_cvt_u32_f32_e32 v1, v1
	s_delay_alu instid0(VALU_DEP_1) | instskip(SKIP_1) | instid1(VALU_DEP_1)
	v_mul_lo_u32 v2, s4, v1
	s_lshl_b64 s[4:5], s[18:19], 1
	v_mul_hi_u32 v2, v1, v2
	s_delay_alu instid0(VALU_DEP_1)
	v_dual_mov_b32 v1, v0 :: v_dual_add_nc_u32 v2, v1, v2
.LBB2_3:                                ; =>This Inner Loop Header: Depth=1
	s_delay_alu instid0(VALU_DEP_1) | instskip(SKIP_1) | instid1(VALU_DEP_2)
	v_sub_nc_u32_e32 v3, 0, v1
	v_ashrrev_i32_e32 v4, 31, v1
	v_max_i32_e32 v3, v1, v3
	s_delay_alu instid0(VALU_DEP_2) | instskip(NEXT) | instid1(VALU_DEP_2)
	v_xor_b32_e32 v4, s19, v4
	v_mul_hi_u32 v5, v3, v2
	s_delay_alu instid0(VALU_DEP_1) | instskip(SKIP_1) | instid1(VALU_DEP_2)
	v_mul_lo_u32 v6, v5, s34
	v_add_nc_u32_e32 v7, 1, v5
	v_sub_nc_u32_e32 v3, v3, v6
	s_delay_alu instid0(VALU_DEP_1) | instskip(SKIP_1) | instid1(VALU_DEP_4)
	v_subrev_nc_u32_e32 v6, s34, v3
	v_cmp_le_u32_e32 vcc_lo, s34, v3
	v_cndmask_b32_e32 v5, v5, v7, vcc_lo
	s_delay_alu instid0(VALU_DEP_1) | instskip(NEXT) | instid1(VALU_DEP_1)
	v_dual_cndmask_b32 v3, v3, v6 :: v_dual_add_nc_u32 v6, 1, v5
	v_cmp_le_u32_e32 vcc_lo, s34, v3
	s_delay_alu instid0(VALU_DEP_2) | instskip(NEXT) | instid1(VALU_DEP_1)
	v_cndmask_b32_e32 v3, v5, v6, vcc_lo
	v_xor_b32_e32 v3, v3, v4
	s_delay_alu instid0(VALU_DEP_1) | instskip(NEXT) | instid1(VALU_DEP_1)
	v_sub_nc_u32_e32 v7, v3, v4
	v_ashrrev_i32_e32 v8, 31, v7
	v_mad_u64_u32 v[3:4], null, s37, v7, v[1:2]
	v_mul_lo_u32 v9, v7, s7
	v_mad_u64_u32 v[5:6], null, v7, s6, 0
	s_delay_alu instid0(VALU_DEP_4) | instskip(SKIP_2) | instid1(VALU_DEP_3)
	v_mul_lo_u32 v7, v8, s6
	v_add_nc_u32_e32 v1, s36, v1
	v_ashrrev_i32_e32 v4, 31, v3
	v_add3_u32 v6, v6, v9, v7
	s_delay_alu instid0(VALU_DEP_2) | instskip(SKIP_1) | instid1(VALU_DEP_3)
	v_lshlrev_b64 v[7:8], 1, v[3:4]
	v_lshlrev_b64 v[3:4], 2, v[3:4]
	;; [unrolled: 1-line block ×3, first 2 shown]
	s_delay_alu instid0(VALU_DEP_3) | instskip(NEXT) | instid1(VALU_DEP_4)
	v_add_co_u32 v7, vcc_lo, s29, v7
	v_add_co_ci_u32_e32 v8, vcc_lo, s30, v8, vcc_lo
	s_delay_alu instid0(VALU_DEP_3) | instskip(NEXT) | instid1(VALU_DEP_4)
	v_add_co_u32 v10, vcc_lo, s31, v5
	v_add_co_ci_u32_e32 v11, vcc_lo, s33, v6, vcc_lo
	s_delay_alu instid0(VALU_DEP_4) | instskip(NEXT) | instid1(VALU_DEP_4)
	v_add_co_u32 v5, vcc_lo, v7, s4
	v_add_co_ci_u32_e32 v6, vcc_lo, s5, v8, vcc_lo
	s_delay_alu instid0(VALU_DEP_4) | instskip(NEXT) | instid1(VALU_DEP_4)
	v_add_co_u32 v3, vcc_lo, v10, v3
	v_add_co_ci_u32_e32 v4, vcc_lo, v11, v4, vcc_lo
	s_clause 0x1
	global_load_u16 v9, v[7:8], off
	global_load_u16 v7, v[5:6], off
	v_add_co_u32 v5, vcc_lo, v3, s26
	v_add_co_ci_u32_e32 v6, vcc_lo, s27, v4, vcc_lo
	s_clause 0x1
	global_load_b32 v8, v[3:4], off
	global_load_b32 v10, v[5:6], off
	v_cmp_le_i32_e32 vcc_lo, s3, v1
	s_or_b32 s35, vcc_lo, s35
	s_waitcnt vmcnt(3)
	v_cvt_f32_f16_e32 v11, v9
	s_waitcnt vmcnt(2)
	v_cvt_f32_f16_e32 v12, v7
	s_waitcnt vmcnt(0)
	s_delay_alu instid0(VALU_DEP_1) | instskip(SKIP_1) | instid1(VALU_DEP_2)
	v_mul_f32_e32 v12, v10, v12
	v_mul_f32_e32 v10, v10, v11
	v_fma_mix_f32 v9, v8, v9, -v12 op_sel_hi:[0,1,0]
	s_delay_alu instid0(VALU_DEP_2)
	v_fma_mix_f32 v7, v8, v7, v10 op_sel_hi:[0,1,0]
	s_clause 0x1
	global_store_b32 v[3:4], v9, off
	global_store_b32 v[5:6], v7, off
	s_and_not1_b32 exec_lo, exec_lo, s35
	s_cbranch_execnz .LBB2_3
.LBB2_4:
	s_or_b32 exec_lo, exec_lo, s28
	s_load_b128 s[4:7], s[0:1], 0x68
	s_waitcnt lgkmcnt(0)
	s_ashr_i32 s29, s7, 31
	s_mov_b32 s28, s7
	s_delay_alu instid0(SALU_CYCLE_1) | instskip(SKIP_1) | instid1(SALU_CYCLE_1)
	s_or_b64 s[30:31], s[24:25], s[28:29]
	s_mov_b32 s30, 0
	s_cmp_lg_u64 s[30:31], 0
	s_cbranch_scc0 .LBB2_14
; %bb.5:
	s_add_u32 s34, s28, s29
	s_mov_b32 s26, s29
	s_mov_b32 s27, s29
	s_addc_u32 s35, s29, s29
	s_delay_alu instid0(SALU_CYCLE_1) | instskip(NEXT) | instid1(SALU_CYCLE_1)
	s_xor_b64 s[34:35], s[34:35], s[26:27]
	v_cvt_f32_u32_e32 v1, s34
	v_cvt_f32_u32_e32 v2, s35
	s_sub_u32 s19, 0, s34
	s_subb_u32 s31, 0, s35
	s_delay_alu instid0(VALU_DEP_1) | instskip(NEXT) | instid1(VALU_DEP_1)
	v_fmamk_f32 v1, v2, 0x4f800000, v1
	v_rcp_f32_e32 v1, v1
	s_waitcnt_depctr 0xfff
	v_mul_f32_e32 v1, 0x5f7ffffc, v1
	s_delay_alu instid0(VALU_DEP_1) | instskip(NEXT) | instid1(VALU_DEP_1)
	v_mul_f32_e32 v2, 0x2f800000, v1
	v_trunc_f32_e32 v2, v2
	s_delay_alu instid0(VALU_DEP_1) | instskip(SKIP_1) | instid1(VALU_DEP_2)
	v_fmamk_f32 v1, v2, 0xcf800000, v1
	v_cvt_u32_f32_e32 v2, v2
	v_cvt_u32_f32_e32 v1, v1
	s_delay_alu instid0(VALU_DEP_2) | instskip(NEXT) | instid1(VALU_DEP_2)
	v_readfirstlane_b32 s3, v2
	v_readfirstlane_b32 s7, v1
	s_delay_alu instid0(VALU_DEP_2) | instskip(NEXT) | instid1(VALU_DEP_1)
	s_mul_i32 s33, s19, s3
	s_mul_hi_u32 s37, s19, s7
	s_mul_i32 s36, s31, s7
	s_add_i32 s33, s37, s33
	s_mul_i32 s38, s19, s7
	s_add_i32 s33, s33, s36
	s_mul_hi_u32 s37, s7, s38
	s_mul_hi_u32 s39, s3, s38
	s_mul_i32 s36, s3, s38
	s_mul_hi_u32 s38, s7, s33
	s_mul_i32 s7, s7, s33
	s_mul_hi_u32 s40, s3, s33
	s_add_u32 s7, s37, s7
	s_addc_u32 s37, 0, s38
	s_add_u32 s7, s7, s36
	s_mul_i32 s33, s3, s33
	s_addc_u32 s7, s37, s39
	s_addc_u32 s36, s40, 0
	s_add_u32 s7, s7, s33
	s_addc_u32 s33, 0, s36
	v_add_co_u32 v1, s7, v1, s7
	s_delay_alu instid0(VALU_DEP_1) | instskip(SKIP_1) | instid1(VALU_DEP_1)
	s_cmp_lg_u32 s7, 0
	s_addc_u32 s3, s3, s33
	v_readfirstlane_b32 s7, v1
	s_mul_i32 s33, s19, s3
	s_delay_alu instid0(VALU_DEP_1)
	s_mul_hi_u32 s36, s19, s7
	s_mul_i32 s31, s31, s7
	s_add_i32 s33, s36, s33
	s_mul_i32 s19, s19, s7
	s_add_i32 s33, s33, s31
	s_mul_hi_u32 s36, s3, s19
	s_mul_i32 s37, s3, s19
	s_mul_hi_u32 s19, s7, s19
	s_mul_hi_u32 s38, s7, s33
	s_mul_i32 s7, s7, s33
	s_mul_hi_u32 s31, s3, s33
	s_add_u32 s7, s19, s7
	s_addc_u32 s19, 0, s38
	s_add_u32 s7, s7, s37
	s_mul_i32 s33, s3, s33
	s_addc_u32 s7, s19, s36
	s_addc_u32 s19, s31, 0
	s_add_u32 s7, s7, s33
	s_addc_u32 s19, 0, s19
	v_add_co_u32 v1, s7, v1, s7
	s_delay_alu instid0(VALU_DEP_1) | instskip(SKIP_2) | instid1(VALU_DEP_1)
	s_cmp_lg_u32 s7, 0
	s_addc_u32 s3, s3, s19
	s_ashr_i32 s36, s25, 31
	v_readfirstlane_b32 s7, v1
	s_add_u32 s38, s24, s36
	s_mov_b32 s37, s36
	s_addc_u32 s39, s25, s36
	s_delay_alu instid0(SALU_CYCLE_1) | instskip(NEXT) | instid1(SALU_CYCLE_1)
	s_xor_b64 s[38:39], s[38:39], s[36:37]
	s_mul_i32 s31, s38, s3
	s_mul_hi_u32 s33, s38, s7
	s_mul_hi_u32 s19, s38, s3
	;; [unrolled: 1-line block ×3, first 2 shown]
	s_mul_i32 s7, s39, s7
	s_add_u32 s31, s33, s31
	s_addc_u32 s19, 0, s19
	s_mul_hi_u32 s40, s39, s3
	s_add_u32 s7, s31, s7
	s_mul_i32 s3, s39, s3
	s_addc_u32 s7, s19, s41
	s_addc_u32 s19, s40, 0
	s_add_u32 s3, s7, s3
	s_addc_u32 s7, 0, s19
	s_mul_hi_u32 s19, s34, s3
	s_mul_i32 s33, s34, s7
	s_mul_i32 s40, s34, s3
	s_add_i32 s19, s19, s33
	v_sub_co_u32 v1, s33, s38, s40
	s_mul_i32 s31, s35, s3
	s_delay_alu instid0(SALU_CYCLE_1) | instskip(NEXT) | instid1(VALU_DEP_1)
	s_add_i32 s19, s19, s31
	v_sub_co_u32 v2, s38, v1, s34
	s_sub_i32 s31, s39, s19
	s_cmp_lg_u32 s33, 0
	s_subb_u32 s31, s31, s35
	s_cmp_lg_u32 s38, 0
	v_readfirstlane_b32 s38, v2
	s_subb_u32 s31, s31, 0
	s_delay_alu instid0(SALU_CYCLE_1) | instskip(SKIP_1) | instid1(VALU_DEP_1)
	s_cmp_ge_u32 s31, s35
	s_cselect_b32 s40, -1, 0
	s_cmp_ge_u32 s38, s34
	s_cselect_b32 s38, -1, 0
	s_cmp_eq_u32 s31, s35
	s_cselect_b32 s31, s38, s40
	s_add_u32 s38, s3, 1
	s_addc_u32 s40, s7, 0
	s_add_u32 s41, s3, 2
	s_addc_u32 s42, s7, 0
	s_cmp_lg_u32 s31, 0
	s_cselect_b32 s31, s41, s38
	s_cselect_b32 s38, s42, s40
	s_cmp_lg_u32 s33, 0
	v_readfirstlane_b32 s33, v1
	s_subb_u32 s19, s39, s19
	s_delay_alu instid0(SALU_CYCLE_1) | instskip(SKIP_1) | instid1(VALU_DEP_1)
	s_cmp_ge_u32 s19, s35
	s_cselect_b32 s39, -1, 0
	s_cmp_ge_u32 s33, s34
	s_cselect_b32 s33, -1, 0
	s_cmp_eq_u32 s19, s35
	s_cselect_b32 s19, s33, s39
	s_delay_alu instid0(SALU_CYCLE_1) | instskip(SKIP_3) | instid1(SALU_CYCLE_1)
	s_cmp_lg_u32 s19, 0
	s_cselect_b32 s35, s38, s7
	s_cselect_b32 s34, s31, s3
	s_xor_b64 s[26:27], s[36:37], s[26:27]
	s_xor_b64 s[34:35], s[34:35], s[26:27]
	s_delay_alu instid0(SALU_CYCLE_1)
	s_sub_u32 s26, s34, s26
	s_subb_u32 s27, s35, s27
	s_and_not1_b32 vcc_lo, exec_lo, s30
	s_cbranch_vccnz .LBB2_7
.LBB2_6:
	v_cvt_f32_u32_e32 v1, s28
	s_sub_i32 s7, 0, s28
	s_mov_b32 s27, 0
	s_delay_alu instid0(VALU_DEP_1) | instskip(SKIP_2) | instid1(VALU_DEP_1)
	v_rcp_iflag_f32_e32 v1, v1
	s_waitcnt_depctr 0xfff
	v_mul_f32_e32 v1, 0x4f7ffffe, v1
	v_cvt_u32_f32_e32 v1, v1
	s_delay_alu instid0(VALU_DEP_1) | instskip(NEXT) | instid1(VALU_DEP_1)
	v_readfirstlane_b32 s3, v1
	s_mul_i32 s7, s7, s3
	s_delay_alu instid0(SALU_CYCLE_1) | instskip(NEXT) | instid1(SALU_CYCLE_1)
	s_mul_hi_u32 s7, s3, s7
	s_add_i32 s3, s3, s7
	s_delay_alu instid0(SALU_CYCLE_1) | instskip(NEXT) | instid1(SALU_CYCLE_1)
	s_mul_hi_u32 s3, s24, s3
	s_mul_i32 s7, s3, s28
	s_add_i32 s19, s3, 1
	s_sub_i32 s7, s24, s7
	s_delay_alu instid0(SALU_CYCLE_1)
	s_sub_i32 s26, s7, s28
	s_cmp_ge_u32 s7, s28
	s_cselect_b32 s3, s19, s3
	s_cselect_b32 s7, s26, s7
	s_add_i32 s19, s3, 1
	s_cmp_ge_u32 s7, s28
	s_cselect_b32 s26, s19, s3
.LBB2_7:
	s_delay_alu instid0(SALU_CYCLE_1)
	s_mul_i32 s3, s26, s29
	s_mul_hi_u32 s7, s26, s28
	s_mul_i32 s19, s26, s28
	s_add_i32 s3, s7, s3
	s_mul_i32 s7, s27, s28
	s_mul_hi_u32 s31, s26, s4
	s_add_i32 s7, s3, s7
	s_sub_u32 s3, s24, s19
	s_subb_u32 s30, s25, s7
	s_mul_i32 s33, s27, s4
	s_mul_i32 s28, s26, s4
	s_mul_hi_u32 s27, s3, s5
	s_mul_i32 s30, s30, s5
	s_mul_i32 s24, s3, s5
	s_mov_b32 s34, exec_lo
	v_cmpx_gt_i32_e64 s18, v0
	s_cbranch_execz .LBB2_10
; %bb.8:
	s_mul_i32 s7, s2, s9
	s_mul_hi_u32 s9, s2, s8
	s_mul_i32 s8, s2, s8
	s_add_i32 s9, s9, s7
	s_ashr_i32 s19, s18, 31
	s_lshl_b64 s[38:39], s[8:9], 2
	s_load_b32 s37, s[0:1], 0x8c
	s_add_u32 s35, s12, s38
	s_addc_u32 s36, s13, s39
	s_ashr_i32 s7, s4, 31
	s_ashr_i32 s8, s5, 31
	s_mul_i32 s7, s26, s7
	s_mul_i32 s8, s3, s8
	s_add_i32 s7, s31, s7
	s_add_i32 s8, s27, s8
	;; [unrolled: 1-line block ×4, first 2 shown]
	s_lshl_b64 s[8:9], s[28:29], 2
	s_lshl_b64 s[40:41], s[24:25], 2
	v_dual_mov_b32 v4, v0 :: v_dual_lshlrev_b32 v1, 1, v0
	s_add_u32 s44, s8, s40
	s_addc_u32 s45, s9, s41
	s_add_u32 s8, s44, s16
	s_addc_u32 s9, s45, s17
	s_ashr_i32 s7, s6, 31
	v_lshlrev_b32_e32 v3, 2, v0
	s_lshl_b64 s[40:41], s[6:7], 2
	s_delay_alu instid0(SALU_CYCLE_1)
	s_add_u32 s7, s8, s40
	s_addc_u32 s25, s9, s41
	s_lshl_b64 s[8:9], s[22:23], 1
	s_waitcnt lgkmcnt(0)
	s_and_b32 s29, s37, 0xffff
	s_add_u32 s8, s20, s8
	s_addc_u32 s9, s21, s9
	v_add_co_u32 v1, s8, s8, v1
	s_lshl_b64 s[42:43], s[18:19], 2
	v_add_co_ci_u32_e64 v2, null, s9, 0, s8
	s_lshl_b32 s20, s29, 1
	s_lshl_b64 s[8:9], s[18:19], 1
	s_add_u32 s19, s38, s42
	s_addc_u32 s21, s39, s43
	s_add_u32 s12, s12, s19
	s_addc_u32 s13, s13, s21
	s_lshl_b32 s19, s29, 2
	s_add_u32 s21, s44, s42
	s_addc_u32 s23, s45, s43
	s_add_u32 s21, s21, s40
	s_addc_u32 s23, s23, s41
	s_add_u32 s21, s16, s21
	s_mov_b32 s22, 0
	s_addc_u32 s23, s17, s23
.LBB2_9:                                ; =>This Inner Loop Header: Depth=1
	v_add_co_u32 v7, s37, s35, v3
	v_add_co_u32 v5, vcc_lo, v1, s8
	v_add_co_ci_u32_e64 v8, null, s36, 0, s37
	v_add_co_u32 v9, s37, s12, v3
	v_add_co_ci_u32_e32 v6, vcc_lo, s9, v2, vcc_lo
	v_add_co_ci_u32_e64 v10, null, s13, 0, s37
	s_clause 0x1
	global_load_u16 v13, v[1:2], off
	global_load_u16 v14, v[5:6], off
	global_load_b32 v15, v[9:10], off
	global_load_b32 v16, v[7:8], off
	v_add_co_u32 v1, vcc_lo, v1, s20
	s_add_u32 s12, s12, s19
	v_add_co_u32 v5, s37, s7, v3
	s_addc_u32 s13, s13, 0
	v_add_co_ci_u32_e32 v2, vcc_lo, 0, v2, vcc_lo
	s_add_u32 s35, s35, s19
	v_add_co_ci_u32_e64 v6, null, s25, 0, s37
	v_add_co_u32 v11, s37, s21, v3
	s_addc_u32 s36, s36, 0
	s_add_u32 s21, s21, s19
	v_add_co_ci_u32_e64 v12, null, s23, 0, s37
	s_addc_u32 s23, s23, 0
	s_add_u32 s7, s7, s19
	s_addc_u32 s25, s25, 0
	s_waitcnt vmcnt(3)
	v_cvt_f32_f16_e32 v17, v13
	s_waitcnt vmcnt(2)
	v_cvt_f32_f16_e32 v18, v14
	s_waitcnt vmcnt(1)
	s_delay_alu instid0(VALU_DEP_2) | instskip(NEXT) | instid1(VALU_DEP_2)
	v_dual_mul_f32 v17, v15, v17 :: v_dual_add_nc_u32 v4, s29, v4
	v_mul_f32_e32 v15, v15, v18
	s_delay_alu instid0(VALU_DEP_2) | instskip(SKIP_1) | instid1(VALU_DEP_3)
	v_cmp_le_i32_e32 vcc_lo, s18, v4
	s_waitcnt vmcnt(0)
	v_fma_mix_f32 v14, v16, v14, v17 op_sel_hi:[0,1,0]
	s_delay_alu instid0(VALU_DEP_3)
	v_fma_mix_f32 v13, v16, v13, -v15 op_sel_hi:[0,1,0]
	s_or_b32 s22, vcc_lo, s22
	global_store_b32 v[7:8], v13, off
	global_store_b32 v[9:10], v14, off
	;; [unrolled: 1-line block ×4, first 2 shown]
	s_and_not1_b32 exec_lo, exec_lo, s22
	s_cbranch_execnz .LBB2_9
.LBB2_10:
	s_or_b32 exec_lo, exec_lo, s34
	s_delay_alu instid0(SALU_CYCLE_1)
	s_mov_b32 s7, exec_lo
	v_cmpx_gt_i32_e64 s6, v0
	s_cbranch_execz .LBB2_13
; %bb.11:
	s_mul_i32 s7, s2, s11
	s_mul_hi_u32 s9, s2, s10
	s_mul_i32 s8, s2, s10
	s_add_i32 s9, s9, s7
	s_delay_alu instid0(SALU_CYCLE_1) | instskip(NEXT) | instid1(SALU_CYCLE_1)
	s_lshl_b64 s[8:9], s[8:9], 2
	s_add_u32 s2, s14, s8
	s_addc_u32 s7, s15, s9
	s_ashr_i32 s4, s4, 31
	s_load_b32 s8, s[0:1], 0x8c
	s_mul_i32 s4, s26, s4
	s_delay_alu instid0(SALU_CYCLE_1) | instskip(NEXT) | instid1(SALU_CYCLE_1)
	s_add_i32 s0, s31, s4
	s_add_i32 s29, s0, s33
	s_delay_alu instid0(SALU_CYCLE_1) | instskip(NEXT) | instid1(SALU_CYCLE_1)
	s_lshl_b64 s[0:1], s[28:29], 2
	s_add_u32 s0, s16, s0
	s_addc_u32 s9, s17, s1
	s_ashr_i32 s1, s5, 31
	s_delay_alu instid0(SALU_CYCLE_1) | instskip(NEXT) | instid1(SALU_CYCLE_1)
	s_mul_i32 s3, s3, s1
	s_add_i32 s1, s27, s3
	s_delay_alu instid0(SALU_CYCLE_1) | instskip(NEXT) | instid1(SALU_CYCLE_1)
	s_add_i32 s25, s1, s30
	s_lshl_b64 s[4:5], s[24:25], 2
	s_delay_alu instid0(SALU_CYCLE_1)
	s_add_u32 s1, s0, s4
	s_addc_u32 s3, s9, s5
	s_waitcnt lgkmcnt(0)
	s_and_b32 s4, s8, 0xffff
	s_mov_b32 s5, 0
	.p2align	6
.LBB2_12:                               ; =>This Inner Loop Header: Depth=1
	v_ashrrev_i32_e32 v1, 31, v0
	s_delay_alu instid0(VALU_DEP_1) | instskip(SKIP_1) | instid1(VALU_DEP_2)
	v_lshlrev_b64 v[1:2], 2, v[0:1]
	v_add_nc_u32_e32 v0, s4, v0
	v_add_co_u32 v3, vcc_lo, s2, v1
	s_delay_alu instid0(VALU_DEP_3) | instskip(NEXT) | instid1(VALU_DEP_3)
	v_add_co_ci_u32_e32 v4, vcc_lo, s7, v2, vcc_lo
	v_cmp_le_i32_e32 vcc_lo, s6, v0
	v_add_co_u32 v1, s0, s1, v1
	global_load_b32 v3, v[3:4], off
	v_add_co_ci_u32_e64 v2, s0, s3, v2, s0
	s_or_b32 s5, vcc_lo, s5
	s_waitcnt vmcnt(0)
	global_store_b32 v[1:2], v3, off
	s_and_not1_b32 exec_lo, exec_lo, s5
	s_cbranch_execnz .LBB2_12
.LBB2_13:
	s_nop 0
	s_sendmsg sendmsg(MSG_DEALLOC_VGPRS)
	s_endpgm
.LBB2_14:
                                        ; implicit-def: $sgpr26_sgpr27
	s_branch .LBB2_6
	.section	.rodata,"a",@progbits
	.p2align	6, 0x0
	.amdhsa_kernel _ZN4vllm38concat_and_cache_mla_rope_fused_kernelIfN3c104HalfELb1EffLNS_18Fp8KVCacheDataTypeE0EEEvPKlPT_S7_PKS6_PKT0_illlliPT3_S5_iiiiPKf
		.amdhsa_group_segment_fixed_size 0
		.amdhsa_private_segment_fixed_size 0
		.amdhsa_kernarg_size 384
		.amdhsa_user_sgpr_count 15
		.amdhsa_user_sgpr_dispatch_ptr 0
		.amdhsa_user_sgpr_queue_ptr 0
		.amdhsa_user_sgpr_kernarg_segment_ptr 1
		.amdhsa_user_sgpr_dispatch_id 0
		.amdhsa_user_sgpr_private_segment_size 0
		.amdhsa_wavefront_size32 1
		.amdhsa_uses_dynamic_stack 0
		.amdhsa_enable_private_segment 0
		.amdhsa_system_sgpr_workgroup_id_x 1
		.amdhsa_system_sgpr_workgroup_id_y 0
		.amdhsa_system_sgpr_workgroup_id_z 0
		.amdhsa_system_sgpr_workgroup_info 0
		.amdhsa_system_vgpr_workitem_id 0
		.amdhsa_next_free_vgpr 19
		.amdhsa_next_free_sgpr 46
		.amdhsa_reserve_vcc 1
		.amdhsa_float_round_mode_32 0
		.amdhsa_float_round_mode_16_64 0
		.amdhsa_float_denorm_mode_32 3
		.amdhsa_float_denorm_mode_16_64 3
		.amdhsa_dx10_clamp 1
		.amdhsa_ieee_mode 1
		.amdhsa_fp16_overflow 0
		.amdhsa_workgroup_processor_mode 1
		.amdhsa_memory_ordered 1
		.amdhsa_forward_progress 0
		.amdhsa_shared_vgpr_count 0
		.amdhsa_exception_fp_ieee_invalid_op 0
		.amdhsa_exception_fp_denorm_src 0
		.amdhsa_exception_fp_ieee_div_zero 0
		.amdhsa_exception_fp_ieee_overflow 0
		.amdhsa_exception_fp_ieee_underflow 0
		.amdhsa_exception_fp_ieee_inexact 0
		.amdhsa_exception_int_div_zero 0
	.end_amdhsa_kernel
	.section	.text._ZN4vllm38concat_and_cache_mla_rope_fused_kernelIfN3c104HalfELb1EffLNS_18Fp8KVCacheDataTypeE0EEEvPKlPT_S7_PKS6_PKT0_illlliPT3_S5_iiiiPKf,"axG",@progbits,_ZN4vllm38concat_and_cache_mla_rope_fused_kernelIfN3c104HalfELb1EffLNS_18Fp8KVCacheDataTypeE0EEEvPKlPT_S7_PKS6_PKT0_illlliPT3_S5_iiiiPKf,comdat
.Lfunc_end2:
	.size	_ZN4vllm38concat_and_cache_mla_rope_fused_kernelIfN3c104HalfELb1EffLNS_18Fp8KVCacheDataTypeE0EEEvPKlPT_S7_PKS6_PKT0_illlliPT3_S5_iiiiPKf, .Lfunc_end2-_ZN4vllm38concat_and_cache_mla_rope_fused_kernelIfN3c104HalfELb1EffLNS_18Fp8KVCacheDataTypeE0EEEvPKlPT_S7_PKS6_PKT0_illlliPT3_S5_iiiiPKf
                                        ; -- End function
	.section	.AMDGPU.csdata,"",@progbits
; Kernel info:
; codeLenInByte = 2380
; NumSgprs: 48
; NumVgprs: 19
; ScratchSize: 0
; MemoryBound: 0
; FloatMode: 240
; IeeeMode: 1
; LDSByteSize: 0 bytes/workgroup (compile time only)
; SGPRBlocks: 5
; VGPRBlocks: 2
; NumSGPRsForWavesPerEU: 48
; NumVGPRsForWavesPerEU: 19
; Occupancy: 16
; WaveLimiterHint : 1
; COMPUTE_PGM_RSRC2:SCRATCH_EN: 0
; COMPUTE_PGM_RSRC2:USER_SGPR: 15
; COMPUTE_PGM_RSRC2:TRAP_HANDLER: 0
; COMPUTE_PGM_RSRC2:TGID_X_EN: 1
; COMPUTE_PGM_RSRC2:TGID_Y_EN: 0
; COMPUTE_PGM_RSRC2:TGID_Z_EN: 0
; COMPUTE_PGM_RSRC2:TIDIG_COMP_CNT: 0
	.section	.text._ZN4vllm38concat_and_cache_mla_rope_fused_kernelIfN3c104HalfELb0EffLNS_18Fp8KVCacheDataTypeE0EEEvPKlPT_S7_PKS6_PKT0_illlliPT3_S5_iiiiPKf,"axG",@progbits,_ZN4vllm38concat_and_cache_mla_rope_fused_kernelIfN3c104HalfELb0EffLNS_18Fp8KVCacheDataTypeE0EEEvPKlPT_S7_PKS6_PKT0_illlliPT3_S5_iiiiPKf,comdat
	.protected	_ZN4vllm38concat_and_cache_mla_rope_fused_kernelIfN3c104HalfELb0EffLNS_18Fp8KVCacheDataTypeE0EEEvPKlPT_S7_PKS6_PKT0_illlliPT3_S5_iiiiPKf ; -- Begin function _ZN4vllm38concat_and_cache_mla_rope_fused_kernelIfN3c104HalfELb0EffLNS_18Fp8KVCacheDataTypeE0EEEvPKlPT_S7_PKS6_PKT0_illlliPT3_S5_iiiiPKf
	.globl	_ZN4vllm38concat_and_cache_mla_rope_fused_kernelIfN3c104HalfELb0EffLNS_18Fp8KVCacheDataTypeE0EEEvPKlPT_S7_PKS6_PKT0_illlliPT3_S5_iiiiPKf
	.p2align	8
	.type	_ZN4vllm38concat_and_cache_mla_rope_fused_kernelIfN3c104HalfELb0EffLNS_18Fp8KVCacheDataTypeE0EEEvPKlPT_S7_PKS6_PKT0_illlliPT3_S5_iiiiPKf,@function
_ZN4vllm38concat_and_cache_mla_rope_fused_kernelIfN3c104HalfELb0EffLNS_18Fp8KVCacheDataTypeE0EEEvPKlPT_S7_PKS6_PKT0_illlliPT3_S5_iiiiPKf: ; @_ZN4vllm38concat_and_cache_mla_rope_fused_kernelIfN3c104HalfELb0EffLNS_18Fp8KVCacheDataTypeE0EEEvPKlPT_S7_PKS6_PKT0_illlliPT3_S5_iiiiPKf
; %bb.0:
	s_load_b64 s[6:7], s[0:1], 0x60
	s_mov_b32 s2, s15
	s_mov_b32 s3, 0
	s_delay_alu instid0(SALU_CYCLE_1)
	s_lshl_b64 s[4:5], s[2:3], 3
	s_waitcnt lgkmcnt(0)
	s_add_u32 s6, s6, s4
	s_addc_u32 s7, s7, s5
	s_load_b64 s[22:23], s[6:7], 0x0
	s_waitcnt lgkmcnt(0)
	v_cmp_lt_i64_e64 s3, s[22:23], 0
	s_delay_alu instid0(VALU_DEP_1)
	s_and_b32 vcc_lo, exec_lo, s3
	s_cbranch_vccnz .LBB3_13
; %bb.1:
	s_clause 0x3
	s_load_b32 s19, s[0:1], 0x28
	s_load_b64 s[6:7], s[0:1], 0x0
	s_load_b128 s[12:15], s[0:1], 0x10
	s_load_b32 s3, s[0:1], 0x50
	v_lshlrev_b32_e32 v3, 1, v0
	s_waitcnt lgkmcnt(0)
	s_ashr_i32 s26, s19, 31
	s_add_u32 s4, s6, s4
	s_addc_u32 s5, s7, s5
	s_lshr_b32 s18, s19, 31
	s_load_b64 s[24:25], s[4:5], 0x0
	s_clause 0x2
	s_load_b64 s[20:21], s[0:1], 0x20
	s_load_b64 s[16:17], s[0:1], 0x58
	s_load_b256 s[4:11], s[0:1], 0x30
	s_add_i32 s18, s19, s18
	s_delay_alu instid0(SALU_CYCLE_1) | instskip(NEXT) | instid1(SALU_CYCLE_1)
	s_ashr_i32 s18, s18, 1
	s_mul_i32 s3, s18, s3
	s_waitcnt lgkmcnt(0)
	s_mul_i32 s26, s24, s26
	s_mul_hi_u32 s27, s24, s19
	s_mul_i32 s25, s25, s19
	s_add_i32 s26, s27, s26
	s_mul_i32 s24, s24, s19
	s_add_i32 s25, s26, s25
	s_mov_b32 s26, exec_lo
	v_cmpx_gt_i32_e64 s3, v0
	s_cbranch_execz .LBB3_4
; %bb.2:
	s_clause 0x1
	s_load_b64 s[30:31], s[0:1], 0x8
	s_load_b32 s34, s[0:1], 0x8c
	s_lshl_b64 s[28:29], s[24:25], 1
	s_mul_i32 s5, s2, s5
	s_mul_hi_u32 s19, s2, s4
	s_add_u32 s27, s20, s28
	s_mul_i32 s4, s2, s4
	s_addc_u32 s28, s21, s29
	s_add_i32 s5, s19, s5
	s_ashr_i32 s19, s18, 31
	s_lshl_b64 s[4:5], s[4:5], 2
	s_mov_b32 s33, 0
	s_waitcnt lgkmcnt(0)
	s_add_u32 s29, s30, s4
	s_addc_u32 s30, s31, s5
	s_abs_i32 s31, s18
	s_and_b32 s34, s34, 0xffff
	v_cvt_f32_u32_e32 v1, s31
	s_sub_i32 s4, 0, s31
	s_sub_i32 s35, 0, s18
	s_lshl_b32 s37, s34, 1
	s_delay_alu instid0(VALU_DEP_1) | instskip(SKIP_2) | instid1(VALU_DEP_1)
	v_rcp_iflag_f32_e32 v1, v1
	s_waitcnt_depctr 0xfff
	v_mul_f32_e32 v1, 0x4f7ffffe, v1
	v_cvt_u32_f32_e32 v2, v1
	s_delay_alu instid0(VALU_DEP_1) | instskip(SKIP_1) | instid1(SALU_CYCLE_1)
	v_mul_lo_u32 v1, s4, v2
	s_lshl_b32 s4, s18, 1
	s_sub_i32 s36, 0, s4
	s_lshl_b64 s[4:5], s[18:19], 1
	s_delay_alu instid0(VALU_DEP_1) | instskip(NEXT) | instid1(VALU_DEP_1)
	v_mul_hi_u32 v4, v2, v1
	v_dual_mov_b32 v1, v3 :: v_dual_add_nc_u32 v4, v2, v4
	v_mov_b32_e32 v2, v0
.LBB3_3:                                ; =>This Inner Loop Header: Depth=1
	s_delay_alu instid0(VALU_DEP_1) | instskip(SKIP_1) | instid1(VALU_DEP_2)
	v_sub_nc_u32_e32 v5, 0, v2
	v_ashrrev_i32_e32 v6, 31, v2
	v_max_i32_e32 v5, v2, v5
	s_delay_alu instid0(VALU_DEP_2) | instskip(NEXT) | instid1(VALU_DEP_2)
	v_xor_b32_e32 v6, s19, v6
	v_mul_hi_u32 v7, v5, v4
	s_delay_alu instid0(VALU_DEP_1) | instskip(SKIP_1) | instid1(VALU_DEP_2)
	v_mul_lo_u32 v8, v7, s31
	v_add_nc_u32_e32 v9, 1, v7
	v_sub_nc_u32_e32 v5, v5, v8
	s_delay_alu instid0(VALU_DEP_1) | instskip(SKIP_1) | instid1(VALU_DEP_4)
	v_subrev_nc_u32_e32 v8, s31, v5
	v_cmp_le_u32_e32 vcc_lo, s31, v5
	v_cndmask_b32_e32 v7, v7, v9, vcc_lo
	s_delay_alu instid0(VALU_DEP_1) | instskip(NEXT) | instid1(VALU_DEP_1)
	v_dual_cndmask_b32 v5, v5, v8 :: v_dual_add_nc_u32 v8, 1, v7
	v_cmp_le_u32_e32 vcc_lo, s31, v5
	s_delay_alu instid0(VALU_DEP_2) | instskip(NEXT) | instid1(VALU_DEP_1)
	v_cndmask_b32_e32 v5, v7, v8, vcc_lo
	v_xor_b32_e32 v5, v5, v6
	s_delay_alu instid0(VALU_DEP_1) | instskip(NEXT) | instid1(VALU_DEP_1)
	v_sub_nc_u32_e32 v11, v5, v6
	v_mad_u64_u32 v[5:6], null, s35, v11, v[2:3]
	v_ashrrev_i32_e32 v6, 31, v11
	v_mul_lo_u32 v12, v11, s7
	v_mad_u64_u32 v[7:8], null, v11, s6, 0
	v_mad_u64_u32 v[9:10], null, s36, v11, v[1:2]
	s_delay_alu instid0(VALU_DEP_4) | instskip(SKIP_3) | instid1(VALU_DEP_3)
	v_mul_lo_u32 v11, v6, s6
	v_ashrrev_i32_e32 v6, 31, v5
	v_add_nc_u32_e32 v2, s34, v2
	v_add_nc_u32_e32 v1, s37, v1
	v_lshlrev_b64 v[5:6], 1, v[5:6]
	v_ashrrev_i32_e32 v10, 31, v9
	v_add3_u32 v8, v8, v12, v11
	s_delay_alu instid0(VALU_DEP_3) | instskip(NEXT) | instid1(VALU_DEP_2)
	v_add_co_u32 v5, vcc_lo, s27, v5
	v_lshlrev_b64 v[7:8], 2, v[7:8]
	v_add_co_ci_u32_e32 v6, vcc_lo, s28, v6, vcc_lo
	s_delay_alu instid0(VALU_DEP_3) | instskip(SKIP_1) | instid1(VALU_DEP_3)
	v_add_co_u32 v11, vcc_lo, v5, s4
	v_lshlrev_b64 v[9:10], 2, v[9:10]
	v_add_co_ci_u32_e32 v12, vcc_lo, s5, v6, vcc_lo
	v_add_co_u32 v7, vcc_lo, s29, v7
	v_add_co_ci_u32_e32 v8, vcc_lo, s30, v8, vcc_lo
	s_clause 0x1
	global_load_u16 v13, v[5:6], off
	global_load_u16 v11, v[11:12], off
	v_add_co_u32 v5, vcc_lo, v7, v9
	v_add_co_ci_u32_e32 v6, vcc_lo, v8, v10, vcc_lo
	v_cmp_le_i32_e32 vcc_lo, s3, v2
	global_load_b64 v[7:8], v[5:6], off
	s_or_b32 s33, vcc_lo, s33
	s_waitcnt vmcnt(2)
	v_cvt_f32_f16_e32 v9, v13
	s_waitcnt vmcnt(1)
	v_cvt_f32_f16_e32 v10, v11
	s_waitcnt vmcnt(0)
	s_delay_alu instid0(VALU_DEP_1) | instskip(SKIP_1) | instid1(VALU_DEP_2)
	v_mul_f32_e32 v10, v8, v10
	v_mul_f32_e32 v9, v8, v9
	v_fma_mix_f32 v8, v7, v13, -v10 op_sel_hi:[0,1,0]
	s_delay_alu instid0(VALU_DEP_2)
	v_fma_mix_f32 v9, v7, v11, v9 op_sel_hi:[0,1,0]
	global_store_b64 v[5:6], v[8:9], off
	s_and_not1_b32 exec_lo, exec_lo, s33
	s_cbranch_execnz .LBB3_3
.LBB3_4:
	s_or_b32 exec_lo, exec_lo, s26
	s_load_b128 s[4:7], s[0:1], 0x68
	s_waitcnt lgkmcnt(0)
	s_ashr_i32 s27, s7, 31
	s_mov_b32 s26, s7
	s_delay_alu instid0(SALU_CYCLE_1) | instskip(SKIP_1) | instid1(SALU_CYCLE_1)
	s_or_b64 s[30:31], s[22:23], s[26:27]
	s_mov_b32 s30, 0
	s_cmp_lg_u64 s[30:31], 0
	s_cbranch_scc0 .LBB3_14
; %bb.5:
	s_add_u32 s34, s26, s27
	s_mov_b32 s28, s27
	s_mov_b32 s29, s27
	s_addc_u32 s35, s27, s27
	s_delay_alu instid0(SALU_CYCLE_1) | instskip(NEXT) | instid1(SALU_CYCLE_1)
	s_xor_b64 s[34:35], s[34:35], s[28:29]
	v_cvt_f32_u32_e32 v1, s34
	v_cvt_f32_u32_e32 v2, s35
	s_sub_u32 s19, 0, s34
	s_subb_u32 s31, 0, s35
	s_delay_alu instid0(VALU_DEP_1) | instskip(NEXT) | instid1(VALU_DEP_1)
	v_fmamk_f32 v1, v2, 0x4f800000, v1
	v_rcp_f32_e32 v1, v1
	s_waitcnt_depctr 0xfff
	v_mul_f32_e32 v1, 0x5f7ffffc, v1
	s_delay_alu instid0(VALU_DEP_1) | instskip(NEXT) | instid1(VALU_DEP_1)
	v_mul_f32_e32 v2, 0x2f800000, v1
	v_trunc_f32_e32 v2, v2
	s_delay_alu instid0(VALU_DEP_1) | instskip(SKIP_1) | instid1(VALU_DEP_2)
	v_fmamk_f32 v1, v2, 0xcf800000, v1
	v_cvt_u32_f32_e32 v2, v2
	v_cvt_u32_f32_e32 v1, v1
	s_delay_alu instid0(VALU_DEP_2) | instskip(NEXT) | instid1(VALU_DEP_2)
	v_readfirstlane_b32 s3, v2
	v_readfirstlane_b32 s7, v1
	s_delay_alu instid0(VALU_DEP_2) | instskip(NEXT) | instid1(VALU_DEP_1)
	s_mul_i32 s33, s19, s3
	s_mul_hi_u32 s37, s19, s7
	s_mul_i32 s36, s31, s7
	s_add_i32 s33, s37, s33
	s_mul_i32 s38, s19, s7
	s_add_i32 s33, s33, s36
	s_mul_hi_u32 s37, s7, s38
	s_mul_hi_u32 s39, s3, s38
	s_mul_i32 s36, s3, s38
	s_mul_hi_u32 s38, s7, s33
	s_mul_i32 s7, s7, s33
	s_mul_hi_u32 s40, s3, s33
	s_add_u32 s7, s37, s7
	s_addc_u32 s37, 0, s38
	s_add_u32 s7, s7, s36
	s_mul_i32 s33, s3, s33
	s_addc_u32 s7, s37, s39
	s_addc_u32 s36, s40, 0
	s_add_u32 s7, s7, s33
	s_addc_u32 s33, 0, s36
	v_add_co_u32 v1, s7, v1, s7
	s_delay_alu instid0(VALU_DEP_1) | instskip(SKIP_1) | instid1(VALU_DEP_1)
	s_cmp_lg_u32 s7, 0
	s_addc_u32 s3, s3, s33
	v_readfirstlane_b32 s7, v1
	s_mul_i32 s33, s19, s3
	s_delay_alu instid0(VALU_DEP_1)
	s_mul_hi_u32 s36, s19, s7
	s_mul_i32 s31, s31, s7
	s_add_i32 s33, s36, s33
	s_mul_i32 s19, s19, s7
	s_add_i32 s33, s33, s31
	s_mul_hi_u32 s36, s3, s19
	s_mul_i32 s37, s3, s19
	s_mul_hi_u32 s19, s7, s19
	s_mul_hi_u32 s38, s7, s33
	s_mul_i32 s7, s7, s33
	s_mul_hi_u32 s31, s3, s33
	s_add_u32 s7, s19, s7
	s_addc_u32 s19, 0, s38
	s_add_u32 s7, s7, s37
	s_mul_i32 s33, s3, s33
	s_addc_u32 s7, s19, s36
	s_addc_u32 s19, s31, 0
	s_add_u32 s7, s7, s33
	s_addc_u32 s19, 0, s19
	v_add_co_u32 v1, s7, v1, s7
	s_delay_alu instid0(VALU_DEP_1) | instskip(SKIP_2) | instid1(VALU_DEP_1)
	s_cmp_lg_u32 s7, 0
	s_addc_u32 s3, s3, s19
	s_ashr_i32 s36, s23, 31
	v_readfirstlane_b32 s7, v1
	s_add_u32 s38, s22, s36
	s_mov_b32 s37, s36
	s_addc_u32 s39, s23, s36
	s_delay_alu instid0(SALU_CYCLE_1) | instskip(NEXT) | instid1(SALU_CYCLE_1)
	s_xor_b64 s[38:39], s[38:39], s[36:37]
	s_mul_i32 s31, s38, s3
	s_mul_hi_u32 s33, s38, s7
	s_mul_hi_u32 s19, s38, s3
	;; [unrolled: 1-line block ×3, first 2 shown]
	s_mul_i32 s7, s39, s7
	s_add_u32 s31, s33, s31
	s_addc_u32 s19, 0, s19
	s_mul_hi_u32 s40, s39, s3
	s_add_u32 s7, s31, s7
	s_mul_i32 s3, s39, s3
	s_addc_u32 s7, s19, s41
	s_addc_u32 s19, s40, 0
	s_add_u32 s3, s7, s3
	s_addc_u32 s7, 0, s19
	s_mul_hi_u32 s19, s34, s3
	s_mul_i32 s33, s34, s7
	s_mul_i32 s40, s34, s3
	s_add_i32 s19, s19, s33
	v_sub_co_u32 v1, s33, s38, s40
	s_mul_i32 s31, s35, s3
	s_delay_alu instid0(SALU_CYCLE_1) | instskip(NEXT) | instid1(VALU_DEP_1)
	s_add_i32 s19, s19, s31
	v_sub_co_u32 v2, s38, v1, s34
	s_sub_i32 s31, s39, s19
	s_cmp_lg_u32 s33, 0
	s_subb_u32 s31, s31, s35
	s_cmp_lg_u32 s38, 0
	v_readfirstlane_b32 s38, v2
	s_subb_u32 s31, s31, 0
	s_delay_alu instid0(SALU_CYCLE_1) | instskip(SKIP_1) | instid1(VALU_DEP_1)
	s_cmp_ge_u32 s31, s35
	s_cselect_b32 s40, -1, 0
	s_cmp_ge_u32 s38, s34
	s_cselect_b32 s38, -1, 0
	s_cmp_eq_u32 s31, s35
	s_cselect_b32 s31, s38, s40
	s_add_u32 s38, s3, 1
	s_addc_u32 s40, s7, 0
	s_add_u32 s41, s3, 2
	s_addc_u32 s42, s7, 0
	s_cmp_lg_u32 s31, 0
	s_cselect_b32 s31, s41, s38
	s_cselect_b32 s38, s42, s40
	s_cmp_lg_u32 s33, 0
	v_readfirstlane_b32 s33, v1
	s_subb_u32 s19, s39, s19
	s_delay_alu instid0(SALU_CYCLE_1) | instskip(SKIP_1) | instid1(VALU_DEP_1)
	s_cmp_ge_u32 s19, s35
	s_cselect_b32 s39, -1, 0
	s_cmp_ge_u32 s33, s34
	s_cselect_b32 s33, -1, 0
	s_cmp_eq_u32 s19, s35
	s_cselect_b32 s19, s33, s39
	s_delay_alu instid0(SALU_CYCLE_1) | instskip(SKIP_3) | instid1(SALU_CYCLE_1)
	s_cmp_lg_u32 s19, 0
	s_cselect_b32 s35, s38, s7
	s_cselect_b32 s34, s31, s3
	s_xor_b64 s[28:29], s[36:37], s[28:29]
	s_xor_b64 s[34:35], s[34:35], s[28:29]
	s_delay_alu instid0(SALU_CYCLE_1)
	s_sub_u32 s28, s34, s28
	s_subb_u32 s29, s35, s29
	s_and_not1_b32 vcc_lo, exec_lo, s30
	s_cbranch_vccnz .LBB3_7
.LBB3_6:
	v_cvt_f32_u32_e32 v1, s26
	s_sub_i32 s7, 0, s26
	s_mov_b32 s29, 0
	s_delay_alu instid0(VALU_DEP_1) | instskip(SKIP_2) | instid1(VALU_DEP_1)
	v_rcp_iflag_f32_e32 v1, v1
	s_waitcnt_depctr 0xfff
	v_mul_f32_e32 v1, 0x4f7ffffe, v1
	v_cvt_u32_f32_e32 v1, v1
	s_delay_alu instid0(VALU_DEP_1) | instskip(NEXT) | instid1(VALU_DEP_1)
	v_readfirstlane_b32 s3, v1
	s_mul_i32 s7, s7, s3
	s_delay_alu instid0(SALU_CYCLE_1) | instskip(NEXT) | instid1(SALU_CYCLE_1)
	s_mul_hi_u32 s7, s3, s7
	s_add_i32 s3, s3, s7
	s_delay_alu instid0(SALU_CYCLE_1) | instskip(NEXT) | instid1(SALU_CYCLE_1)
	s_mul_hi_u32 s3, s22, s3
	s_mul_i32 s7, s3, s26
	s_add_i32 s19, s3, 1
	s_sub_i32 s7, s22, s7
	s_delay_alu instid0(SALU_CYCLE_1)
	s_sub_i32 s28, s7, s26
	s_cmp_ge_u32 s7, s26
	s_cselect_b32 s3, s19, s3
	s_cselect_b32 s7, s28, s7
	s_add_i32 s19, s3, 1
	s_cmp_ge_u32 s7, s26
	s_cselect_b32 s28, s19, s3
.LBB3_7:
	s_delay_alu instid0(SALU_CYCLE_1)
	s_mul_i32 s3, s28, s27
	s_mul_hi_u32 s7, s28, s26
	s_mul_i32 s19, s28, s26
	s_add_i32 s3, s7, s3
	s_mul_i32 s7, s29, s26
	s_mul_hi_u32 s31, s28, s4
	s_add_i32 s7, s3, s7
	s_sub_u32 s3, s22, s19
	s_subb_u32 s30, s23, s7
	s_mul_i32 s33, s29, s4
	s_mul_i32 s26, s28, s4
	s_mul_hi_u32 s29, s3, s5
	s_mul_i32 s30, s30, s5
	s_mul_i32 s22, s3, s5
	s_mov_b32 s34, exec_lo
	v_cmpx_gt_i32_e64 s18, v0
	s_cbranch_execz .LBB3_10
; %bb.8:
	s_load_b32 s23, s[0:1], 0x8c
	s_ashr_i32 s27, s4, 31
	s_ashr_i32 s35, s5, 31
	s_lshl_b64 s[36:37], s[24:25], 1
	s_ashr_i32 s19, s18, 31
	s_ashr_i32 s7, s6, 31
	s_mul_i32 s25, s9, s2
	s_mul_hi_u32 s39, s8, s2
	s_mul_i32 s38, s8, s2
	s_mul_i32 s8, s28, s27
	;; [unrolled: 1-line block ×3, first 2 shown]
	v_lshlrev_b32_e32 v5, 3, v0
	v_mov_b32_e32 v7, v0
	s_waitcnt lgkmcnt(0)
	s_and_b32 s24, s23, 0xffff
	s_add_u32 s35, s20, s36
	s_addc_u32 s21, s21, s37
	s_add_i32 s8, s31, s8
	s_add_i32 s9, s29, s9
	;; [unrolled: 1-line block ×4, first 2 shown]
	s_lshl_b64 s[36:37], s[26:27], 2
	s_lshl_b64 s[40:41], s[22:23], 2
	s_lshl_b32 s20, s24, 1
	s_lshl_b64 s[8:9], s[18:19], 1
	s_add_u32 s19, s36, s40
	s_addc_u32 s23, s37, s41
	s_lshl_b64 s[36:37], s[6:7], 2
	v_add_co_u32 v1, s7, s35, v3
	s_delay_alu instid0(VALU_DEP_1)
	v_add_co_ci_u32_e64 v2, null, s21, 0, s7
	s_add_u32 s7, s16, s36
	s_addc_u32 s21, s17, s37
	s_add_u32 s7, s7, s19
	s_addc_u32 s19, s21, s23
	s_add_i32 s39, s39, s25
	v_add_co_u32 v3, s7, s7, v5
	s_lshl_b64 s[36:37], s[38:39], 2
	v_add_co_ci_u32_e64 v4, null, s19, 0, s7
	s_lshl_b32 s7, s24, 3
	s_add_u32 s12, s12, s36
	v_add_co_u32 v3, vcc_lo, v3, 4
	s_addc_u32 s13, s13, s37
	v_add_co_u32 v5, s12, s12, v5
	v_add_co_ci_u32_e32 v4, vcc_lo, 0, v4, vcc_lo
	v_add_co_ci_u32_e64 v6, null, s13, 0, s12
	s_mov_b32 s19, 0
	s_mov_b64 s[12:13], 0
	s_set_inst_prefetch_distance 0x1
	.p2align	6
.LBB3_9:                                ; =>This Inner Loop Header: Depth=1
	v_add_co_u32 v8, vcc_lo, v1, s8
	v_add_co_ci_u32_e32 v9, vcc_lo, s9, v2, vcc_lo
	v_add_co_u32 v10, vcc_lo, v5, s12
	v_add_co_ci_u32_e32 v11, vcc_lo, s13, v6, vcc_lo
	s_clause 0x1
	global_load_u16 v14, v[1:2], off
	global_load_u16 v15, v[8:9], off
	global_load_b64 v[8:9], v[10:11], off
	v_add_co_u32 v12, vcc_lo, v3, s12
	v_add_co_ci_u32_e32 v13, vcc_lo, s13, v4, vcc_lo
	v_add_co_u32 v1, vcc_lo, v1, s20
	v_add_co_ci_u32_e32 v2, vcc_lo, 0, v2, vcc_lo
	s_add_u32 s12, s12, s7
	s_addc_u32 s13, s13, 0
	s_waitcnt vmcnt(2)
	v_cvt_f32_f16_e32 v16, v14
	s_waitcnt vmcnt(1)
	v_cvt_f32_f16_e32 v17, v15
	s_waitcnt vmcnt(0)
	s_delay_alu instid0(VALU_DEP_2) | instskip(NEXT) | instid1(VALU_DEP_2)
	v_dual_mul_f32 v16, v9, v16 :: v_dual_add_nc_u32 v7, s24, v7
	v_mul_f32_e32 v17, v9, v17
	s_delay_alu instid0(VALU_DEP_2) | instskip(NEXT) | instid1(VALU_DEP_3)
	v_cmp_le_i32_e32 vcc_lo, s18, v7
	v_fma_mix_f32 v9, v8, v15, v16 op_sel_hi:[0,1,0]
	s_delay_alu instid0(VALU_DEP_3)
	v_fma_mix_f32 v8, v8, v14, -v17 op_sel_hi:[0,1,0]
	s_or_b32 s19, vcc_lo, s19
	global_store_b64 v[10:11], v[8:9], off
	global_store_b64 v[12:13], v[8:9], off offset:-4
	s_and_not1_b32 exec_lo, exec_lo, s19
	s_cbranch_execnz .LBB3_9
.LBB3_10:
	s_set_inst_prefetch_distance 0x2
	s_or_b32 exec_lo, exec_lo, s34
	s_delay_alu instid0(SALU_CYCLE_1)
	s_mov_b32 s7, exec_lo
	v_cmpx_gt_i32_e64 s6, v0
	s_cbranch_execz .LBB3_13
; %bb.11:
	s_mul_i32 s7, s2, s11
	s_mul_hi_u32 s9, s2, s10
	s_mul_i32 s8, s2, s10
	s_add_i32 s9, s9, s7
	s_delay_alu instid0(SALU_CYCLE_1) | instskip(NEXT) | instid1(SALU_CYCLE_1)
	s_lshl_b64 s[8:9], s[8:9], 2
	s_add_u32 s2, s14, s8
	s_addc_u32 s7, s15, s9
	s_ashr_i32 s4, s4, 31
	s_load_b32 s8, s[0:1], 0x8c
	s_mul_i32 s4, s28, s4
	s_delay_alu instid0(SALU_CYCLE_1) | instskip(NEXT) | instid1(SALU_CYCLE_1)
	s_add_i32 s0, s31, s4
	s_add_i32 s27, s0, s33
	s_delay_alu instid0(SALU_CYCLE_1) | instskip(NEXT) | instid1(SALU_CYCLE_1)
	s_lshl_b64 s[0:1], s[26:27], 2
	s_add_u32 s0, s16, s0
	s_addc_u32 s9, s17, s1
	s_ashr_i32 s1, s5, 31
	s_delay_alu instid0(SALU_CYCLE_1) | instskip(NEXT) | instid1(SALU_CYCLE_1)
	s_mul_i32 s3, s3, s1
	s_add_i32 s1, s29, s3
	s_delay_alu instid0(SALU_CYCLE_1) | instskip(NEXT) | instid1(SALU_CYCLE_1)
	s_add_i32 s23, s1, s30
	s_lshl_b64 s[4:5], s[22:23], 2
	s_delay_alu instid0(SALU_CYCLE_1)
	s_add_u32 s1, s0, s4
	s_addc_u32 s3, s9, s5
	s_waitcnt lgkmcnt(0)
	s_and_b32 s4, s8, 0xffff
	s_mov_b32 s5, 0
	.p2align	6
.LBB3_12:                               ; =>This Inner Loop Header: Depth=1
	v_ashrrev_i32_e32 v1, 31, v0
	s_delay_alu instid0(VALU_DEP_1) | instskip(SKIP_1) | instid1(VALU_DEP_2)
	v_lshlrev_b64 v[1:2], 2, v[0:1]
	v_add_nc_u32_e32 v0, s4, v0
	v_add_co_u32 v3, vcc_lo, s2, v1
	s_delay_alu instid0(VALU_DEP_3) | instskip(NEXT) | instid1(VALU_DEP_3)
	v_add_co_ci_u32_e32 v4, vcc_lo, s7, v2, vcc_lo
	v_cmp_le_i32_e32 vcc_lo, s6, v0
	v_add_co_u32 v1, s0, s1, v1
	global_load_b32 v3, v[3:4], off
	v_add_co_ci_u32_e64 v2, s0, s3, v2, s0
	s_or_b32 s5, vcc_lo, s5
	s_waitcnt vmcnt(0)
	global_store_b32 v[1:2], v3, off
	s_and_not1_b32 exec_lo, exec_lo, s5
	s_cbranch_execnz .LBB3_12
.LBB3_13:
	s_nop 0
	s_sendmsg sendmsg(MSG_DEALLOC_VGPRS)
	s_endpgm
.LBB3_14:
                                        ; implicit-def: $sgpr28_sgpr29
	s_branch .LBB3_6
	.section	.rodata,"a",@progbits
	.p2align	6, 0x0
	.amdhsa_kernel _ZN4vllm38concat_and_cache_mla_rope_fused_kernelIfN3c104HalfELb0EffLNS_18Fp8KVCacheDataTypeE0EEEvPKlPT_S7_PKS6_PKT0_illlliPT3_S5_iiiiPKf
		.amdhsa_group_segment_fixed_size 0
		.amdhsa_private_segment_fixed_size 0
		.amdhsa_kernarg_size 384
		.amdhsa_user_sgpr_count 15
		.amdhsa_user_sgpr_dispatch_ptr 0
		.amdhsa_user_sgpr_queue_ptr 0
		.amdhsa_user_sgpr_kernarg_segment_ptr 1
		.amdhsa_user_sgpr_dispatch_id 0
		.amdhsa_user_sgpr_private_segment_size 0
		.amdhsa_wavefront_size32 1
		.amdhsa_uses_dynamic_stack 0
		.amdhsa_enable_private_segment 0
		.amdhsa_system_sgpr_workgroup_id_x 1
		.amdhsa_system_sgpr_workgroup_id_y 0
		.amdhsa_system_sgpr_workgroup_id_z 0
		.amdhsa_system_sgpr_workgroup_info 0
		.amdhsa_system_vgpr_workitem_id 0
		.amdhsa_next_free_vgpr 18
		.amdhsa_next_free_sgpr 43
		.amdhsa_reserve_vcc 1
		.amdhsa_float_round_mode_32 0
		.amdhsa_float_round_mode_16_64 0
		.amdhsa_float_denorm_mode_32 3
		.amdhsa_float_denorm_mode_16_64 3
		.amdhsa_dx10_clamp 1
		.amdhsa_ieee_mode 1
		.amdhsa_fp16_overflow 0
		.amdhsa_workgroup_processor_mode 1
		.amdhsa_memory_ordered 1
		.amdhsa_forward_progress 0
		.amdhsa_shared_vgpr_count 0
		.amdhsa_exception_fp_ieee_invalid_op 0
		.amdhsa_exception_fp_denorm_src 0
		.amdhsa_exception_fp_ieee_div_zero 0
		.amdhsa_exception_fp_ieee_overflow 0
		.amdhsa_exception_fp_ieee_underflow 0
		.amdhsa_exception_fp_ieee_inexact 0
		.amdhsa_exception_int_div_zero 0
	.end_amdhsa_kernel
	.section	.text._ZN4vllm38concat_and_cache_mla_rope_fused_kernelIfN3c104HalfELb0EffLNS_18Fp8KVCacheDataTypeE0EEEvPKlPT_S7_PKS6_PKT0_illlliPT3_S5_iiiiPKf,"axG",@progbits,_ZN4vllm38concat_and_cache_mla_rope_fused_kernelIfN3c104HalfELb0EffLNS_18Fp8KVCacheDataTypeE0EEEvPKlPT_S7_PKS6_PKT0_illlliPT3_S5_iiiiPKf,comdat
.Lfunc_end3:
	.size	_ZN4vllm38concat_and_cache_mla_rope_fused_kernelIfN3c104HalfELb0EffLNS_18Fp8KVCacheDataTypeE0EEEvPKlPT_S7_PKS6_PKT0_illlliPT3_S5_iiiiPKf, .Lfunc_end3-_ZN4vllm38concat_and_cache_mla_rope_fused_kernelIfN3c104HalfELb0EffLNS_18Fp8KVCacheDataTypeE0EEEvPKlPT_S7_PKS6_PKT0_illlliPT3_S5_iiiiPKf
                                        ; -- End function
	.section	.AMDGPU.csdata,"",@progbits
; Kernel info:
; codeLenInByte = 2280
; NumSgprs: 45
; NumVgprs: 18
; ScratchSize: 0
; MemoryBound: 0
; FloatMode: 240
; IeeeMode: 1
; LDSByteSize: 0 bytes/workgroup (compile time only)
; SGPRBlocks: 5
; VGPRBlocks: 2
; NumSGPRsForWavesPerEU: 45
; NumVGPRsForWavesPerEU: 18
; Occupancy: 16
; WaveLimiterHint : 1
; COMPUTE_PGM_RSRC2:SCRATCH_EN: 0
; COMPUTE_PGM_RSRC2:USER_SGPR: 15
; COMPUTE_PGM_RSRC2:TRAP_HANDLER: 0
; COMPUTE_PGM_RSRC2:TGID_X_EN: 1
; COMPUTE_PGM_RSRC2:TGID_Y_EN: 0
; COMPUTE_PGM_RSRC2:TGID_Z_EN: 0
; COMPUTE_PGM_RSRC2:TIDIG_COMP_CNT: 0
	.section	.text._ZN4vllm38concat_and_cache_mla_rope_fused_kernelIfN3c108BFloat16ELb1EffLNS_18Fp8KVCacheDataTypeE0EEEvPKlPT_S7_PKS6_PKT0_illlliPT3_S5_iiiiPKf,"axG",@progbits,_ZN4vllm38concat_and_cache_mla_rope_fused_kernelIfN3c108BFloat16ELb1EffLNS_18Fp8KVCacheDataTypeE0EEEvPKlPT_S7_PKS6_PKT0_illlliPT3_S5_iiiiPKf,comdat
	.protected	_ZN4vllm38concat_and_cache_mla_rope_fused_kernelIfN3c108BFloat16ELb1EffLNS_18Fp8KVCacheDataTypeE0EEEvPKlPT_S7_PKS6_PKT0_illlliPT3_S5_iiiiPKf ; -- Begin function _ZN4vllm38concat_and_cache_mla_rope_fused_kernelIfN3c108BFloat16ELb1EffLNS_18Fp8KVCacheDataTypeE0EEEvPKlPT_S7_PKS6_PKT0_illlliPT3_S5_iiiiPKf
	.globl	_ZN4vllm38concat_and_cache_mla_rope_fused_kernelIfN3c108BFloat16ELb1EffLNS_18Fp8KVCacheDataTypeE0EEEvPKlPT_S7_PKS6_PKT0_illlliPT3_S5_iiiiPKf
	.p2align	8
	.type	_ZN4vllm38concat_and_cache_mla_rope_fused_kernelIfN3c108BFloat16ELb1EffLNS_18Fp8KVCacheDataTypeE0EEEvPKlPT_S7_PKS6_PKT0_illlliPT3_S5_iiiiPKf,@function
_ZN4vllm38concat_and_cache_mla_rope_fused_kernelIfN3c108BFloat16ELb1EffLNS_18Fp8KVCacheDataTypeE0EEEvPKlPT_S7_PKS6_PKT0_illlliPT3_S5_iiiiPKf: ; @_ZN4vllm38concat_and_cache_mla_rope_fused_kernelIfN3c108BFloat16ELb1EffLNS_18Fp8KVCacheDataTypeE0EEEvPKlPT_S7_PKS6_PKT0_illlliPT3_S5_iiiiPKf
; %bb.0:
	s_load_b64 s[6:7], s[0:1], 0x60
	s_mov_b32 s2, s15
	s_mov_b32 s3, 0
	s_delay_alu instid0(SALU_CYCLE_1)
	s_lshl_b64 s[4:5], s[2:3], 3
	s_waitcnt lgkmcnt(0)
	s_add_u32 s6, s6, s4
	s_addc_u32 s7, s7, s5
	s_load_b64 s[24:25], s[6:7], 0x0
	s_waitcnt lgkmcnt(0)
	v_cmp_lt_i64_e64 s3, s[24:25], 0
	s_delay_alu instid0(VALU_DEP_1)
	s_and_b32 vcc_lo, exec_lo, s3
	s_cbranch_vccnz .LBB4_13
; %bb.1:
	s_clause 0x3
	s_load_b32 s19, s[0:1], 0x28
	s_load_b64 s[6:7], s[0:1], 0x0
	s_load_b128 s[12:15], s[0:1], 0x10
	s_load_b32 s3, s[0:1], 0x50
	s_mov_b32 s28, exec_lo
	s_waitcnt lgkmcnt(0)
	s_ashr_i32 s26, s19, 31
	s_add_u32 s4, s6, s4
	s_addc_u32 s5, s7, s5
	s_lshr_b32 s18, s19, 31
	s_load_b64 s[22:23], s[4:5], 0x0
	s_clause 0x2
	s_load_b64 s[20:21], s[0:1], 0x20
	s_load_b64 s[16:17], s[0:1], 0x58
	s_load_b256 s[4:11], s[0:1], 0x30
	s_add_i32 s18, s19, s18
	s_delay_alu instid0(SALU_CYCLE_1) | instskip(NEXT) | instid1(SALU_CYCLE_1)
	s_ashr_i32 s18, s18, 1
	s_mul_i32 s3, s18, s3
	s_waitcnt lgkmcnt(0)
	s_mul_i32 s26, s22, s26
	s_mul_hi_u32 s27, s22, s19
	s_mul_i32 s23, s23, s19
	s_add_i32 s26, s27, s26
	s_mul_i32 s22, s22, s19
	s_add_i32 s23, s26, s23
	v_cmpx_gt_i32_e64 s3, v0
	s_cbranch_execz .LBB4_4
; %bb.2:
	s_clause 0x1
	s_load_b64 s[26:27], s[0:1], 0x8
	s_load_b32 s36, s[0:1], 0x8c
	s_lshl_b64 s[30:31], s[22:23], 1
	s_mul_i32 s5, s2, s5
	s_mul_hi_u32 s19, s2, s4
	s_add_u32 s29, s20, s30
	s_mul_i32 s4, s2, s4
	s_addc_u32 s30, s21, s31
	s_add_i32 s5, s19, s5
	s_ashr_i32 s19, s18, 31
	s_lshl_b64 s[4:5], s[4:5], 2
	s_mov_b32 s35, 0
	s_waitcnt lgkmcnt(0)
	s_add_u32 s31, s26, s4
	s_addc_u32 s33, s27, s5
	s_abs_i32 s34, s18
	s_and_b32 s36, s36, 0xffff
	v_cvt_f32_u32_e32 v1, s34
	s_sub_i32 s4, 0, s34
	s_sub_i32 s37, 0, s18
	s_lshl_b64 s[26:27], s[18:19], 2
	s_delay_alu instid0(VALU_DEP_1) | instskip(SKIP_2) | instid1(VALU_DEP_1)
	v_rcp_iflag_f32_e32 v1, v1
	s_waitcnt_depctr 0xfff
	v_mul_f32_e32 v1, 0x4f7ffffe, v1
	v_cvt_u32_f32_e32 v1, v1
	s_delay_alu instid0(VALU_DEP_1) | instskip(SKIP_1) | instid1(VALU_DEP_1)
	v_mul_lo_u32 v2, s4, v1
	s_lshl_b64 s[4:5], s[18:19], 1
	v_mul_hi_u32 v2, v1, v2
	s_delay_alu instid0(VALU_DEP_1)
	v_dual_mov_b32 v1, v0 :: v_dual_add_nc_u32 v2, v1, v2
.LBB4_3:                                ; =>This Inner Loop Header: Depth=1
	s_delay_alu instid0(VALU_DEP_1) | instskip(SKIP_1) | instid1(VALU_DEP_2)
	v_sub_nc_u32_e32 v3, 0, v1
	v_ashrrev_i32_e32 v4, 31, v1
	v_max_i32_e32 v3, v1, v3
	s_delay_alu instid0(VALU_DEP_2) | instskip(NEXT) | instid1(VALU_DEP_2)
	v_xor_b32_e32 v4, s19, v4
	v_mul_hi_u32 v5, v3, v2
	s_delay_alu instid0(VALU_DEP_1) | instskip(SKIP_1) | instid1(VALU_DEP_2)
	v_mul_lo_u32 v6, v5, s34
	v_add_nc_u32_e32 v7, 1, v5
	v_sub_nc_u32_e32 v3, v3, v6
	s_delay_alu instid0(VALU_DEP_1) | instskip(SKIP_1) | instid1(VALU_DEP_4)
	v_subrev_nc_u32_e32 v6, s34, v3
	v_cmp_le_u32_e32 vcc_lo, s34, v3
	v_cndmask_b32_e32 v5, v5, v7, vcc_lo
	s_delay_alu instid0(VALU_DEP_1) | instskip(NEXT) | instid1(VALU_DEP_1)
	v_dual_cndmask_b32 v3, v3, v6 :: v_dual_add_nc_u32 v6, 1, v5
	v_cmp_le_u32_e32 vcc_lo, s34, v3
	s_delay_alu instid0(VALU_DEP_2) | instskip(NEXT) | instid1(VALU_DEP_1)
	v_cndmask_b32_e32 v3, v5, v6, vcc_lo
	v_xor_b32_e32 v3, v3, v4
	s_delay_alu instid0(VALU_DEP_1) | instskip(NEXT) | instid1(VALU_DEP_1)
	v_sub_nc_u32_e32 v7, v3, v4
	v_ashrrev_i32_e32 v8, 31, v7
	v_mad_u64_u32 v[3:4], null, s37, v7, v[1:2]
	v_mul_lo_u32 v9, v7, s7
	v_mad_u64_u32 v[5:6], null, v7, s6, 0
	s_delay_alu instid0(VALU_DEP_4) | instskip(SKIP_2) | instid1(VALU_DEP_3)
	v_mul_lo_u32 v7, v8, s6
	v_add_nc_u32_e32 v1, s36, v1
	v_ashrrev_i32_e32 v4, 31, v3
	v_add3_u32 v6, v6, v9, v7
	s_delay_alu instid0(VALU_DEP_2) | instskip(SKIP_1) | instid1(VALU_DEP_3)
	v_lshlrev_b64 v[7:8], 1, v[3:4]
	v_lshlrev_b64 v[3:4], 2, v[3:4]
	;; [unrolled: 1-line block ×3, first 2 shown]
	s_delay_alu instid0(VALU_DEP_3) | instskip(NEXT) | instid1(VALU_DEP_4)
	v_add_co_u32 v7, vcc_lo, s29, v7
	v_add_co_ci_u32_e32 v8, vcc_lo, s30, v8, vcc_lo
	s_delay_alu instid0(VALU_DEP_3) | instskip(NEXT) | instid1(VALU_DEP_4)
	v_add_co_u32 v10, vcc_lo, s31, v5
	v_add_co_ci_u32_e32 v11, vcc_lo, s33, v6, vcc_lo
	s_delay_alu instid0(VALU_DEP_4) | instskip(NEXT) | instid1(VALU_DEP_4)
	v_add_co_u32 v5, vcc_lo, v7, s4
	v_add_co_ci_u32_e32 v6, vcc_lo, s5, v8, vcc_lo
	s_delay_alu instid0(VALU_DEP_4) | instskip(NEXT) | instid1(VALU_DEP_4)
	v_add_co_u32 v3, vcc_lo, v10, v3
	v_add_co_ci_u32_e32 v4, vcc_lo, v11, v4, vcc_lo
	s_clause 0x1
	global_load_u16 v9, v[7:8], off
	global_load_u16 v7, v[5:6], off
	v_add_co_u32 v5, vcc_lo, v3, s26
	v_add_co_ci_u32_e32 v6, vcc_lo, s27, v4, vcc_lo
	s_clause 0x1
	global_load_b32 v8, v[3:4], off
	global_load_b32 v10, v[5:6], off
	v_cmp_le_i32_e32 vcc_lo, s3, v1
	s_or_b32 s35, vcc_lo, s35
	s_waitcnt vmcnt(3)
	v_lshlrev_b32_e32 v9, 16, v9
	s_waitcnt vmcnt(2)
	v_lshlrev_b32_e32 v7, 16, v7
	s_waitcnt vmcnt(1)
	s_delay_alu instid0(VALU_DEP_1) | instskip(SKIP_2) | instid1(VALU_DEP_2)
	v_mul_f32_e32 v11, v8, v7
	s_waitcnt vmcnt(0)
	v_mul_f32_e32 v7, v10, v7
	v_fmac_f32_e32 v11, v10, v9
	s_delay_alu instid0(VALU_DEP_2)
	v_fma_f32 v7, v8, v9, -v7
	s_clause 0x1
	global_store_b32 v[3:4], v7, off
	global_store_b32 v[5:6], v11, off
	s_and_not1_b32 exec_lo, exec_lo, s35
	s_cbranch_execnz .LBB4_3
.LBB4_4:
	s_or_b32 exec_lo, exec_lo, s28
	s_load_b128 s[4:7], s[0:1], 0x68
	s_waitcnt lgkmcnt(0)
	s_ashr_i32 s29, s7, 31
	s_mov_b32 s28, s7
	s_delay_alu instid0(SALU_CYCLE_1) | instskip(SKIP_1) | instid1(SALU_CYCLE_1)
	s_or_b64 s[30:31], s[24:25], s[28:29]
	s_mov_b32 s30, 0
	s_cmp_lg_u64 s[30:31], 0
	s_cbranch_scc0 .LBB4_14
; %bb.5:
	s_add_u32 s34, s28, s29
	s_mov_b32 s26, s29
	s_mov_b32 s27, s29
	s_addc_u32 s35, s29, s29
	s_delay_alu instid0(SALU_CYCLE_1) | instskip(NEXT) | instid1(SALU_CYCLE_1)
	s_xor_b64 s[34:35], s[34:35], s[26:27]
	v_cvt_f32_u32_e32 v1, s34
	v_cvt_f32_u32_e32 v2, s35
	s_sub_u32 s19, 0, s34
	s_subb_u32 s31, 0, s35
	s_delay_alu instid0(VALU_DEP_1) | instskip(NEXT) | instid1(VALU_DEP_1)
	v_fmamk_f32 v1, v2, 0x4f800000, v1
	v_rcp_f32_e32 v1, v1
	s_waitcnt_depctr 0xfff
	v_mul_f32_e32 v1, 0x5f7ffffc, v1
	s_delay_alu instid0(VALU_DEP_1) | instskip(NEXT) | instid1(VALU_DEP_1)
	v_mul_f32_e32 v2, 0x2f800000, v1
	v_trunc_f32_e32 v2, v2
	s_delay_alu instid0(VALU_DEP_1) | instskip(SKIP_1) | instid1(VALU_DEP_2)
	v_fmamk_f32 v1, v2, 0xcf800000, v1
	v_cvt_u32_f32_e32 v2, v2
	v_cvt_u32_f32_e32 v1, v1
	s_delay_alu instid0(VALU_DEP_2) | instskip(NEXT) | instid1(VALU_DEP_2)
	v_readfirstlane_b32 s3, v2
	v_readfirstlane_b32 s7, v1
	s_delay_alu instid0(VALU_DEP_2) | instskip(NEXT) | instid1(VALU_DEP_1)
	s_mul_i32 s33, s19, s3
	s_mul_hi_u32 s37, s19, s7
	s_mul_i32 s36, s31, s7
	s_add_i32 s33, s37, s33
	s_mul_i32 s38, s19, s7
	s_add_i32 s33, s33, s36
	s_mul_hi_u32 s37, s7, s38
	s_mul_hi_u32 s39, s3, s38
	s_mul_i32 s36, s3, s38
	s_mul_hi_u32 s38, s7, s33
	s_mul_i32 s7, s7, s33
	s_mul_hi_u32 s40, s3, s33
	s_add_u32 s7, s37, s7
	s_addc_u32 s37, 0, s38
	s_add_u32 s7, s7, s36
	s_mul_i32 s33, s3, s33
	s_addc_u32 s7, s37, s39
	s_addc_u32 s36, s40, 0
	s_add_u32 s7, s7, s33
	s_addc_u32 s33, 0, s36
	v_add_co_u32 v1, s7, v1, s7
	s_delay_alu instid0(VALU_DEP_1) | instskip(SKIP_1) | instid1(VALU_DEP_1)
	s_cmp_lg_u32 s7, 0
	s_addc_u32 s3, s3, s33
	v_readfirstlane_b32 s7, v1
	s_mul_i32 s33, s19, s3
	s_delay_alu instid0(VALU_DEP_1)
	s_mul_hi_u32 s36, s19, s7
	s_mul_i32 s31, s31, s7
	s_add_i32 s33, s36, s33
	s_mul_i32 s19, s19, s7
	s_add_i32 s33, s33, s31
	s_mul_hi_u32 s36, s3, s19
	s_mul_i32 s37, s3, s19
	s_mul_hi_u32 s19, s7, s19
	s_mul_hi_u32 s38, s7, s33
	s_mul_i32 s7, s7, s33
	s_mul_hi_u32 s31, s3, s33
	s_add_u32 s7, s19, s7
	s_addc_u32 s19, 0, s38
	s_add_u32 s7, s7, s37
	s_mul_i32 s33, s3, s33
	s_addc_u32 s7, s19, s36
	s_addc_u32 s19, s31, 0
	s_add_u32 s7, s7, s33
	s_addc_u32 s19, 0, s19
	v_add_co_u32 v1, s7, v1, s7
	s_delay_alu instid0(VALU_DEP_1) | instskip(SKIP_2) | instid1(VALU_DEP_1)
	s_cmp_lg_u32 s7, 0
	s_addc_u32 s3, s3, s19
	s_ashr_i32 s36, s25, 31
	v_readfirstlane_b32 s7, v1
	s_add_u32 s38, s24, s36
	s_mov_b32 s37, s36
	s_addc_u32 s39, s25, s36
	s_delay_alu instid0(SALU_CYCLE_1) | instskip(NEXT) | instid1(SALU_CYCLE_1)
	s_xor_b64 s[38:39], s[38:39], s[36:37]
	s_mul_i32 s31, s38, s3
	s_mul_hi_u32 s33, s38, s7
	s_mul_hi_u32 s19, s38, s3
	;; [unrolled: 1-line block ×3, first 2 shown]
	s_mul_i32 s7, s39, s7
	s_add_u32 s31, s33, s31
	s_addc_u32 s19, 0, s19
	s_mul_hi_u32 s40, s39, s3
	s_add_u32 s7, s31, s7
	s_mul_i32 s3, s39, s3
	s_addc_u32 s7, s19, s41
	s_addc_u32 s19, s40, 0
	s_add_u32 s3, s7, s3
	s_addc_u32 s7, 0, s19
	s_mul_hi_u32 s19, s34, s3
	s_mul_i32 s33, s34, s7
	s_mul_i32 s40, s34, s3
	s_add_i32 s19, s19, s33
	v_sub_co_u32 v1, s33, s38, s40
	s_mul_i32 s31, s35, s3
	s_delay_alu instid0(SALU_CYCLE_1) | instskip(NEXT) | instid1(VALU_DEP_1)
	s_add_i32 s19, s19, s31
	v_sub_co_u32 v2, s38, v1, s34
	s_sub_i32 s31, s39, s19
	s_cmp_lg_u32 s33, 0
	s_subb_u32 s31, s31, s35
	s_cmp_lg_u32 s38, 0
	v_readfirstlane_b32 s38, v2
	s_subb_u32 s31, s31, 0
	s_delay_alu instid0(SALU_CYCLE_1) | instskip(SKIP_1) | instid1(VALU_DEP_1)
	s_cmp_ge_u32 s31, s35
	s_cselect_b32 s40, -1, 0
	s_cmp_ge_u32 s38, s34
	s_cselect_b32 s38, -1, 0
	s_cmp_eq_u32 s31, s35
	s_cselect_b32 s31, s38, s40
	s_add_u32 s38, s3, 1
	s_addc_u32 s40, s7, 0
	s_add_u32 s41, s3, 2
	s_addc_u32 s42, s7, 0
	s_cmp_lg_u32 s31, 0
	s_cselect_b32 s31, s41, s38
	s_cselect_b32 s38, s42, s40
	s_cmp_lg_u32 s33, 0
	v_readfirstlane_b32 s33, v1
	s_subb_u32 s19, s39, s19
	s_delay_alu instid0(SALU_CYCLE_1) | instskip(SKIP_1) | instid1(VALU_DEP_1)
	s_cmp_ge_u32 s19, s35
	s_cselect_b32 s39, -1, 0
	s_cmp_ge_u32 s33, s34
	s_cselect_b32 s33, -1, 0
	s_cmp_eq_u32 s19, s35
	s_cselect_b32 s19, s33, s39
	s_delay_alu instid0(SALU_CYCLE_1) | instskip(SKIP_3) | instid1(SALU_CYCLE_1)
	s_cmp_lg_u32 s19, 0
	s_cselect_b32 s35, s38, s7
	s_cselect_b32 s34, s31, s3
	s_xor_b64 s[26:27], s[36:37], s[26:27]
	s_xor_b64 s[34:35], s[34:35], s[26:27]
	s_delay_alu instid0(SALU_CYCLE_1)
	s_sub_u32 s26, s34, s26
	s_subb_u32 s27, s35, s27
	s_and_not1_b32 vcc_lo, exec_lo, s30
	s_cbranch_vccnz .LBB4_7
.LBB4_6:
	v_cvt_f32_u32_e32 v1, s28
	s_sub_i32 s7, 0, s28
	s_mov_b32 s27, 0
	s_delay_alu instid0(VALU_DEP_1) | instskip(SKIP_2) | instid1(VALU_DEP_1)
	v_rcp_iflag_f32_e32 v1, v1
	s_waitcnt_depctr 0xfff
	v_mul_f32_e32 v1, 0x4f7ffffe, v1
	v_cvt_u32_f32_e32 v1, v1
	s_delay_alu instid0(VALU_DEP_1) | instskip(NEXT) | instid1(VALU_DEP_1)
	v_readfirstlane_b32 s3, v1
	s_mul_i32 s7, s7, s3
	s_delay_alu instid0(SALU_CYCLE_1) | instskip(NEXT) | instid1(SALU_CYCLE_1)
	s_mul_hi_u32 s7, s3, s7
	s_add_i32 s3, s3, s7
	s_delay_alu instid0(SALU_CYCLE_1) | instskip(NEXT) | instid1(SALU_CYCLE_1)
	s_mul_hi_u32 s3, s24, s3
	s_mul_i32 s7, s3, s28
	s_add_i32 s19, s3, 1
	s_sub_i32 s7, s24, s7
	s_delay_alu instid0(SALU_CYCLE_1)
	s_sub_i32 s26, s7, s28
	s_cmp_ge_u32 s7, s28
	s_cselect_b32 s3, s19, s3
	s_cselect_b32 s7, s26, s7
	s_add_i32 s19, s3, 1
	s_cmp_ge_u32 s7, s28
	s_cselect_b32 s26, s19, s3
.LBB4_7:
	s_delay_alu instid0(SALU_CYCLE_1)
	s_mul_i32 s3, s26, s29
	s_mul_hi_u32 s7, s26, s28
	s_mul_i32 s19, s26, s28
	s_add_i32 s3, s7, s3
	s_mul_i32 s7, s27, s28
	s_mul_hi_u32 s31, s26, s4
	s_add_i32 s7, s3, s7
	s_sub_u32 s3, s24, s19
	s_subb_u32 s30, s25, s7
	s_mul_i32 s33, s27, s4
	s_mul_i32 s28, s26, s4
	s_mul_hi_u32 s27, s3, s5
	s_mul_i32 s30, s30, s5
	s_mul_i32 s24, s3, s5
	s_mov_b32 s34, exec_lo
	v_cmpx_gt_i32_e64 s18, v0
	s_cbranch_execz .LBB4_10
; %bb.8:
	s_mul_i32 s7, s2, s9
	s_mul_hi_u32 s9, s2, s8
	s_mul_i32 s8, s2, s8
	s_add_i32 s9, s9, s7
	s_ashr_i32 s19, s18, 31
	s_lshl_b64 s[38:39], s[8:9], 2
	s_load_b32 s37, s[0:1], 0x8c
	s_add_u32 s35, s12, s38
	s_addc_u32 s36, s13, s39
	s_ashr_i32 s7, s4, 31
	s_ashr_i32 s8, s5, 31
	s_mul_i32 s7, s26, s7
	s_mul_i32 s8, s3, s8
	s_add_i32 s7, s31, s7
	s_add_i32 s8, s27, s8
	;; [unrolled: 1-line block ×4, first 2 shown]
	s_lshl_b64 s[8:9], s[28:29], 2
	s_lshl_b64 s[40:41], s[24:25], 2
	v_dual_mov_b32 v4, v0 :: v_dual_lshlrev_b32 v1, 1, v0
	s_add_u32 s44, s8, s40
	s_addc_u32 s45, s9, s41
	s_add_u32 s8, s44, s16
	s_addc_u32 s9, s45, s17
	s_ashr_i32 s7, s6, 31
	v_lshlrev_b32_e32 v3, 2, v0
	s_lshl_b64 s[40:41], s[6:7], 2
	s_delay_alu instid0(SALU_CYCLE_1)
	s_add_u32 s7, s8, s40
	s_addc_u32 s25, s9, s41
	s_lshl_b64 s[8:9], s[22:23], 1
	s_waitcnt lgkmcnt(0)
	s_and_b32 s29, s37, 0xffff
	s_add_u32 s8, s20, s8
	s_addc_u32 s9, s21, s9
	v_add_co_u32 v1, s8, s8, v1
	s_lshl_b64 s[42:43], s[18:19], 2
	v_add_co_ci_u32_e64 v2, null, s9, 0, s8
	s_lshl_b32 s20, s29, 1
	s_lshl_b64 s[8:9], s[18:19], 1
	s_add_u32 s19, s38, s42
	s_addc_u32 s21, s39, s43
	s_add_u32 s12, s12, s19
	s_addc_u32 s13, s13, s21
	s_lshl_b32 s19, s29, 2
	s_add_u32 s21, s44, s42
	s_addc_u32 s23, s45, s43
	s_add_u32 s21, s21, s40
	s_addc_u32 s23, s23, s41
	s_add_u32 s21, s16, s21
	s_mov_b32 s22, 0
	s_addc_u32 s23, s17, s23
.LBB4_9:                                ; =>This Inner Loop Header: Depth=1
	v_add_co_u32 v5, vcc_lo, v1, s8
	v_add_co_u32 v7, s37, s35, v3
	v_add_co_ci_u32_e32 v6, vcc_lo, s9, v2, vcc_lo
	v_add_co_ci_u32_e64 v8, null, s36, 0, s37
	v_add_co_u32 v9, s37, s12, v3
	s_delay_alu instid0(VALU_DEP_1)
	v_add_co_ci_u32_e64 v10, null, s13, 0, s37
	s_clause 0x1
	global_load_u16 v13, v[5:6], off
	global_load_u16 v14, v[1:2], off
	global_load_b32 v15, v[9:10], off
	global_load_b32 v16, v[7:8], off
	v_add_co_u32 v1, vcc_lo, v1, s20
	s_add_u32 s12, s12, s19
	v_add_co_u32 v5, s37, s7, v3
	s_addc_u32 s13, s13, 0
	v_add_co_ci_u32_e32 v2, vcc_lo, 0, v2, vcc_lo
	s_add_u32 s35, s35, s19
	v_add_co_ci_u32_e64 v6, null, s25, 0, s37
	v_add_co_u32 v11, s37, s21, v3
	s_addc_u32 s36, s36, 0
	s_add_u32 s21, s21, s19
	v_add_co_ci_u32_e64 v12, null, s23, 0, s37
	s_addc_u32 s23, s23, 0
	s_add_u32 s7, s7, s19
	s_addc_u32 s25, s25, 0
	s_waitcnt vmcnt(3)
	v_lshlrev_b32_e32 v13, 16, v13
	v_add_nc_u32_e32 v4, s29, v4
	s_waitcnt vmcnt(1)
	s_delay_alu instid0(VALU_DEP_2) | instskip(SKIP_3) | instid1(VALU_DEP_3)
	v_dual_mul_f32 v17, v15, v13 :: v_dual_lshlrev_b32 v14, 16, v14
	s_waitcnt vmcnt(0)
	v_mul_f32_e32 v13, v16, v13
	v_cmp_le_i32_e32 vcc_lo, s18, v4
	v_fma_f32 v16, v16, v14, -v17
	s_delay_alu instid0(VALU_DEP_3)
	v_fmac_f32_e32 v13, v15, v14
	s_or_b32 s22, vcc_lo, s22
	global_store_b32 v[7:8], v16, off
	global_store_b32 v[9:10], v13, off
	;; [unrolled: 1-line block ×4, first 2 shown]
	s_and_not1_b32 exec_lo, exec_lo, s22
	s_cbranch_execnz .LBB4_9
.LBB4_10:
	s_or_b32 exec_lo, exec_lo, s34
	s_delay_alu instid0(SALU_CYCLE_1)
	s_mov_b32 s7, exec_lo
	v_cmpx_gt_i32_e64 s6, v0
	s_cbranch_execz .LBB4_13
; %bb.11:
	s_mul_i32 s7, s2, s11
	s_mul_hi_u32 s9, s2, s10
	s_mul_i32 s8, s2, s10
	s_add_i32 s9, s9, s7
	s_delay_alu instid0(SALU_CYCLE_1) | instskip(NEXT) | instid1(SALU_CYCLE_1)
	s_lshl_b64 s[8:9], s[8:9], 2
	s_add_u32 s2, s14, s8
	s_addc_u32 s7, s15, s9
	s_ashr_i32 s4, s4, 31
	s_load_b32 s8, s[0:1], 0x8c
	s_mul_i32 s4, s26, s4
	s_delay_alu instid0(SALU_CYCLE_1) | instskip(NEXT) | instid1(SALU_CYCLE_1)
	s_add_i32 s0, s31, s4
	s_add_i32 s29, s0, s33
	s_delay_alu instid0(SALU_CYCLE_1) | instskip(NEXT) | instid1(SALU_CYCLE_1)
	s_lshl_b64 s[0:1], s[28:29], 2
	s_add_u32 s0, s16, s0
	s_addc_u32 s9, s17, s1
	s_ashr_i32 s1, s5, 31
	s_delay_alu instid0(SALU_CYCLE_1) | instskip(NEXT) | instid1(SALU_CYCLE_1)
	s_mul_i32 s3, s3, s1
	s_add_i32 s1, s27, s3
	s_delay_alu instid0(SALU_CYCLE_1) | instskip(NEXT) | instid1(SALU_CYCLE_1)
	s_add_i32 s25, s1, s30
	s_lshl_b64 s[4:5], s[24:25], 2
	s_delay_alu instid0(SALU_CYCLE_1)
	s_add_u32 s1, s0, s4
	s_addc_u32 s3, s9, s5
	s_waitcnt lgkmcnt(0)
	s_and_b32 s4, s8, 0xffff
	s_mov_b32 s5, 0
	.p2align	6
.LBB4_12:                               ; =>This Inner Loop Header: Depth=1
	v_ashrrev_i32_e32 v1, 31, v0
	s_delay_alu instid0(VALU_DEP_1) | instskip(SKIP_1) | instid1(VALU_DEP_2)
	v_lshlrev_b64 v[1:2], 2, v[0:1]
	v_add_nc_u32_e32 v0, s4, v0
	v_add_co_u32 v3, vcc_lo, s2, v1
	s_delay_alu instid0(VALU_DEP_3) | instskip(NEXT) | instid1(VALU_DEP_3)
	v_add_co_ci_u32_e32 v4, vcc_lo, s7, v2, vcc_lo
	v_cmp_le_i32_e32 vcc_lo, s6, v0
	v_add_co_u32 v1, s0, s1, v1
	global_load_b32 v3, v[3:4], off
	v_add_co_ci_u32_e64 v2, s0, s3, v2, s0
	s_or_b32 s5, vcc_lo, s5
	s_waitcnt vmcnt(0)
	global_store_b32 v[1:2], v3, off
	s_and_not1_b32 exec_lo, exec_lo, s5
	s_cbranch_execnz .LBB4_12
.LBB4_13:
	s_nop 0
	s_sendmsg sendmsg(MSG_DEALLOC_VGPRS)
	s_endpgm
.LBB4_14:
                                        ; implicit-def: $sgpr26_sgpr27
	s_branch .LBB4_6
	.section	.rodata,"a",@progbits
	.p2align	6, 0x0
	.amdhsa_kernel _ZN4vllm38concat_and_cache_mla_rope_fused_kernelIfN3c108BFloat16ELb1EffLNS_18Fp8KVCacheDataTypeE0EEEvPKlPT_S7_PKS6_PKT0_illlliPT3_S5_iiiiPKf
		.amdhsa_group_segment_fixed_size 0
		.amdhsa_private_segment_fixed_size 0
		.amdhsa_kernarg_size 384
		.amdhsa_user_sgpr_count 15
		.amdhsa_user_sgpr_dispatch_ptr 0
		.amdhsa_user_sgpr_queue_ptr 0
		.amdhsa_user_sgpr_kernarg_segment_ptr 1
		.amdhsa_user_sgpr_dispatch_id 0
		.amdhsa_user_sgpr_private_segment_size 0
		.amdhsa_wavefront_size32 1
		.amdhsa_uses_dynamic_stack 0
		.amdhsa_enable_private_segment 0
		.amdhsa_system_sgpr_workgroup_id_x 1
		.amdhsa_system_sgpr_workgroup_id_y 0
		.amdhsa_system_sgpr_workgroup_id_z 0
		.amdhsa_system_sgpr_workgroup_info 0
		.amdhsa_system_vgpr_workitem_id 0
		.amdhsa_next_free_vgpr 18
		.amdhsa_next_free_sgpr 46
		.amdhsa_reserve_vcc 1
		.amdhsa_float_round_mode_32 0
		.amdhsa_float_round_mode_16_64 0
		.amdhsa_float_denorm_mode_32 3
		.amdhsa_float_denorm_mode_16_64 3
		.amdhsa_dx10_clamp 1
		.amdhsa_ieee_mode 1
		.amdhsa_fp16_overflow 0
		.amdhsa_workgroup_processor_mode 1
		.amdhsa_memory_ordered 1
		.amdhsa_forward_progress 0
		.amdhsa_shared_vgpr_count 0
		.amdhsa_exception_fp_ieee_invalid_op 0
		.amdhsa_exception_fp_denorm_src 0
		.amdhsa_exception_fp_ieee_div_zero 0
		.amdhsa_exception_fp_ieee_overflow 0
		.amdhsa_exception_fp_ieee_underflow 0
		.amdhsa_exception_fp_ieee_inexact 0
		.amdhsa_exception_int_div_zero 0
	.end_amdhsa_kernel
	.section	.text._ZN4vllm38concat_and_cache_mla_rope_fused_kernelIfN3c108BFloat16ELb1EffLNS_18Fp8KVCacheDataTypeE0EEEvPKlPT_S7_PKS6_PKT0_illlliPT3_S5_iiiiPKf,"axG",@progbits,_ZN4vllm38concat_and_cache_mla_rope_fused_kernelIfN3c108BFloat16ELb1EffLNS_18Fp8KVCacheDataTypeE0EEEvPKlPT_S7_PKS6_PKT0_illlliPT3_S5_iiiiPKf,comdat
.Lfunc_end4:
	.size	_ZN4vllm38concat_and_cache_mla_rope_fused_kernelIfN3c108BFloat16ELb1EffLNS_18Fp8KVCacheDataTypeE0EEEvPKlPT_S7_PKS6_PKT0_illlliPT3_S5_iiiiPKf, .Lfunc_end4-_ZN4vllm38concat_and_cache_mla_rope_fused_kernelIfN3c108BFloat16ELb1EffLNS_18Fp8KVCacheDataTypeE0EEEvPKlPT_S7_PKS6_PKT0_illlliPT3_S5_iiiiPKf
                                        ; -- End function
	.section	.AMDGPU.csdata,"",@progbits
; Kernel info:
; codeLenInByte = 2372
; NumSgprs: 48
; NumVgprs: 18
; ScratchSize: 0
; MemoryBound: 0
; FloatMode: 240
; IeeeMode: 1
; LDSByteSize: 0 bytes/workgroup (compile time only)
; SGPRBlocks: 5
; VGPRBlocks: 2
; NumSGPRsForWavesPerEU: 48
; NumVGPRsForWavesPerEU: 18
; Occupancy: 16
; WaveLimiterHint : 1
; COMPUTE_PGM_RSRC2:SCRATCH_EN: 0
; COMPUTE_PGM_RSRC2:USER_SGPR: 15
; COMPUTE_PGM_RSRC2:TRAP_HANDLER: 0
; COMPUTE_PGM_RSRC2:TGID_X_EN: 1
; COMPUTE_PGM_RSRC2:TGID_Y_EN: 0
; COMPUTE_PGM_RSRC2:TGID_Z_EN: 0
; COMPUTE_PGM_RSRC2:TIDIG_COMP_CNT: 0
	.section	.text._ZN4vllm38concat_and_cache_mla_rope_fused_kernelIfN3c108BFloat16ELb0EffLNS_18Fp8KVCacheDataTypeE0EEEvPKlPT_S7_PKS6_PKT0_illlliPT3_S5_iiiiPKf,"axG",@progbits,_ZN4vllm38concat_and_cache_mla_rope_fused_kernelIfN3c108BFloat16ELb0EffLNS_18Fp8KVCacheDataTypeE0EEEvPKlPT_S7_PKS6_PKT0_illlliPT3_S5_iiiiPKf,comdat
	.protected	_ZN4vllm38concat_and_cache_mla_rope_fused_kernelIfN3c108BFloat16ELb0EffLNS_18Fp8KVCacheDataTypeE0EEEvPKlPT_S7_PKS6_PKT0_illlliPT3_S5_iiiiPKf ; -- Begin function _ZN4vllm38concat_and_cache_mla_rope_fused_kernelIfN3c108BFloat16ELb0EffLNS_18Fp8KVCacheDataTypeE0EEEvPKlPT_S7_PKS6_PKT0_illlliPT3_S5_iiiiPKf
	.globl	_ZN4vllm38concat_and_cache_mla_rope_fused_kernelIfN3c108BFloat16ELb0EffLNS_18Fp8KVCacheDataTypeE0EEEvPKlPT_S7_PKS6_PKT0_illlliPT3_S5_iiiiPKf
	.p2align	8
	.type	_ZN4vllm38concat_and_cache_mla_rope_fused_kernelIfN3c108BFloat16ELb0EffLNS_18Fp8KVCacheDataTypeE0EEEvPKlPT_S7_PKS6_PKT0_illlliPT3_S5_iiiiPKf,@function
_ZN4vllm38concat_and_cache_mla_rope_fused_kernelIfN3c108BFloat16ELb0EffLNS_18Fp8KVCacheDataTypeE0EEEvPKlPT_S7_PKS6_PKT0_illlliPT3_S5_iiiiPKf: ; @_ZN4vllm38concat_and_cache_mla_rope_fused_kernelIfN3c108BFloat16ELb0EffLNS_18Fp8KVCacheDataTypeE0EEEvPKlPT_S7_PKS6_PKT0_illlliPT3_S5_iiiiPKf
; %bb.0:
	s_load_b64 s[6:7], s[0:1], 0x60
	s_mov_b32 s2, s15
	s_mov_b32 s3, 0
	s_delay_alu instid0(SALU_CYCLE_1)
	s_lshl_b64 s[4:5], s[2:3], 3
	s_waitcnt lgkmcnt(0)
	s_add_u32 s6, s6, s4
	s_addc_u32 s7, s7, s5
	s_load_b64 s[22:23], s[6:7], 0x0
	s_waitcnt lgkmcnt(0)
	v_cmp_lt_i64_e64 s3, s[22:23], 0
	s_delay_alu instid0(VALU_DEP_1)
	s_and_b32 vcc_lo, exec_lo, s3
	s_cbranch_vccnz .LBB5_13
; %bb.1:
	s_clause 0x3
	s_load_b32 s19, s[0:1], 0x28
	s_load_b64 s[6:7], s[0:1], 0x0
	s_load_b128 s[12:15], s[0:1], 0x10
	s_load_b32 s3, s[0:1], 0x50
	v_lshlrev_b32_e32 v3, 1, v0
	s_waitcnt lgkmcnt(0)
	s_ashr_i32 s26, s19, 31
	s_add_u32 s4, s6, s4
	s_addc_u32 s5, s7, s5
	s_lshr_b32 s18, s19, 31
	s_load_b64 s[24:25], s[4:5], 0x0
	s_clause 0x2
	s_load_b64 s[20:21], s[0:1], 0x20
	s_load_b64 s[16:17], s[0:1], 0x58
	s_load_b256 s[4:11], s[0:1], 0x30
	s_add_i32 s18, s19, s18
	s_delay_alu instid0(SALU_CYCLE_1) | instskip(NEXT) | instid1(SALU_CYCLE_1)
	s_ashr_i32 s18, s18, 1
	s_mul_i32 s3, s18, s3
	s_waitcnt lgkmcnt(0)
	s_mul_i32 s26, s24, s26
	s_mul_hi_u32 s27, s24, s19
	s_mul_i32 s25, s25, s19
	s_add_i32 s26, s27, s26
	s_mul_i32 s24, s24, s19
	s_add_i32 s25, s26, s25
	s_mov_b32 s26, exec_lo
	v_cmpx_gt_i32_e64 s3, v0
	s_cbranch_execz .LBB5_4
; %bb.2:
	s_clause 0x1
	s_load_b64 s[30:31], s[0:1], 0x8
	s_load_b32 s34, s[0:1], 0x8c
	s_lshl_b64 s[28:29], s[24:25], 1
	s_mul_i32 s5, s2, s5
	s_mul_hi_u32 s19, s2, s4
	s_add_u32 s27, s20, s28
	s_mul_i32 s4, s2, s4
	s_addc_u32 s28, s21, s29
	s_add_i32 s5, s19, s5
	s_ashr_i32 s19, s18, 31
	s_lshl_b64 s[4:5], s[4:5], 2
	s_mov_b32 s33, 0
	s_waitcnt lgkmcnt(0)
	s_add_u32 s29, s30, s4
	s_addc_u32 s30, s31, s5
	s_abs_i32 s31, s18
	s_and_b32 s34, s34, 0xffff
	v_cvt_f32_u32_e32 v1, s31
	s_sub_i32 s4, 0, s31
	s_sub_i32 s35, 0, s18
	s_lshl_b32 s37, s34, 1
	s_delay_alu instid0(VALU_DEP_1) | instskip(SKIP_2) | instid1(VALU_DEP_1)
	v_rcp_iflag_f32_e32 v1, v1
	s_waitcnt_depctr 0xfff
	v_mul_f32_e32 v1, 0x4f7ffffe, v1
	v_cvt_u32_f32_e32 v2, v1
	s_delay_alu instid0(VALU_DEP_1) | instskip(SKIP_1) | instid1(SALU_CYCLE_1)
	v_mul_lo_u32 v1, s4, v2
	s_lshl_b32 s4, s18, 1
	s_sub_i32 s36, 0, s4
	s_lshl_b64 s[4:5], s[18:19], 1
	s_delay_alu instid0(VALU_DEP_1) | instskip(NEXT) | instid1(VALU_DEP_1)
	v_mul_hi_u32 v4, v2, v1
	v_dual_mov_b32 v1, v3 :: v_dual_add_nc_u32 v4, v2, v4
	v_mov_b32_e32 v2, v0
.LBB5_3:                                ; =>This Inner Loop Header: Depth=1
	s_delay_alu instid0(VALU_DEP_1) | instskip(SKIP_1) | instid1(VALU_DEP_2)
	v_sub_nc_u32_e32 v5, 0, v2
	v_ashrrev_i32_e32 v6, 31, v2
	v_max_i32_e32 v5, v2, v5
	s_delay_alu instid0(VALU_DEP_2) | instskip(NEXT) | instid1(VALU_DEP_2)
	v_xor_b32_e32 v6, s19, v6
	v_mul_hi_u32 v7, v5, v4
	s_delay_alu instid0(VALU_DEP_1) | instskip(SKIP_1) | instid1(VALU_DEP_2)
	v_mul_lo_u32 v8, v7, s31
	v_add_nc_u32_e32 v9, 1, v7
	v_sub_nc_u32_e32 v5, v5, v8
	s_delay_alu instid0(VALU_DEP_1) | instskip(SKIP_1) | instid1(VALU_DEP_4)
	v_subrev_nc_u32_e32 v8, s31, v5
	v_cmp_le_u32_e32 vcc_lo, s31, v5
	v_cndmask_b32_e32 v7, v7, v9, vcc_lo
	s_delay_alu instid0(VALU_DEP_1) | instskip(NEXT) | instid1(VALU_DEP_1)
	v_dual_cndmask_b32 v5, v5, v8 :: v_dual_add_nc_u32 v8, 1, v7
	v_cmp_le_u32_e32 vcc_lo, s31, v5
	s_delay_alu instid0(VALU_DEP_2) | instskip(NEXT) | instid1(VALU_DEP_1)
	v_cndmask_b32_e32 v5, v7, v8, vcc_lo
	v_xor_b32_e32 v5, v5, v6
	s_delay_alu instid0(VALU_DEP_1) | instskip(NEXT) | instid1(VALU_DEP_1)
	v_sub_nc_u32_e32 v11, v5, v6
	v_mad_u64_u32 v[5:6], null, s35, v11, v[2:3]
	v_ashrrev_i32_e32 v6, 31, v11
	v_mul_lo_u32 v12, v11, s7
	v_mad_u64_u32 v[7:8], null, v11, s6, 0
	v_mad_u64_u32 v[9:10], null, s36, v11, v[1:2]
	s_delay_alu instid0(VALU_DEP_4) | instskip(SKIP_3) | instid1(VALU_DEP_3)
	v_mul_lo_u32 v11, v6, s6
	v_ashrrev_i32_e32 v6, 31, v5
	v_add_nc_u32_e32 v2, s34, v2
	v_add_nc_u32_e32 v1, s37, v1
	v_lshlrev_b64 v[5:6], 1, v[5:6]
	v_ashrrev_i32_e32 v10, 31, v9
	v_add3_u32 v8, v8, v12, v11
	s_delay_alu instid0(VALU_DEP_3) | instskip(NEXT) | instid1(VALU_DEP_2)
	v_add_co_u32 v5, vcc_lo, s27, v5
	v_lshlrev_b64 v[7:8], 2, v[7:8]
	v_add_co_ci_u32_e32 v6, vcc_lo, s28, v6, vcc_lo
	s_delay_alu instid0(VALU_DEP_3) | instskip(SKIP_1) | instid1(VALU_DEP_3)
	v_add_co_u32 v11, vcc_lo, v5, s4
	v_lshlrev_b64 v[9:10], 2, v[9:10]
	v_add_co_ci_u32_e32 v12, vcc_lo, s5, v6, vcc_lo
	v_add_co_u32 v7, vcc_lo, s29, v7
	v_add_co_ci_u32_e32 v8, vcc_lo, s30, v8, vcc_lo
	s_clause 0x1
	global_load_u16 v13, v[5:6], off
	global_load_u16 v11, v[11:12], off
	v_add_co_u32 v5, vcc_lo, v7, v9
	v_add_co_ci_u32_e32 v6, vcc_lo, v8, v10, vcc_lo
	v_cmp_le_i32_e32 vcc_lo, s3, v2
	global_load_b64 v[7:8], v[5:6], off
	s_or_b32 s33, vcc_lo, s33
	s_waitcnt vmcnt(1)
	v_lshlrev_b32_e32 v9, 16, v11
	v_lshlrev_b32_e32 v11, 16, v13
	s_waitcnt vmcnt(0)
	s_delay_alu instid0(VALU_DEP_2) | instskip(SKIP_1) | instid1(VALU_DEP_2)
	v_mul_f32_e32 v12, v8, v9
	v_mul_f32_e32 v10, v7, v9
	v_fma_f32 v9, v7, v11, -v12
	s_delay_alu instid0(VALU_DEP_2)
	v_fmac_f32_e32 v10, v8, v11
	global_store_b64 v[5:6], v[9:10], off
	s_and_not1_b32 exec_lo, exec_lo, s33
	s_cbranch_execnz .LBB5_3
.LBB5_4:
	s_or_b32 exec_lo, exec_lo, s26
	s_load_b128 s[4:7], s[0:1], 0x68
	s_waitcnt lgkmcnt(0)
	s_ashr_i32 s27, s7, 31
	s_mov_b32 s26, s7
	s_delay_alu instid0(SALU_CYCLE_1) | instskip(SKIP_1) | instid1(SALU_CYCLE_1)
	s_or_b64 s[30:31], s[22:23], s[26:27]
	s_mov_b32 s30, 0
	s_cmp_lg_u64 s[30:31], 0
	s_cbranch_scc0 .LBB5_14
; %bb.5:
	s_add_u32 s34, s26, s27
	s_mov_b32 s28, s27
	s_mov_b32 s29, s27
	s_addc_u32 s35, s27, s27
	s_delay_alu instid0(SALU_CYCLE_1) | instskip(NEXT) | instid1(SALU_CYCLE_1)
	s_xor_b64 s[34:35], s[34:35], s[28:29]
	v_cvt_f32_u32_e32 v1, s34
	v_cvt_f32_u32_e32 v2, s35
	s_sub_u32 s19, 0, s34
	s_subb_u32 s31, 0, s35
	s_delay_alu instid0(VALU_DEP_1) | instskip(NEXT) | instid1(VALU_DEP_1)
	v_fmamk_f32 v1, v2, 0x4f800000, v1
	v_rcp_f32_e32 v1, v1
	s_waitcnt_depctr 0xfff
	v_mul_f32_e32 v1, 0x5f7ffffc, v1
	s_delay_alu instid0(VALU_DEP_1) | instskip(NEXT) | instid1(VALU_DEP_1)
	v_mul_f32_e32 v2, 0x2f800000, v1
	v_trunc_f32_e32 v2, v2
	s_delay_alu instid0(VALU_DEP_1) | instskip(SKIP_1) | instid1(VALU_DEP_2)
	v_fmamk_f32 v1, v2, 0xcf800000, v1
	v_cvt_u32_f32_e32 v2, v2
	v_cvt_u32_f32_e32 v1, v1
	s_delay_alu instid0(VALU_DEP_2) | instskip(NEXT) | instid1(VALU_DEP_2)
	v_readfirstlane_b32 s3, v2
	v_readfirstlane_b32 s7, v1
	s_delay_alu instid0(VALU_DEP_2) | instskip(NEXT) | instid1(VALU_DEP_1)
	s_mul_i32 s33, s19, s3
	s_mul_hi_u32 s37, s19, s7
	s_mul_i32 s36, s31, s7
	s_add_i32 s33, s37, s33
	s_mul_i32 s38, s19, s7
	s_add_i32 s33, s33, s36
	s_mul_hi_u32 s37, s7, s38
	s_mul_hi_u32 s39, s3, s38
	s_mul_i32 s36, s3, s38
	s_mul_hi_u32 s38, s7, s33
	s_mul_i32 s7, s7, s33
	s_mul_hi_u32 s40, s3, s33
	s_add_u32 s7, s37, s7
	s_addc_u32 s37, 0, s38
	s_add_u32 s7, s7, s36
	s_mul_i32 s33, s3, s33
	s_addc_u32 s7, s37, s39
	s_addc_u32 s36, s40, 0
	s_add_u32 s7, s7, s33
	s_addc_u32 s33, 0, s36
	v_add_co_u32 v1, s7, v1, s7
	s_delay_alu instid0(VALU_DEP_1) | instskip(SKIP_1) | instid1(VALU_DEP_1)
	s_cmp_lg_u32 s7, 0
	s_addc_u32 s3, s3, s33
	v_readfirstlane_b32 s7, v1
	s_mul_i32 s33, s19, s3
	s_delay_alu instid0(VALU_DEP_1)
	s_mul_hi_u32 s36, s19, s7
	s_mul_i32 s31, s31, s7
	s_add_i32 s33, s36, s33
	s_mul_i32 s19, s19, s7
	s_add_i32 s33, s33, s31
	s_mul_hi_u32 s36, s3, s19
	s_mul_i32 s37, s3, s19
	s_mul_hi_u32 s19, s7, s19
	s_mul_hi_u32 s38, s7, s33
	s_mul_i32 s7, s7, s33
	s_mul_hi_u32 s31, s3, s33
	s_add_u32 s7, s19, s7
	s_addc_u32 s19, 0, s38
	s_add_u32 s7, s7, s37
	s_mul_i32 s33, s3, s33
	s_addc_u32 s7, s19, s36
	s_addc_u32 s19, s31, 0
	s_add_u32 s7, s7, s33
	s_addc_u32 s19, 0, s19
	v_add_co_u32 v1, s7, v1, s7
	s_delay_alu instid0(VALU_DEP_1) | instskip(SKIP_2) | instid1(VALU_DEP_1)
	s_cmp_lg_u32 s7, 0
	s_addc_u32 s3, s3, s19
	s_ashr_i32 s36, s23, 31
	v_readfirstlane_b32 s7, v1
	s_add_u32 s38, s22, s36
	s_mov_b32 s37, s36
	s_addc_u32 s39, s23, s36
	s_delay_alu instid0(SALU_CYCLE_1) | instskip(NEXT) | instid1(SALU_CYCLE_1)
	s_xor_b64 s[38:39], s[38:39], s[36:37]
	s_mul_i32 s31, s38, s3
	s_mul_hi_u32 s33, s38, s7
	s_mul_hi_u32 s19, s38, s3
	;; [unrolled: 1-line block ×3, first 2 shown]
	s_mul_i32 s7, s39, s7
	s_add_u32 s31, s33, s31
	s_addc_u32 s19, 0, s19
	s_mul_hi_u32 s40, s39, s3
	s_add_u32 s7, s31, s7
	s_mul_i32 s3, s39, s3
	s_addc_u32 s7, s19, s41
	s_addc_u32 s19, s40, 0
	s_add_u32 s3, s7, s3
	s_addc_u32 s7, 0, s19
	s_mul_hi_u32 s19, s34, s3
	s_mul_i32 s33, s34, s7
	s_mul_i32 s40, s34, s3
	s_add_i32 s19, s19, s33
	v_sub_co_u32 v1, s33, s38, s40
	s_mul_i32 s31, s35, s3
	s_delay_alu instid0(SALU_CYCLE_1) | instskip(NEXT) | instid1(VALU_DEP_1)
	s_add_i32 s19, s19, s31
	v_sub_co_u32 v2, s38, v1, s34
	s_sub_i32 s31, s39, s19
	s_cmp_lg_u32 s33, 0
	s_subb_u32 s31, s31, s35
	s_cmp_lg_u32 s38, 0
	v_readfirstlane_b32 s38, v2
	s_subb_u32 s31, s31, 0
	s_delay_alu instid0(SALU_CYCLE_1) | instskip(SKIP_1) | instid1(VALU_DEP_1)
	s_cmp_ge_u32 s31, s35
	s_cselect_b32 s40, -1, 0
	s_cmp_ge_u32 s38, s34
	s_cselect_b32 s38, -1, 0
	s_cmp_eq_u32 s31, s35
	s_cselect_b32 s31, s38, s40
	s_add_u32 s38, s3, 1
	s_addc_u32 s40, s7, 0
	s_add_u32 s41, s3, 2
	s_addc_u32 s42, s7, 0
	s_cmp_lg_u32 s31, 0
	s_cselect_b32 s31, s41, s38
	s_cselect_b32 s38, s42, s40
	s_cmp_lg_u32 s33, 0
	v_readfirstlane_b32 s33, v1
	s_subb_u32 s19, s39, s19
	s_delay_alu instid0(SALU_CYCLE_1) | instskip(SKIP_1) | instid1(VALU_DEP_1)
	s_cmp_ge_u32 s19, s35
	s_cselect_b32 s39, -1, 0
	s_cmp_ge_u32 s33, s34
	s_cselect_b32 s33, -1, 0
	s_cmp_eq_u32 s19, s35
	s_cselect_b32 s19, s33, s39
	s_delay_alu instid0(SALU_CYCLE_1) | instskip(SKIP_3) | instid1(SALU_CYCLE_1)
	s_cmp_lg_u32 s19, 0
	s_cselect_b32 s35, s38, s7
	s_cselect_b32 s34, s31, s3
	s_xor_b64 s[28:29], s[36:37], s[28:29]
	s_xor_b64 s[34:35], s[34:35], s[28:29]
	s_delay_alu instid0(SALU_CYCLE_1)
	s_sub_u32 s28, s34, s28
	s_subb_u32 s29, s35, s29
	s_and_not1_b32 vcc_lo, exec_lo, s30
	s_cbranch_vccnz .LBB5_7
.LBB5_6:
	v_cvt_f32_u32_e32 v1, s26
	s_sub_i32 s7, 0, s26
	s_mov_b32 s29, 0
	s_delay_alu instid0(VALU_DEP_1) | instskip(SKIP_2) | instid1(VALU_DEP_1)
	v_rcp_iflag_f32_e32 v1, v1
	s_waitcnt_depctr 0xfff
	v_mul_f32_e32 v1, 0x4f7ffffe, v1
	v_cvt_u32_f32_e32 v1, v1
	s_delay_alu instid0(VALU_DEP_1) | instskip(NEXT) | instid1(VALU_DEP_1)
	v_readfirstlane_b32 s3, v1
	s_mul_i32 s7, s7, s3
	s_delay_alu instid0(SALU_CYCLE_1) | instskip(NEXT) | instid1(SALU_CYCLE_1)
	s_mul_hi_u32 s7, s3, s7
	s_add_i32 s3, s3, s7
	s_delay_alu instid0(SALU_CYCLE_1) | instskip(NEXT) | instid1(SALU_CYCLE_1)
	s_mul_hi_u32 s3, s22, s3
	s_mul_i32 s7, s3, s26
	s_add_i32 s19, s3, 1
	s_sub_i32 s7, s22, s7
	s_delay_alu instid0(SALU_CYCLE_1)
	s_sub_i32 s28, s7, s26
	s_cmp_ge_u32 s7, s26
	s_cselect_b32 s3, s19, s3
	s_cselect_b32 s7, s28, s7
	s_add_i32 s19, s3, 1
	s_cmp_ge_u32 s7, s26
	s_cselect_b32 s28, s19, s3
.LBB5_7:
	s_delay_alu instid0(SALU_CYCLE_1)
	s_mul_i32 s3, s28, s27
	s_mul_hi_u32 s7, s28, s26
	s_mul_i32 s19, s28, s26
	s_add_i32 s3, s7, s3
	s_mul_i32 s7, s29, s26
	s_mul_hi_u32 s31, s28, s4
	s_add_i32 s7, s3, s7
	s_sub_u32 s3, s22, s19
	s_subb_u32 s30, s23, s7
	s_mul_i32 s33, s29, s4
	s_mul_i32 s26, s28, s4
	s_mul_hi_u32 s29, s3, s5
	s_mul_i32 s30, s30, s5
	s_mul_i32 s22, s3, s5
	s_mov_b32 s34, exec_lo
	v_cmpx_gt_i32_e64 s18, v0
	s_cbranch_execz .LBB5_10
; %bb.8:
	s_load_b32 s23, s[0:1], 0x8c
	s_ashr_i32 s27, s4, 31
	s_ashr_i32 s35, s5, 31
	s_lshl_b64 s[36:37], s[24:25], 1
	s_ashr_i32 s19, s18, 31
	s_ashr_i32 s7, s6, 31
	s_mul_i32 s25, s9, s2
	s_mul_hi_u32 s39, s8, s2
	s_mul_i32 s38, s8, s2
	s_mul_i32 s8, s28, s27
	;; [unrolled: 1-line block ×3, first 2 shown]
	v_lshlrev_b32_e32 v5, 3, v0
	v_mov_b32_e32 v7, v0
	s_waitcnt lgkmcnt(0)
	s_and_b32 s24, s23, 0xffff
	s_add_u32 s35, s20, s36
	s_addc_u32 s21, s21, s37
	s_add_i32 s8, s31, s8
	s_add_i32 s9, s29, s9
	;; [unrolled: 1-line block ×4, first 2 shown]
	s_lshl_b64 s[36:37], s[26:27], 2
	s_lshl_b64 s[40:41], s[22:23], 2
	s_lshl_b32 s20, s24, 1
	s_lshl_b64 s[8:9], s[18:19], 1
	s_add_u32 s19, s36, s40
	s_addc_u32 s23, s37, s41
	s_lshl_b64 s[36:37], s[6:7], 2
	v_add_co_u32 v1, s7, s35, v3
	s_delay_alu instid0(VALU_DEP_1)
	v_add_co_ci_u32_e64 v2, null, s21, 0, s7
	s_add_u32 s7, s16, s36
	s_addc_u32 s21, s17, s37
	s_add_u32 s7, s7, s19
	s_addc_u32 s19, s21, s23
	s_add_i32 s39, s39, s25
	v_add_co_u32 v3, s7, s7, v5
	s_lshl_b64 s[36:37], s[38:39], 2
	v_add_co_ci_u32_e64 v4, null, s19, 0, s7
	s_lshl_b32 s7, s24, 3
	s_add_u32 s12, s12, s36
	v_add_co_u32 v3, vcc_lo, v3, 4
	s_addc_u32 s13, s13, s37
	v_add_co_u32 v5, s12, s12, v5
	v_add_co_ci_u32_e32 v4, vcc_lo, 0, v4, vcc_lo
	v_add_co_ci_u32_e64 v6, null, s13, 0, s12
	s_mov_b32 s19, 0
	s_mov_b64 s[12:13], 0
	s_set_inst_prefetch_distance 0x1
	.p2align	6
.LBB5_9:                                ; =>This Inner Loop Header: Depth=1
	v_add_co_u32 v8, vcc_lo, v1, s8
	v_add_co_ci_u32_e32 v9, vcc_lo, s9, v2, vcc_lo
	v_add_co_u32 v10, vcc_lo, v5, s12
	v_add_co_ci_u32_e32 v11, vcc_lo, s13, v6, vcc_lo
	s_clause 0x1
	global_load_u16 v14, v[8:9], off
	global_load_u16 v15, v[1:2], off
	global_load_b64 v[8:9], v[10:11], off
	v_add_co_u32 v12, vcc_lo, v3, s12
	v_add_nc_u32_e32 v7, s24, v7
	v_add_co_ci_u32_e32 v13, vcc_lo, s13, v4, vcc_lo
	v_add_co_u32 v1, vcc_lo, v1, s20
	v_add_co_ci_u32_e32 v2, vcc_lo, 0, v2, vcc_lo
	s_delay_alu instid0(VALU_DEP_4)
	v_cmp_le_i32_e32 vcc_lo, s18, v7
	s_add_u32 s12, s12, s7
	s_addc_u32 s13, s13, 0
	s_or_b32 s19, vcc_lo, s19
	s_waitcnt vmcnt(1)
	v_lshlrev_b32_e32 v16, 16, v15
	v_lshlrev_b32_e32 v14, 16, v14
	s_waitcnt vmcnt(0)
	s_delay_alu instid0(VALU_DEP_1) | instskip(NEXT) | instid1(VALU_DEP_1)
	v_mul_f32_e32 v15, v8, v14
	v_fmac_f32_e32 v15, v9, v16
	v_mul_f32_e32 v17, v9, v14
	s_delay_alu instid0(VALU_DEP_1)
	v_fma_f32 v14, v8, v16, -v17
	global_store_b64 v[10:11], v[14:15], off
	global_store_b64 v[12:13], v[14:15], off offset:-4
	s_and_not1_b32 exec_lo, exec_lo, s19
	s_cbranch_execnz .LBB5_9
.LBB5_10:
	s_set_inst_prefetch_distance 0x2
	s_or_b32 exec_lo, exec_lo, s34
	s_delay_alu instid0(SALU_CYCLE_1)
	s_mov_b32 s7, exec_lo
	v_cmpx_gt_i32_e64 s6, v0
	s_cbranch_execz .LBB5_13
; %bb.11:
	s_mul_i32 s7, s2, s11
	s_mul_hi_u32 s9, s2, s10
	s_mul_i32 s8, s2, s10
	s_add_i32 s9, s9, s7
	s_delay_alu instid0(SALU_CYCLE_1) | instskip(NEXT) | instid1(SALU_CYCLE_1)
	s_lshl_b64 s[8:9], s[8:9], 2
	s_add_u32 s2, s14, s8
	s_addc_u32 s7, s15, s9
	s_ashr_i32 s4, s4, 31
	s_load_b32 s8, s[0:1], 0x8c
	s_mul_i32 s4, s28, s4
	s_delay_alu instid0(SALU_CYCLE_1) | instskip(NEXT) | instid1(SALU_CYCLE_1)
	s_add_i32 s0, s31, s4
	s_add_i32 s27, s0, s33
	s_delay_alu instid0(SALU_CYCLE_1) | instskip(NEXT) | instid1(SALU_CYCLE_1)
	s_lshl_b64 s[0:1], s[26:27], 2
	s_add_u32 s0, s16, s0
	s_addc_u32 s9, s17, s1
	s_ashr_i32 s1, s5, 31
	s_delay_alu instid0(SALU_CYCLE_1) | instskip(NEXT) | instid1(SALU_CYCLE_1)
	s_mul_i32 s3, s3, s1
	s_add_i32 s1, s29, s3
	s_delay_alu instid0(SALU_CYCLE_1) | instskip(NEXT) | instid1(SALU_CYCLE_1)
	s_add_i32 s23, s1, s30
	s_lshl_b64 s[4:5], s[22:23], 2
	s_delay_alu instid0(SALU_CYCLE_1)
	s_add_u32 s1, s0, s4
	s_addc_u32 s3, s9, s5
	s_waitcnt lgkmcnt(0)
	s_and_b32 s4, s8, 0xffff
	s_mov_b32 s5, 0
	.p2align	6
.LBB5_12:                               ; =>This Inner Loop Header: Depth=1
	v_ashrrev_i32_e32 v1, 31, v0
	s_delay_alu instid0(VALU_DEP_1) | instskip(SKIP_1) | instid1(VALU_DEP_2)
	v_lshlrev_b64 v[1:2], 2, v[0:1]
	v_add_nc_u32_e32 v0, s4, v0
	v_add_co_u32 v3, vcc_lo, s2, v1
	s_delay_alu instid0(VALU_DEP_3) | instskip(NEXT) | instid1(VALU_DEP_3)
	v_add_co_ci_u32_e32 v4, vcc_lo, s7, v2, vcc_lo
	v_cmp_le_i32_e32 vcc_lo, s6, v0
	v_add_co_u32 v1, s0, s1, v1
	global_load_b32 v3, v[3:4], off
	v_add_co_ci_u32_e64 v2, s0, s3, v2, s0
	s_or_b32 s5, vcc_lo, s5
	s_waitcnt vmcnt(0)
	global_store_b32 v[1:2], v3, off
	s_and_not1_b32 exec_lo, exec_lo, s5
	s_cbranch_execnz .LBB5_12
.LBB5_13:
	s_nop 0
	s_sendmsg sendmsg(MSG_DEALLOC_VGPRS)
	s_endpgm
.LBB5_14:
                                        ; implicit-def: $sgpr28_sgpr29
	s_branch .LBB5_6
	.section	.rodata,"a",@progbits
	.p2align	6, 0x0
	.amdhsa_kernel _ZN4vllm38concat_and_cache_mla_rope_fused_kernelIfN3c108BFloat16ELb0EffLNS_18Fp8KVCacheDataTypeE0EEEvPKlPT_S7_PKS6_PKT0_illlliPT3_S5_iiiiPKf
		.amdhsa_group_segment_fixed_size 0
		.amdhsa_private_segment_fixed_size 0
		.amdhsa_kernarg_size 384
		.amdhsa_user_sgpr_count 15
		.amdhsa_user_sgpr_dispatch_ptr 0
		.amdhsa_user_sgpr_queue_ptr 0
		.amdhsa_user_sgpr_kernarg_segment_ptr 1
		.amdhsa_user_sgpr_dispatch_id 0
		.amdhsa_user_sgpr_private_segment_size 0
		.amdhsa_wavefront_size32 1
		.amdhsa_uses_dynamic_stack 0
		.amdhsa_enable_private_segment 0
		.amdhsa_system_sgpr_workgroup_id_x 1
		.amdhsa_system_sgpr_workgroup_id_y 0
		.amdhsa_system_sgpr_workgroup_id_z 0
		.amdhsa_system_sgpr_workgroup_info 0
		.amdhsa_system_vgpr_workitem_id 0
		.amdhsa_next_free_vgpr 18
		.amdhsa_next_free_sgpr 43
		.amdhsa_reserve_vcc 1
		.amdhsa_float_round_mode_32 0
		.amdhsa_float_round_mode_16_64 0
		.amdhsa_float_denorm_mode_32 3
		.amdhsa_float_denorm_mode_16_64 3
		.amdhsa_dx10_clamp 1
		.amdhsa_ieee_mode 1
		.amdhsa_fp16_overflow 0
		.amdhsa_workgroup_processor_mode 1
		.amdhsa_memory_ordered 1
		.amdhsa_forward_progress 0
		.amdhsa_shared_vgpr_count 0
		.amdhsa_exception_fp_ieee_invalid_op 0
		.amdhsa_exception_fp_denorm_src 0
		.amdhsa_exception_fp_ieee_div_zero 0
		.amdhsa_exception_fp_ieee_overflow 0
		.amdhsa_exception_fp_ieee_underflow 0
		.amdhsa_exception_fp_ieee_inexact 0
		.amdhsa_exception_int_div_zero 0
	.end_amdhsa_kernel
	.section	.text._ZN4vllm38concat_and_cache_mla_rope_fused_kernelIfN3c108BFloat16ELb0EffLNS_18Fp8KVCacheDataTypeE0EEEvPKlPT_S7_PKS6_PKT0_illlliPT3_S5_iiiiPKf,"axG",@progbits,_ZN4vllm38concat_and_cache_mla_rope_fused_kernelIfN3c108BFloat16ELb0EffLNS_18Fp8KVCacheDataTypeE0EEEvPKlPT_S7_PKS6_PKT0_illlliPT3_S5_iiiiPKf,comdat
.Lfunc_end5:
	.size	_ZN4vllm38concat_and_cache_mla_rope_fused_kernelIfN3c108BFloat16ELb0EffLNS_18Fp8KVCacheDataTypeE0EEEvPKlPT_S7_PKS6_PKT0_illlliPT3_S5_iiiiPKf, .Lfunc_end5-_ZN4vllm38concat_and_cache_mla_rope_fused_kernelIfN3c108BFloat16ELb0EffLNS_18Fp8KVCacheDataTypeE0EEEvPKlPT_S7_PKS6_PKT0_illlliPT3_S5_iiiiPKf
                                        ; -- End function
	.section	.AMDGPU.csdata,"",@progbits
; Kernel info:
; codeLenInByte = 2264
; NumSgprs: 45
; NumVgprs: 18
; ScratchSize: 0
; MemoryBound: 0
; FloatMode: 240
; IeeeMode: 1
; LDSByteSize: 0 bytes/workgroup (compile time only)
; SGPRBlocks: 5
; VGPRBlocks: 2
; NumSGPRsForWavesPerEU: 45
; NumVGPRsForWavesPerEU: 18
; Occupancy: 16
; WaveLimiterHint : 1
; COMPUTE_PGM_RSRC2:SCRATCH_EN: 0
; COMPUTE_PGM_RSRC2:USER_SGPR: 15
; COMPUTE_PGM_RSRC2:TRAP_HANDLER: 0
; COMPUTE_PGM_RSRC2:TGID_X_EN: 1
; COMPUTE_PGM_RSRC2:TGID_Y_EN: 0
; COMPUTE_PGM_RSRC2:TGID_Z_EN: 0
; COMPUTE_PGM_RSRC2:TIDIG_COMP_CNT: 0
	.section	.text._ZN4vllm38concat_and_cache_mla_rope_fused_kernelIN3c104HalfEfLb1EffLNS_18Fp8KVCacheDataTypeE0EEEvPKlPT_S7_PKS6_PKT0_illlliPT3_S5_iiiiPKf,"axG",@progbits,_ZN4vllm38concat_and_cache_mla_rope_fused_kernelIN3c104HalfEfLb1EffLNS_18Fp8KVCacheDataTypeE0EEEvPKlPT_S7_PKS6_PKT0_illlliPT3_S5_iiiiPKf,comdat
	.protected	_ZN4vllm38concat_and_cache_mla_rope_fused_kernelIN3c104HalfEfLb1EffLNS_18Fp8KVCacheDataTypeE0EEEvPKlPT_S7_PKS6_PKT0_illlliPT3_S5_iiiiPKf ; -- Begin function _ZN4vllm38concat_and_cache_mla_rope_fused_kernelIN3c104HalfEfLb1EffLNS_18Fp8KVCacheDataTypeE0EEEvPKlPT_S7_PKS6_PKT0_illlliPT3_S5_iiiiPKf
	.globl	_ZN4vllm38concat_and_cache_mla_rope_fused_kernelIN3c104HalfEfLb1EffLNS_18Fp8KVCacheDataTypeE0EEEvPKlPT_S7_PKS6_PKT0_illlliPT3_S5_iiiiPKf
	.p2align	8
	.type	_ZN4vllm38concat_and_cache_mla_rope_fused_kernelIN3c104HalfEfLb1EffLNS_18Fp8KVCacheDataTypeE0EEEvPKlPT_S7_PKS6_PKT0_illlliPT3_S5_iiiiPKf,@function
_ZN4vllm38concat_and_cache_mla_rope_fused_kernelIN3c104HalfEfLb1EffLNS_18Fp8KVCacheDataTypeE0EEEvPKlPT_S7_PKS6_PKT0_illlliPT3_S5_iiiiPKf: ; @_ZN4vllm38concat_and_cache_mla_rope_fused_kernelIN3c104HalfEfLb1EffLNS_18Fp8KVCacheDataTypeE0EEEvPKlPT_S7_PKS6_PKT0_illlliPT3_S5_iiiiPKf
; %bb.0:
	s_load_b64 s[6:7], s[2:3], 0x60
	s_mov_b32 s16, s15
	s_mov_b32 s17, 0
	s_delay_alu instid0(SALU_CYCLE_1)
	s_lshl_b64 s[4:5], s[16:17], 3
	s_waitcnt lgkmcnt(0)
	s_add_u32 s6, s6, s4
	s_addc_u32 s7, s7, s5
	s_load_b64 s[26:27], s[6:7], 0x0
	s_waitcnt lgkmcnt(0)
	v_cmp_lt_i64_e64 s6, s[26:27], 0
	s_delay_alu instid0(VALU_DEP_1)
	s_and_b32 vcc_lo, exec_lo, s6
	s_cbranch_vccnz .LBB6_13
; %bb.1:
	s_clause 0x2
	s_load_b32 s28, s[2:3], 0x28
	s_load_b64 s[6:7], s[2:3], 0x0
	s_load_b128 s[12:15], s[2:3], 0x10
	v_and_b32_e32 v1, 0x3ff, v0
	s_mov_b32 s31, exec_lo
	s_waitcnt lgkmcnt(0)
	s_ashr_i32 s17, s28, 31
	s_add_u32 s4, s6, s4
	s_addc_u32 s5, s7, s5
	s_load_b64 s[20:21], s[4:5], 0x0
	s_clause 0x3
	s_load_b64 s[22:23], s[2:3], 0x20
	s_load_b32 s29, s[2:3], 0x50
	s_load_b64 s[18:19], s[2:3], 0x58
	s_load_b256 s[4:11], s[2:3], 0x30
	s_waitcnt lgkmcnt(0)
	s_mul_i32 s17, s20, s17
	s_mul_hi_u32 s24, s20, s28
	s_mul_i32 s21, s21, s28
	s_add_i32 s17, s24, s17
	s_mul_i32 s20, s20, s28
	s_add_i32 s21, s17, s21
	s_delay_alu instid0(SALU_CYCLE_1) | instskip(NEXT) | instid1(SALU_CYCLE_1)
	s_lshl_b64 s[24:25], s[20:21], 2
	s_add_u32 s17, s22, s24
	s_addc_u32 s33, s23, s25
	s_lshr_b32 s20, s28, 31
	s_delay_alu instid0(SALU_CYCLE_1) | instskip(NEXT) | instid1(SALU_CYCLE_1)
	s_add_i32 s28, s28, s20
	s_ashr_i32 s20, s28, 1
	s_delay_alu instid0(SALU_CYCLE_1) | instskip(NEXT) | instid1(SALU_CYCLE_1)
	s_mul_i32 s30, s20, s29
	v_cmpx_gt_i32_e64 s30, v1
	s_cbranch_execz .LBB6_4
; %bb.2:
	s_clause 0x1
	s_load_b64 s[28:29], s[2:3], 0x8
	s_load_b32 s38, s[2:3], 0x8c
	s_mul_i32 s5, s16, s5
	s_mul_hi_u32 s21, s16, s4
	s_mul_i32 s4, s16, s4
	s_add_i32 s5, s21, s5
	s_ashr_i32 s21, s20, 31
	s_lshl_b64 s[4:5], s[4:5], 1
	s_mov_b32 s37, 0
	s_waitcnt lgkmcnt(0)
	s_add_u32 s34, s28, s4
	s_addc_u32 s35, s29, s5
	s_abs_i32 s36, s20
	s_and_b32 s38, s38, 0xffff
	v_cvt_f32_u32_e32 v2, s36
	s_sub_i32 s4, 0, s36
	s_sub_i32 s39, 0, s20
	s_lshl_b64 s[28:29], s[20:21], 1
	s_delay_alu instid0(VALU_DEP_1) | instskip(SKIP_2) | instid1(VALU_DEP_1)
	v_rcp_iflag_f32_e32 v2, v2
	s_waitcnt_depctr 0xfff
	v_mul_f32_e32 v2, 0x4f7ffffe, v2
	v_cvt_u32_f32_e32 v2, v2
	s_delay_alu instid0(VALU_DEP_1) | instskip(SKIP_1) | instid1(VALU_DEP_1)
	v_mul_lo_u32 v3, s4, v2
	s_lshl_b64 s[4:5], s[20:21], 2
	v_mul_hi_u32 v3, v2, v3
	s_delay_alu instid0(VALU_DEP_1)
	v_dual_mov_b32 v2, v1 :: v_dual_add_nc_u32 v3, v2, v3
.LBB6_3:                                ; =>This Inner Loop Header: Depth=1
	s_delay_alu instid0(VALU_DEP_1) | instskip(SKIP_1) | instid1(VALU_DEP_2)
	v_sub_nc_u32_e32 v4, 0, v2
	v_ashrrev_i32_e32 v5, 31, v2
	v_max_i32_e32 v4, v2, v4
	s_delay_alu instid0(VALU_DEP_2) | instskip(NEXT) | instid1(VALU_DEP_2)
	v_xor_b32_e32 v5, s21, v5
	v_mul_hi_u32 v6, v4, v3
	s_delay_alu instid0(VALU_DEP_1) | instskip(SKIP_1) | instid1(VALU_DEP_2)
	v_mul_lo_u32 v7, v6, s36
	v_add_nc_u32_e32 v8, 1, v6
	v_sub_nc_u32_e32 v4, v4, v7
	s_delay_alu instid0(VALU_DEP_1) | instskip(SKIP_1) | instid1(VALU_DEP_4)
	v_subrev_nc_u32_e32 v7, s36, v4
	v_cmp_le_u32_e32 vcc_lo, s36, v4
	v_cndmask_b32_e32 v6, v6, v8, vcc_lo
	s_delay_alu instid0(VALU_DEP_1) | instskip(NEXT) | instid1(VALU_DEP_1)
	v_dual_cndmask_b32 v4, v4, v7 :: v_dual_add_nc_u32 v7, 1, v6
	v_cmp_le_u32_e32 vcc_lo, s36, v4
	s_delay_alu instid0(VALU_DEP_2) | instskip(NEXT) | instid1(VALU_DEP_1)
	v_cndmask_b32_e32 v4, v6, v7, vcc_lo
	v_xor_b32_e32 v4, v4, v5
	s_delay_alu instid0(VALU_DEP_1) | instskip(NEXT) | instid1(VALU_DEP_1)
	v_sub_nc_u32_e32 v8, v4, v5
	v_ashrrev_i32_e32 v9, 31, v8
	v_mad_u64_u32 v[4:5], null, s39, v8, v[2:3]
	v_mul_lo_u32 v10, v8, s7
	v_mad_u64_u32 v[6:7], null, v8, s6, 0
	s_delay_alu instid0(VALU_DEP_4) | instskip(SKIP_2) | instid1(VALU_DEP_3)
	v_mul_lo_u32 v8, v9, s6
	v_add_nc_u32_e32 v2, s38, v2
	v_ashrrev_i32_e32 v5, 31, v4
	v_add3_u32 v7, v7, v10, v8
	s_delay_alu instid0(VALU_DEP_2) | instskip(SKIP_1) | instid1(VALU_DEP_3)
	v_lshlrev_b64 v[8:9], 2, v[4:5]
	v_lshlrev_b64 v[4:5], 1, v[4:5]
	;; [unrolled: 1-line block ×3, first 2 shown]
	s_delay_alu instid0(VALU_DEP_3) | instskip(NEXT) | instid1(VALU_DEP_4)
	v_add_co_u32 v8, vcc_lo, s17, v8
	v_add_co_ci_u32_e32 v9, vcc_lo, s33, v9, vcc_lo
	s_delay_alu instid0(VALU_DEP_3) | instskip(NEXT) | instid1(VALU_DEP_4)
	v_add_co_u32 v11, vcc_lo, s34, v6
	v_add_co_ci_u32_e32 v12, vcc_lo, s35, v7, vcc_lo
	s_delay_alu instid0(VALU_DEP_4) | instskip(NEXT) | instid1(VALU_DEP_4)
	v_add_co_u32 v6, vcc_lo, v8, s4
	v_add_co_ci_u32_e32 v7, vcc_lo, s5, v9, vcc_lo
	s_delay_alu instid0(VALU_DEP_4) | instskip(NEXT) | instid1(VALU_DEP_4)
	v_add_co_u32 v4, vcc_lo, v11, v4
	v_add_co_ci_u32_e32 v5, vcc_lo, v12, v5, vcc_lo
	s_clause 0x1
	global_load_b32 v10, v[8:9], off
	global_load_b32 v8, v[6:7], off
	v_add_co_u32 v6, vcc_lo, v4, s28
	v_add_co_ci_u32_e32 v7, vcc_lo, s29, v5, vcc_lo
	s_clause 0x1
	global_load_u16 v9, v[4:5], off
	global_load_u16 v11, v[6:7], off
	v_cmp_le_i32_e32 vcc_lo, s30, v2
	s_or_b32 s37, vcc_lo, s37
	s_waitcnt vmcnt(3)
	v_cvt_f16_f32_e32 v10, v10
	s_waitcnt vmcnt(2)
	v_cvt_f16_f32_e32 v8, v8
	s_waitcnt vmcnt(0)
	s_delay_alu instid0(VALU_DEP_1) | instskip(SKIP_1) | instid1(VALU_DEP_2)
	v_mul_f16_e32 v12, v11, v8
	v_mul_f16_e32 v11, v11, v10
	v_fma_f16 v10, v9, v10, -v12
	s_delay_alu instid0(VALU_DEP_2)
	v_fmac_f16_e32 v11, v9, v8
	s_clause 0x1
	global_store_b16 v[4:5], v10, off
	global_store_b16 v[6:7], v11, off
	s_and_not1_b32 exec_lo, exec_lo, s37
	s_cbranch_execnz .LBB6_3
.LBB6_4:
	s_or_b32 exec_lo, exec_lo, s31
	s_load_b128 s[4:7], s[2:3], 0x68
	s_waitcnt lgkmcnt(0)
	s_ashr_i32 s31, s7, 31
	s_mov_b32 s30, s7
	s_delay_alu instid0(SALU_CYCLE_1) | instskip(SKIP_1) | instid1(SALU_CYCLE_1)
	s_or_b64 s[34:35], s[26:27], s[30:31]
	s_mov_b32 s34, 0
	s_cmp_lg_u64 s[34:35], 0
	s_cbranch_scc0 .LBB6_14
; %bb.5:
	s_add_u32 s36, s30, s31
	s_mov_b32 s28, s31
	s_mov_b32 s29, s31
	s_addc_u32 s37, s31, s31
	s_delay_alu instid0(SALU_CYCLE_1) | instskip(NEXT) | instid1(SALU_CYCLE_1)
	s_xor_b64 s[36:37], s[36:37], s[28:29]
	v_cvt_f32_u32_e32 v2, s36
	v_cvt_f32_u32_e32 v3, s37
	s_sub_u32 s35, 0, s36
	s_subb_u32 s38, 0, s37
	s_delay_alu instid0(VALU_DEP_1) | instskip(NEXT) | instid1(VALU_DEP_1)
	v_fmamk_f32 v2, v3, 0x4f800000, v2
	v_rcp_f32_e32 v2, v2
	s_waitcnt_depctr 0xfff
	v_mul_f32_e32 v2, 0x5f7ffffc, v2
	s_delay_alu instid0(VALU_DEP_1) | instskip(NEXT) | instid1(VALU_DEP_1)
	v_mul_f32_e32 v3, 0x2f800000, v2
	v_trunc_f32_e32 v3, v3
	s_delay_alu instid0(VALU_DEP_1) | instskip(SKIP_1) | instid1(VALU_DEP_2)
	v_fmamk_f32 v2, v3, 0xcf800000, v2
	v_cvt_u32_f32_e32 v3, v3
	v_cvt_u32_f32_e32 v2, v2
	s_delay_alu instid0(VALU_DEP_2) | instskip(NEXT) | instid1(VALU_DEP_2)
	v_readfirstlane_b32 s7, v3
	v_readfirstlane_b32 s21, v2
	s_delay_alu instid0(VALU_DEP_2) | instskip(NEXT) | instid1(VALU_DEP_1)
	s_mul_i32 s39, s35, s7
	s_mul_hi_u32 s41, s35, s21
	s_mul_i32 s40, s38, s21
	s_add_i32 s39, s41, s39
	s_mul_i32 s42, s35, s21
	s_add_i32 s39, s39, s40
	s_mul_hi_u32 s41, s21, s42
	s_mul_hi_u32 s43, s7, s42
	s_mul_i32 s40, s7, s42
	s_mul_hi_u32 s42, s21, s39
	s_mul_i32 s21, s21, s39
	s_mul_hi_u32 s44, s7, s39
	s_add_u32 s21, s41, s21
	s_addc_u32 s41, 0, s42
	s_add_u32 s21, s21, s40
	s_mul_i32 s39, s7, s39
	s_addc_u32 s21, s41, s43
	s_addc_u32 s40, s44, 0
	s_add_u32 s21, s21, s39
	s_addc_u32 s39, 0, s40
	v_add_co_u32 v2, s21, v2, s21
	s_delay_alu instid0(VALU_DEP_1) | instskip(SKIP_1) | instid1(VALU_DEP_1)
	s_cmp_lg_u32 s21, 0
	s_addc_u32 s7, s7, s39
	v_readfirstlane_b32 s21, v2
	s_mul_i32 s39, s35, s7
	s_delay_alu instid0(VALU_DEP_1)
	s_mul_hi_u32 s40, s35, s21
	s_mul_i32 s38, s38, s21
	s_add_i32 s39, s40, s39
	s_mul_i32 s35, s35, s21
	s_add_i32 s39, s39, s38
	s_mul_hi_u32 s40, s7, s35
	s_mul_i32 s41, s7, s35
	s_mul_hi_u32 s35, s21, s35
	s_mul_hi_u32 s42, s21, s39
	s_mul_i32 s21, s21, s39
	s_mul_hi_u32 s38, s7, s39
	s_add_u32 s21, s35, s21
	s_addc_u32 s35, 0, s42
	s_add_u32 s21, s21, s41
	s_mul_i32 s39, s7, s39
	s_addc_u32 s21, s35, s40
	s_addc_u32 s35, s38, 0
	s_add_u32 s21, s21, s39
	s_addc_u32 s35, 0, s35
	v_add_co_u32 v2, s21, v2, s21
	s_delay_alu instid0(VALU_DEP_1) | instskip(SKIP_2) | instid1(VALU_DEP_1)
	s_cmp_lg_u32 s21, 0
	s_addc_u32 s7, s7, s35
	s_ashr_i32 s38, s27, 31
	v_readfirstlane_b32 s21, v2
	s_add_u32 s40, s26, s38
	s_mov_b32 s39, s38
	s_addc_u32 s41, s27, s38
	s_delay_alu instid0(SALU_CYCLE_1) | instskip(NEXT) | instid1(SALU_CYCLE_1)
	s_xor_b64 s[40:41], s[40:41], s[38:39]
	s_mul_i32 s42, s40, s7
	s_mul_hi_u32 s43, s40, s21
	s_mul_hi_u32 s35, s40, s7
	;; [unrolled: 1-line block ×3, first 2 shown]
	s_mul_i32 s21, s41, s21
	s_add_u32 s42, s43, s42
	s_addc_u32 s35, 0, s35
	s_mul_hi_u32 s44, s41, s7
	s_add_u32 s21, s42, s21
	s_mul_i32 s7, s41, s7
	s_addc_u32 s21, s35, s45
	s_addc_u32 s35, s44, 0
	s_add_u32 s7, s21, s7
	s_addc_u32 s21, 0, s35
	s_mul_i32 s44, s36, s7
	s_mul_hi_u32 s35, s36, s7
	s_mul_i32 s43, s36, s21
	v_sub_co_u32 v2, s40, s40, s44
	s_mul_i32 s42, s37, s7
	s_add_i32 s35, s35, s43
	s_delay_alu instid0(SALU_CYCLE_1) | instskip(NEXT) | instid1(VALU_DEP_1)
	s_add_i32 s35, s35, s42
	v_sub_co_u32 v3, s43, v2, s36
	s_sub_i32 s42, s41, s35
	s_cmp_lg_u32 s40, 0
	s_subb_u32 s42, s42, s37
	s_cmp_lg_u32 s43, 0
	v_readfirstlane_b32 s43, v3
	s_subb_u32 s42, s42, 0
	s_delay_alu instid0(SALU_CYCLE_1) | instskip(SKIP_1) | instid1(VALU_DEP_1)
	s_cmp_ge_u32 s42, s37
	s_cselect_b32 s44, -1, 0
	s_cmp_ge_u32 s43, s36
	s_cselect_b32 s43, -1, 0
	s_cmp_eq_u32 s42, s37
	s_cselect_b32 s42, s43, s44
	s_add_u32 s43, s7, 1
	s_addc_u32 s44, s21, 0
	s_add_u32 s45, s7, 2
	s_addc_u32 s46, s21, 0
	s_cmp_lg_u32 s42, 0
	s_cselect_b32 s42, s45, s43
	s_cselect_b32 s43, s46, s44
	s_cmp_lg_u32 s40, 0
	v_readfirstlane_b32 s40, v2
	s_subb_u32 s35, s41, s35
	s_delay_alu instid0(SALU_CYCLE_1) | instskip(SKIP_1) | instid1(VALU_DEP_1)
	s_cmp_ge_u32 s35, s37
	s_cselect_b32 s41, -1, 0
	s_cmp_ge_u32 s40, s36
	s_cselect_b32 s36, -1, 0
	s_cmp_eq_u32 s35, s37
	s_cselect_b32 s35, s36, s41
	s_delay_alu instid0(SALU_CYCLE_1) | instskip(SKIP_3) | instid1(SALU_CYCLE_1)
	s_cmp_lg_u32 s35, 0
	s_cselect_b32 s37, s43, s21
	s_cselect_b32 s36, s42, s7
	s_xor_b64 s[28:29], s[38:39], s[28:29]
	s_xor_b64 s[36:37], s[36:37], s[28:29]
	s_delay_alu instid0(SALU_CYCLE_1)
	s_sub_u32 s28, s36, s28
	s_subb_u32 s29, s37, s29
	s_and_not1_b32 vcc_lo, exec_lo, s34
	s_cbranch_vccnz .LBB6_7
.LBB6_6:
	v_cvt_f32_u32_e32 v2, s30
	s_sub_i32 s21, 0, s30
	s_delay_alu instid0(VALU_DEP_1) | instskip(SKIP_2) | instid1(VALU_DEP_1)
	v_rcp_iflag_f32_e32 v2, v2
	s_waitcnt_depctr 0xfff
	v_mul_f32_e32 v2, 0x4f7ffffe, v2
	v_cvt_u32_f32_e32 v2, v2
	s_delay_alu instid0(VALU_DEP_1) | instskip(NEXT) | instid1(VALU_DEP_1)
	v_readfirstlane_b32 s7, v2
	s_mul_i32 s21, s21, s7
	s_delay_alu instid0(SALU_CYCLE_1) | instskip(NEXT) | instid1(SALU_CYCLE_1)
	s_mul_hi_u32 s21, s7, s21
	s_add_i32 s7, s7, s21
	s_delay_alu instid0(SALU_CYCLE_1) | instskip(NEXT) | instid1(SALU_CYCLE_1)
	s_mul_hi_u32 s7, s26, s7
	s_mul_i32 s21, s7, s30
	s_add_i32 s28, s7, 1
	s_sub_i32 s21, s26, s21
	s_delay_alu instid0(SALU_CYCLE_1)
	s_sub_i32 s29, s21, s30
	s_cmp_ge_u32 s21, s30
	s_cselect_b32 s7, s28, s7
	s_cselect_b32 s21, s29, s21
	s_add_i32 s28, s7, 1
	s_cmp_ge_u32 s21, s30
	s_mov_b32 s29, 0
	s_cselect_b32 s28, s28, s7
.LBB6_7:
	s_delay_alu instid0(SALU_CYCLE_1)
	s_mul_i32 s7, s28, s31
	s_mul_hi_u32 s21, s28, s30
	s_mul_hi_u32 s36, s28, s4
	s_add_i32 s7, s21, s7
	s_mul_i32 s21, s29, s30
	s_mul_i32 s30, s28, s30
	s_add_i32 s7, s7, s21
	s_sub_u32 s34, s26, s30
	s_subb_u32 s35, s27, s7
	s_mul_i32 s37, s29, s4
	s_mul_i32 s30, s28, s4
	s_mul_hi_u32 s29, s34, s5
	s_mul_i32 s35, s35, s5
	s_mul_i32 s26, s34, s5
	s_mov_b32 s38, exec_lo
	v_cmpx_gt_i32_e64 s20, v1
	s_cbranch_execz .LBB6_10
; %bb.8:
	s_load_b64 s[40:41], s[0:1], 0x4
	s_load_b32 s39, s[2:3], 0x8c
	s_ashr_i32 s0, s4, 31
	s_ashr_i32 s1, s5, 31
	s_mul_i32 s0, s28, s0
	s_mul_i32 s1, s34, s1
	s_add_i32 s0, s36, s0
	s_add_i32 s1, s29, s1
	;; [unrolled: 1-line block ×4, first 2 shown]
	s_lshl_b64 s[0:1], s[30:31], 2
	s_lshl_b64 s[42:43], s[26:27], 2
	s_ashr_i32 s21, s20, 31
	v_bfe_u32 v2, v0, 10, 10
	v_bfe_u32 v3, v0, 20, 10
	s_mul_i32 s9, s9, s16
	v_lshlrev_b32_e32 v0, 2, v1
	v_mov_b32_e32 v6, v1
	s_waitcnt lgkmcnt(0)
	s_lshr_b32 s7, s40, 16
	s_add_u32 s0, s0, s42
	s_mul_i32 s7, s7, s41
	s_addc_u32 s46, s1, s43
	s_add_u32 s1, s0, s18
	v_mul_lo_u32 v4, s7, v1
	s_addc_u32 s27, s46, s19
	s_ashr_i32 s7, s6, 31
	s_mul_hi_u32 s40, s8, s16
	s_lshl_b64 s[42:43], s[6:7], 2
	s_mul_i32 s8, s8, s16
	s_add_u32 s1, s1, s42
	s_addc_u32 s7, s27, s43
	s_and_b32 s27, s39, 0xffff
	s_lshl_b64 s[44:45], s[20:21], 2
	v_mad_u32_u24 v2, v2, s41, v4
	s_lshl_b32 s31, s27, 2
	s_add_u32 s24, s24, s44
	s_addc_u32 s25, s25, s45
	s_add_u32 s22, s22, s24
	s_addc_u32 s23, s23, s25
	s_add_i32 s9, s40, s9
	v_add_lshl_u32 v4, v2, v3, 1
	v_lshlrev_b32_e32 v2, 1, v1
	s_lshl_b64 s[40:41], s[8:9], 1
	s_lshl_b64 s[8:9], s[20:21], 1
	s_add_u32 s12, s12, s40
	s_addc_u32 s13, s13, s41
	v_add_co_u32 v2, s12, s12, v2
	s_delay_alu instid0(VALU_DEP_1)
	v_add_co_ci_u32_e64 v3, null, s13, 0, s12
	s_lshl_b32 s12, s27, 1
	s_add_u32 s0, s0, s44
	s_addc_u32 s13, s46, s45
	v_add_nc_u32_e32 v5, 0x800, v4
	s_add_u32 s0, s0, s42
	s_addc_u32 s21, s13, s43
	s_add_u32 s13, s18, s0
	s_mov_b32 s24, 0
	s_addc_u32 s21, s19, s21
.LBB6_9:                                ; =>This Inner Loop Header: Depth=1
	v_add_co_u32 v7, s0, s17, v0
	s_delay_alu instid0(VALU_DEP_1) | instskip(SKIP_1) | instid1(VALU_DEP_1)
	v_add_co_ci_u32_e64 v8, null, s33, 0, s0
	v_add_co_u32 v9, s0, s22, v0
	v_add_co_ci_u32_e64 v10, null, s23, 0, s0
	v_add_co_u32 v11, vcc_lo, v2, s8
	v_add_co_ci_u32_e32 v12, vcc_lo, s9, v3, vcc_lo
	global_load_b32 v9, v[9:10], off
	global_load_b32 v7, v[7:8], off
	s_clause 0x1
	global_load_u16 v10, v[2:3], off
	global_load_u16 v8, v[11:12], off
	v_add_nc_u32_e32 v6, s27, v6
	s_add_u32 s17, s17, s31
	s_addc_u32 s33, s33, 0
	s_add_u32 s22, s22, s31
	s_addc_u32 s23, s23, 0
	v_cmp_le_i32_e32 vcc_lo, s20, v6
	s_waitcnt vmcnt(3)
	v_cvt_f16_f32_e32 v9, v9
	s_waitcnt vmcnt(2)
	v_cvt_f16_f32_e32 v13, v7
	v_add_co_u32 v7, s0, s1, v0
	s_waitcnt vmcnt(0)
	v_mul_f16_e32 v14, v8, v9
	s_delay_alu instid0(VALU_DEP_3) | instskip(SKIP_1) | instid1(VALU_DEP_3)
	v_mul_f16_e32 v15, v8, v13
	v_add_co_ci_u32_e64 v8, null, s7, 0, s0
	v_fma_f16 v13, v10, v13, -v14
	s_delay_alu instid0(VALU_DEP_3)
	v_fmac_f16_e32 v15, v10, v9
	ds_store_b16 v5, v13
	ds_store_b16 v4, v15
	ds_load_b32 v14, v5
	ds_load_b32 v16, v4
	v_add_co_u32 v9, s0, s13, v0
	s_delay_alu instid0(VALU_DEP_1)
	v_add_co_ci_u32_e64 v10, null, s21, 0, s0
	global_store_b16 v[2:3], v13, off
	v_add_co_u32 v2, s0, v2, s12
	s_add_u32 s13, s13, s31
	s_addc_u32 s21, s21, 0
	v_add_co_ci_u32_e64 v3, s0, 0, v3, s0
	s_add_u32 s1, s1, s31
	s_addc_u32 s7, s7, 0
	s_or_b32 s24, vcc_lo, s24
	global_store_b16 v[11:12], v15, off
	s_waitcnt lgkmcnt(1)
	global_store_b32 v[7:8], v14, off
	s_waitcnt lgkmcnt(0)
	global_store_b32 v[9:10], v16, off
	s_and_not1_b32 exec_lo, exec_lo, s24
	s_cbranch_execnz .LBB6_9
.LBB6_10:
	s_or_b32 exec_lo, exec_lo, s38
	s_delay_alu instid0(SALU_CYCLE_1)
	s_mov_b32 s0, exec_lo
	v_cmpx_gt_i32_e64 s6, v1
	s_cbranch_execz .LBB6_13
; %bb.11:
	s_mul_i32 s1, s16, s11
	s_mul_hi_u32 s7, s16, s10
	s_mul_i32 s0, s16, s10
	s_add_i32 s1, s7, s1
	s_delay_alu instid0(SALU_CYCLE_1) | instskip(NEXT) | instid1(SALU_CYCLE_1)
	s_lshl_b64 s[8:9], s[0:1], 1
	s_add_u32 s1, s14, s8
	s_addc_u32 s7, s15, s9
	s_ashr_i32 s0, s4, 31
	s_load_b32 s4, s[2:3], 0x8c
	s_mul_i32 s0, s28, s0
	s_delay_alu instid0(SALU_CYCLE_1) | instskip(NEXT) | instid1(SALU_CYCLE_1)
	s_add_i32 s0, s36, s0
	s_add_i32 s31, s0, s37
	s_delay_alu instid0(SALU_CYCLE_1) | instskip(NEXT) | instid1(SALU_CYCLE_1)
	s_lshl_b64 s[2:3], s[30:31], 2
	s_add_u32 s0, s18, s2
	s_addc_u32 s8, s19, s3
	s_ashr_i32 s2, s5, 31
	s_mov_b32 s5, 0
	s_mul_i32 s34, s34, s2
	s_delay_alu instid0(SALU_CYCLE_1) | instskip(NEXT) | instid1(SALU_CYCLE_1)
	s_add_i32 s2, s29, s34
	s_add_i32 s27, s2, s35
	s_delay_alu instid0(SALU_CYCLE_1) | instskip(NEXT) | instid1(SALU_CYCLE_1)
	s_lshl_b64 s[2:3], s[26:27], 2
	s_add_u32 s2, s0, s2
	s_addc_u32 s3, s8, s3
	s_waitcnt lgkmcnt(0)
	s_and_b32 s4, s4, 0xffff
	.p2align	6
.LBB6_12:                               ; =>This Inner Loop Header: Depth=1
	v_ashrrev_i32_e32 v2, 31, v1
	s_delay_alu instid0(VALU_DEP_1) | instskip(NEXT) | instid1(VALU_DEP_1)
	v_lshlrev_b64 v[3:4], 1, v[1:2]
	v_add_co_u32 v3, vcc_lo, s1, v3
	s_delay_alu instid0(VALU_DEP_2) | instskip(SKIP_3) | instid1(VALU_DEP_1)
	v_add_co_ci_u32_e32 v4, vcc_lo, s7, v4, vcc_lo
	global_load_b32 v0, v[3:4], off
	v_lshlrev_b64 v[2:3], 2, v[1:2]
	v_add_nc_u32_e32 v1, s4, v1
	v_cmp_le_i32_e32 vcc_lo, s6, v1
	s_delay_alu instid0(VALU_DEP_3) | instskip(NEXT) | instid1(VALU_DEP_1)
	v_add_co_u32 v2, s0, s2, v2
	v_add_co_ci_u32_e64 v3, s0, s3, v3, s0
	s_or_b32 s5, vcc_lo, s5
	s_waitcnt vmcnt(0)
	global_store_b32 v[2:3], v0, off
	s_and_not1_b32 exec_lo, exec_lo, s5
	s_cbranch_execnz .LBB6_12
.LBB6_13:
	s_nop 0
	s_sendmsg sendmsg(MSG_DEALLOC_VGPRS)
	s_endpgm
.LBB6_14:
                                        ; implicit-def: $sgpr28_sgpr29
	s_branch .LBB6_6
	.section	.rodata,"a",@progbits
	.p2align	6, 0x0
	.amdhsa_kernel _ZN4vllm38concat_and_cache_mla_rope_fused_kernelIN3c104HalfEfLb1EffLNS_18Fp8KVCacheDataTypeE0EEEvPKlPT_S7_PKS6_PKT0_illlliPT3_S5_iiiiPKf
		.amdhsa_group_segment_fixed_size 4096
		.amdhsa_private_segment_fixed_size 0
		.amdhsa_kernarg_size 384
		.amdhsa_user_sgpr_count 15
		.amdhsa_user_sgpr_dispatch_ptr 1
		.amdhsa_user_sgpr_queue_ptr 0
		.amdhsa_user_sgpr_kernarg_segment_ptr 1
		.amdhsa_user_sgpr_dispatch_id 0
		.amdhsa_user_sgpr_private_segment_size 0
		.amdhsa_wavefront_size32 1
		.amdhsa_uses_dynamic_stack 0
		.amdhsa_enable_private_segment 0
		.amdhsa_system_sgpr_workgroup_id_x 1
		.amdhsa_system_sgpr_workgroup_id_y 0
		.amdhsa_system_sgpr_workgroup_id_z 0
		.amdhsa_system_sgpr_workgroup_info 0
		.amdhsa_system_vgpr_workitem_id 2
		.amdhsa_next_free_vgpr 17
		.amdhsa_next_free_sgpr 47
		.amdhsa_reserve_vcc 1
		.amdhsa_float_round_mode_32 0
		.amdhsa_float_round_mode_16_64 0
		.amdhsa_float_denorm_mode_32 3
		.amdhsa_float_denorm_mode_16_64 3
		.amdhsa_dx10_clamp 1
		.amdhsa_ieee_mode 1
		.amdhsa_fp16_overflow 0
		.amdhsa_workgroup_processor_mode 1
		.amdhsa_memory_ordered 1
		.amdhsa_forward_progress 0
		.amdhsa_shared_vgpr_count 0
		.amdhsa_exception_fp_ieee_invalid_op 0
		.amdhsa_exception_fp_denorm_src 0
		.amdhsa_exception_fp_ieee_div_zero 0
		.amdhsa_exception_fp_ieee_overflow 0
		.amdhsa_exception_fp_ieee_underflow 0
		.amdhsa_exception_fp_ieee_inexact 0
		.amdhsa_exception_int_div_zero 0
	.end_amdhsa_kernel
	.section	.text._ZN4vllm38concat_and_cache_mla_rope_fused_kernelIN3c104HalfEfLb1EffLNS_18Fp8KVCacheDataTypeE0EEEvPKlPT_S7_PKS6_PKT0_illlliPT3_S5_iiiiPKf,"axG",@progbits,_ZN4vllm38concat_and_cache_mla_rope_fused_kernelIN3c104HalfEfLb1EffLNS_18Fp8KVCacheDataTypeE0EEEvPKlPT_S7_PKS6_PKT0_illlliPT3_S5_iiiiPKf,comdat
.Lfunc_end6:
	.size	_ZN4vllm38concat_and_cache_mla_rope_fused_kernelIN3c104HalfEfLb1EffLNS_18Fp8KVCacheDataTypeE0EEEvPKlPT_S7_PKS6_PKT0_illlliPT3_S5_iiiiPKf, .Lfunc_end6-_ZN4vllm38concat_and_cache_mla_rope_fused_kernelIN3c104HalfEfLb1EffLNS_18Fp8KVCacheDataTypeE0EEEvPKlPT_S7_PKS6_PKT0_illlliPT3_S5_iiiiPKf
                                        ; -- End function
	.section	.AMDGPU.csdata,"",@progbits
; Kernel info:
; codeLenInByte = 2492
; NumSgprs: 49
; NumVgprs: 17
; ScratchSize: 0
; MemoryBound: 0
; FloatMode: 240
; IeeeMode: 1
; LDSByteSize: 4096 bytes/workgroup (compile time only)
; SGPRBlocks: 6
; VGPRBlocks: 2
; NumSGPRsForWavesPerEU: 49
; NumVGPRsForWavesPerEU: 17
; Occupancy: 16
; WaveLimiterHint : 1
; COMPUTE_PGM_RSRC2:SCRATCH_EN: 0
; COMPUTE_PGM_RSRC2:USER_SGPR: 15
; COMPUTE_PGM_RSRC2:TRAP_HANDLER: 0
; COMPUTE_PGM_RSRC2:TGID_X_EN: 1
; COMPUTE_PGM_RSRC2:TGID_Y_EN: 0
; COMPUTE_PGM_RSRC2:TGID_Z_EN: 0
; COMPUTE_PGM_RSRC2:TIDIG_COMP_CNT: 2
	.section	.text._ZN4vllm38concat_and_cache_mla_rope_fused_kernelIN3c104HalfEfLb0EffLNS_18Fp8KVCacheDataTypeE0EEEvPKlPT_S7_PKS6_PKT0_illlliPT3_S5_iiiiPKf,"axG",@progbits,_ZN4vllm38concat_and_cache_mla_rope_fused_kernelIN3c104HalfEfLb0EffLNS_18Fp8KVCacheDataTypeE0EEEvPKlPT_S7_PKS6_PKT0_illlliPT3_S5_iiiiPKf,comdat
	.protected	_ZN4vllm38concat_and_cache_mla_rope_fused_kernelIN3c104HalfEfLb0EffLNS_18Fp8KVCacheDataTypeE0EEEvPKlPT_S7_PKS6_PKT0_illlliPT3_S5_iiiiPKf ; -- Begin function _ZN4vllm38concat_and_cache_mla_rope_fused_kernelIN3c104HalfEfLb0EffLNS_18Fp8KVCacheDataTypeE0EEEvPKlPT_S7_PKS6_PKT0_illlliPT3_S5_iiiiPKf
	.globl	_ZN4vllm38concat_and_cache_mla_rope_fused_kernelIN3c104HalfEfLb0EffLNS_18Fp8KVCacheDataTypeE0EEEvPKlPT_S7_PKS6_PKT0_illlliPT3_S5_iiiiPKf
	.p2align	8
	.type	_ZN4vllm38concat_and_cache_mla_rope_fused_kernelIN3c104HalfEfLb0EffLNS_18Fp8KVCacheDataTypeE0EEEvPKlPT_S7_PKS6_PKT0_illlliPT3_S5_iiiiPKf,@function
_ZN4vllm38concat_and_cache_mla_rope_fused_kernelIN3c104HalfEfLb0EffLNS_18Fp8KVCacheDataTypeE0EEEvPKlPT_S7_PKS6_PKT0_illlliPT3_S5_iiiiPKf: ; @_ZN4vllm38concat_and_cache_mla_rope_fused_kernelIN3c104HalfEfLb0EffLNS_18Fp8KVCacheDataTypeE0EEEvPKlPT_S7_PKS6_PKT0_illlliPT3_S5_iiiiPKf
; %bb.0:
	s_load_b64 s[6:7], s[2:3], 0x60
	s_mov_b32 s16, s15
	s_mov_b32 s17, 0
	s_delay_alu instid0(SALU_CYCLE_1)
	s_lshl_b64 s[4:5], s[16:17], 3
	s_waitcnt lgkmcnt(0)
	s_add_u32 s6, s6, s4
	s_addc_u32 s7, s7, s5
	s_load_b64 s[24:25], s[6:7], 0x0
	s_waitcnt lgkmcnt(0)
	v_cmp_lt_i64_e64 s6, s[24:25], 0
	s_delay_alu instid0(VALU_DEP_1)
	s_and_b32 vcc_lo, exec_lo, s6
	s_cbranch_vccnz .LBB7_13
; %bb.1:
	s_clause 0x3
	s_load_b32 s21, s[2:3], 0x28
	s_load_b64 s[6:7], s[2:3], 0x0
	s_load_b128 s[12:15], s[2:3], 0x10
	s_load_b32 s17, s[2:3], 0x50
	v_and_b32_e32 v1, 0x3ff, v0
	s_waitcnt lgkmcnt(0)
	s_ashr_i32 s28, s21, 31
	s_add_u32 s4, s6, s4
	s_addc_u32 s5, s7, s5
	s_lshr_b32 s20, s21, 31
	s_load_b64 s[26:27], s[4:5], 0x0
	s_clause 0x2
	s_load_b64 s[22:23], s[2:3], 0x20
	s_load_b64 s[18:19], s[2:3], 0x58
	s_load_b256 s[4:11], s[2:3], 0x30
	s_add_i32 s20, s21, s20
	s_delay_alu instid0(SALU_CYCLE_1) | instskip(NEXT) | instid1(SALU_CYCLE_1)
	s_ashr_i32 s20, s20, 1
	s_mul_i32 s17, s20, s17
	s_waitcnt lgkmcnt(0)
	s_mul_i32 s28, s26, s28
	s_mul_hi_u32 s29, s26, s21
	s_mul_i32 s27, s27, s21
	s_add_i32 s28, s29, s28
	s_mul_i32 s26, s26, s21
	s_add_i32 s27, s28, s27
	s_mov_b32 s28, exec_lo
	v_cmpx_gt_i32_e64 s17, v1
	s_cbranch_execz .LBB7_4
; %bb.2:
	s_clause 0x1
	s_load_b64 s[34:35], s[2:3], 0x8
	s_load_b32 s36, s[2:3], 0x8c
	s_lshl_b64 s[30:31], s[26:27], 2
	s_mul_i32 s5, s16, s5
	s_mul_hi_u32 s21, s16, s4
	s_add_u32 s29, s22, s30
	s_mul_i32 s4, s16, s4
	s_addc_u32 s30, s23, s31
	s_add_i32 s5, s21, s5
	s_ashr_i32 s21, s20, 31
	s_lshl_b64 s[4:5], s[4:5], 1
	s_waitcnt lgkmcnt(0)
	s_add_u32 s31, s34, s4
	s_addc_u32 s33, s35, s5
	s_abs_i32 s34, s20
	s_and_b32 s36, s36, 0xffff
	v_cvt_f32_u32_e32 v2, s34
	s_sub_i32 s4, 0, s34
	s_mov_b32 s35, 0
	s_sub_i32 s37, 0, s20
	s_lshl_b32 s39, s36, 1
	v_rcp_iflag_f32_e32 v2, v2
	s_waitcnt_depctr 0xfff
	v_mul_f32_e32 v2, 0x4f7ffffe, v2
	s_delay_alu instid0(VALU_DEP_1) | instskip(NEXT) | instid1(VALU_DEP_1)
	v_cvt_u32_f32_e32 v3, v2
	v_mul_lo_u32 v2, s4, v3
	s_lshl_b32 s4, s20, 1
	s_delay_alu instid0(SALU_CYCLE_1) | instskip(SKIP_1) | instid1(VALU_DEP_1)
	s_sub_i32 s38, 0, s4
	s_lshl_b64 s[4:5], s[20:21], 2
	v_mul_hi_u32 v4, v3, v2
	v_lshlrev_b32_e32 v2, 1, v1
	s_delay_alu instid0(VALU_DEP_2)
	v_dual_mov_b32 v3, v1 :: v_dual_add_nc_u32 v4, v3, v4
.LBB7_3:                                ; =>This Inner Loop Header: Depth=1
	s_delay_alu instid0(VALU_DEP_1) | instskip(SKIP_1) | instid1(VALU_DEP_2)
	v_sub_nc_u32_e32 v5, 0, v3
	v_ashrrev_i32_e32 v6, 31, v3
	v_max_i32_e32 v5, v3, v5
	s_delay_alu instid0(VALU_DEP_2) | instskip(NEXT) | instid1(VALU_DEP_2)
	v_xor_b32_e32 v6, s21, v6
	v_mul_hi_u32 v7, v5, v4
	s_delay_alu instid0(VALU_DEP_1) | instskip(SKIP_1) | instid1(VALU_DEP_2)
	v_mul_lo_u32 v8, v7, s34
	v_add_nc_u32_e32 v9, 1, v7
	v_sub_nc_u32_e32 v5, v5, v8
	s_delay_alu instid0(VALU_DEP_1) | instskip(SKIP_1) | instid1(VALU_DEP_4)
	v_subrev_nc_u32_e32 v8, s34, v5
	v_cmp_le_u32_e32 vcc_lo, s34, v5
	v_cndmask_b32_e32 v7, v7, v9, vcc_lo
	s_delay_alu instid0(VALU_DEP_1) | instskip(NEXT) | instid1(VALU_DEP_1)
	v_dual_cndmask_b32 v5, v5, v8 :: v_dual_add_nc_u32 v8, 1, v7
	v_cmp_le_u32_e32 vcc_lo, s34, v5
	s_delay_alu instid0(VALU_DEP_2) | instskip(NEXT) | instid1(VALU_DEP_1)
	v_cndmask_b32_e32 v5, v7, v8, vcc_lo
	v_xor_b32_e32 v5, v5, v6
	s_delay_alu instid0(VALU_DEP_1) | instskip(NEXT) | instid1(VALU_DEP_1)
	v_sub_nc_u32_e32 v11, v5, v6
	v_mad_u64_u32 v[5:6], null, s37, v11, v[3:4]
	v_ashrrev_i32_e32 v6, 31, v11
	v_mul_lo_u32 v12, v11, s7
	v_mad_u64_u32 v[7:8], null, v11, s6, 0
	v_mad_u64_u32 v[9:10], null, s38, v11, v[2:3]
	s_delay_alu instid0(VALU_DEP_4) | instskip(SKIP_3) | instid1(VALU_DEP_3)
	v_mul_lo_u32 v11, v6, s6
	v_ashrrev_i32_e32 v6, 31, v5
	v_add_nc_u32_e32 v3, s36, v3
	v_add_nc_u32_e32 v2, s39, v2
	v_lshlrev_b64 v[5:6], 2, v[5:6]
	v_ashrrev_i32_e32 v10, 31, v9
	v_add3_u32 v8, v8, v12, v11
	s_delay_alu instid0(VALU_DEP_3) | instskip(NEXT) | instid1(VALU_DEP_2)
	v_add_co_u32 v5, vcc_lo, s29, v5
	v_lshlrev_b64 v[7:8], 1, v[7:8]
	v_add_co_ci_u32_e32 v6, vcc_lo, s30, v6, vcc_lo
	v_lshlrev_b64 v[9:10], 1, v[9:10]
	s_delay_alu instid0(VALU_DEP_3) | instskip(NEXT) | instid1(VALU_DEP_4)
	v_add_co_u32 v11, vcc_lo, s31, v7
	v_add_co_ci_u32_e32 v12, vcc_lo, s33, v8, vcc_lo
	v_add_co_u32 v7, vcc_lo, v5, s4
	v_add_co_ci_u32_e32 v8, vcc_lo, s5, v6, vcc_lo
	s_delay_alu instid0(VALU_DEP_4) | instskip(NEXT) | instid1(VALU_DEP_4)
	v_add_co_u32 v9, vcc_lo, v11, v9
	v_add_co_ci_u32_e32 v10, vcc_lo, v12, v10, vcc_lo
	s_clause 0x1
	global_load_b32 v5, v[5:6], off
	global_load_b32 v6, v[7:8], off
	global_load_b32 v7, v[9:10], off
	v_cmp_le_i32_e32 vcc_lo, s17, v3
	s_or_b32 s35, vcc_lo, s35
	s_waitcnt vmcnt(2)
	v_cvt_f16_f32_e32 v5, v5
	s_waitcnt vmcnt(1)
	v_cvt_f16_f32_e32 v6, v6
	s_waitcnt vmcnt(0)
	v_lshrrev_b32_e32 v8, 16, v7
	s_delay_alu instid0(VALU_DEP_1) | instskip(SKIP_1) | instid1(VALU_DEP_2)
	v_mul_f16_e32 v11, v8, v6
	v_mul_f16_e32 v8, v8, v5
	v_fma_f16 v5, v7, v5, -v11
	s_delay_alu instid0(VALU_DEP_2) | instskip(NEXT) | instid1(VALU_DEP_1)
	v_fmac_f16_e32 v8, v7, v6
	v_pack_b32_f16 v5, v5, v8
	global_store_b32 v[9:10], v5, off
	s_and_not1_b32 exec_lo, exec_lo, s35
	s_cbranch_execnz .LBB7_3
.LBB7_4:
	s_or_b32 exec_lo, exec_lo, s28
	s_load_b128 s[4:7], s[2:3], 0x68
	s_waitcnt lgkmcnt(0)
	s_ashr_i32 s31, s7, 31
	s_mov_b32 s30, s7
	s_delay_alu instid0(SALU_CYCLE_1) | instskip(SKIP_1) | instid1(SALU_CYCLE_1)
	s_or_b64 s[34:35], s[24:25], s[30:31]
	s_mov_b32 s34, 0
	s_cmp_lg_u64 s[34:35], 0
	s_cbranch_scc0 .LBB7_14
; %bb.5:
	s_add_u32 s36, s30, s31
	s_mov_b32 s28, s31
	s_mov_b32 s29, s31
	s_addc_u32 s37, s31, s31
	s_delay_alu instid0(SALU_CYCLE_1) | instskip(NEXT) | instid1(SALU_CYCLE_1)
	s_xor_b64 s[36:37], s[36:37], s[28:29]
	v_cvt_f32_u32_e32 v2, s36
	v_cvt_f32_u32_e32 v3, s37
	s_sub_u32 s21, 0, s36
	s_subb_u32 s33, 0, s37
	s_delay_alu instid0(VALU_DEP_1) | instskip(NEXT) | instid1(VALU_DEP_1)
	v_fmamk_f32 v2, v3, 0x4f800000, v2
	v_rcp_f32_e32 v2, v2
	s_waitcnt_depctr 0xfff
	v_mul_f32_e32 v2, 0x5f7ffffc, v2
	s_delay_alu instid0(VALU_DEP_1) | instskip(NEXT) | instid1(VALU_DEP_1)
	v_mul_f32_e32 v3, 0x2f800000, v2
	v_trunc_f32_e32 v3, v3
	s_delay_alu instid0(VALU_DEP_1) | instskip(SKIP_1) | instid1(VALU_DEP_2)
	v_fmamk_f32 v2, v3, 0xcf800000, v2
	v_cvt_u32_f32_e32 v3, v3
	v_cvt_u32_f32_e32 v2, v2
	s_delay_alu instid0(VALU_DEP_2) | instskip(NEXT) | instid1(VALU_DEP_2)
	v_readfirstlane_b32 s7, v3
	v_readfirstlane_b32 s17, v2
	s_delay_alu instid0(VALU_DEP_2) | instskip(NEXT) | instid1(VALU_DEP_1)
	s_mul_i32 s35, s21, s7
	s_mul_hi_u32 s39, s21, s17
	s_mul_i32 s38, s33, s17
	s_add_i32 s35, s39, s35
	s_mul_i32 s40, s21, s17
	s_add_i32 s35, s35, s38
	s_mul_hi_u32 s39, s17, s40
	s_mul_hi_u32 s41, s7, s40
	s_mul_i32 s38, s7, s40
	s_mul_hi_u32 s40, s17, s35
	s_mul_i32 s17, s17, s35
	s_mul_hi_u32 s42, s7, s35
	s_add_u32 s17, s39, s17
	s_addc_u32 s39, 0, s40
	s_add_u32 s17, s17, s38
	s_mul_i32 s35, s7, s35
	s_addc_u32 s17, s39, s41
	s_addc_u32 s38, s42, 0
	s_add_u32 s17, s17, s35
	s_addc_u32 s35, 0, s38
	v_add_co_u32 v2, s17, v2, s17
	s_delay_alu instid0(VALU_DEP_1) | instskip(SKIP_1) | instid1(VALU_DEP_1)
	s_cmp_lg_u32 s17, 0
	s_addc_u32 s7, s7, s35
	v_readfirstlane_b32 s17, v2
	s_mul_i32 s35, s21, s7
	s_delay_alu instid0(VALU_DEP_1)
	s_mul_hi_u32 s38, s21, s17
	s_mul_i32 s33, s33, s17
	s_add_i32 s35, s38, s35
	s_mul_i32 s21, s21, s17
	s_add_i32 s35, s35, s33
	s_mul_hi_u32 s38, s7, s21
	s_mul_i32 s39, s7, s21
	s_mul_hi_u32 s21, s17, s21
	s_mul_hi_u32 s40, s17, s35
	s_mul_i32 s17, s17, s35
	s_mul_hi_u32 s33, s7, s35
	s_add_u32 s17, s21, s17
	s_addc_u32 s21, 0, s40
	s_add_u32 s17, s17, s39
	s_mul_i32 s35, s7, s35
	s_addc_u32 s17, s21, s38
	s_addc_u32 s21, s33, 0
	s_add_u32 s17, s17, s35
	s_addc_u32 s21, 0, s21
	v_add_co_u32 v2, s17, v2, s17
	s_delay_alu instid0(VALU_DEP_1) | instskip(SKIP_2) | instid1(VALU_DEP_1)
	s_cmp_lg_u32 s17, 0
	s_addc_u32 s7, s7, s21
	s_ashr_i32 s38, s25, 31
	v_readfirstlane_b32 s17, v2
	s_add_u32 s40, s24, s38
	s_mov_b32 s39, s38
	s_addc_u32 s41, s25, s38
	s_delay_alu instid0(SALU_CYCLE_1) | instskip(NEXT) | instid1(SALU_CYCLE_1)
	s_xor_b64 s[40:41], s[40:41], s[38:39]
	s_mul_i32 s33, s40, s7
	s_mul_hi_u32 s35, s40, s17
	s_mul_hi_u32 s21, s40, s7
	;; [unrolled: 1-line block ×3, first 2 shown]
	s_mul_i32 s17, s41, s17
	s_add_u32 s33, s35, s33
	s_addc_u32 s21, 0, s21
	s_mul_hi_u32 s42, s41, s7
	s_add_u32 s17, s33, s17
	s_mul_i32 s7, s41, s7
	s_addc_u32 s17, s21, s43
	s_addc_u32 s21, s42, 0
	s_add_u32 s7, s17, s7
	s_addc_u32 s17, 0, s21
	s_mul_hi_u32 s21, s36, s7
	s_mul_i32 s35, s36, s17
	s_mul_i32 s42, s36, s7
	s_add_i32 s21, s21, s35
	v_sub_co_u32 v2, s35, s40, s42
	s_mul_i32 s33, s37, s7
	s_delay_alu instid0(SALU_CYCLE_1) | instskip(NEXT) | instid1(VALU_DEP_1)
	s_add_i32 s21, s21, s33
	v_sub_co_u32 v3, s40, v2, s36
	s_sub_i32 s33, s41, s21
	s_cmp_lg_u32 s35, 0
	s_subb_u32 s33, s33, s37
	s_cmp_lg_u32 s40, 0
	v_readfirstlane_b32 s40, v3
	s_subb_u32 s33, s33, 0
	s_delay_alu instid0(SALU_CYCLE_1) | instskip(SKIP_1) | instid1(VALU_DEP_1)
	s_cmp_ge_u32 s33, s37
	s_cselect_b32 s42, -1, 0
	s_cmp_ge_u32 s40, s36
	s_cselect_b32 s40, -1, 0
	s_cmp_eq_u32 s33, s37
	s_cselect_b32 s33, s40, s42
	s_add_u32 s40, s7, 1
	s_addc_u32 s42, s17, 0
	s_add_u32 s43, s7, 2
	s_addc_u32 s44, s17, 0
	s_cmp_lg_u32 s33, 0
	s_cselect_b32 s33, s43, s40
	s_cselect_b32 s40, s44, s42
	s_cmp_lg_u32 s35, 0
	v_readfirstlane_b32 s35, v2
	s_subb_u32 s21, s41, s21
	s_delay_alu instid0(SALU_CYCLE_1) | instskip(SKIP_1) | instid1(VALU_DEP_1)
	s_cmp_ge_u32 s21, s37
	s_cselect_b32 s41, -1, 0
	s_cmp_ge_u32 s35, s36
	s_cselect_b32 s35, -1, 0
	s_cmp_eq_u32 s21, s37
	s_cselect_b32 s21, s35, s41
	s_delay_alu instid0(SALU_CYCLE_1) | instskip(SKIP_3) | instid1(SALU_CYCLE_1)
	s_cmp_lg_u32 s21, 0
	s_cselect_b32 s37, s40, s17
	s_cselect_b32 s36, s33, s7
	s_xor_b64 s[28:29], s[38:39], s[28:29]
	s_xor_b64 s[36:37], s[36:37], s[28:29]
	s_delay_alu instid0(SALU_CYCLE_1)
	s_sub_u32 s28, s36, s28
	s_subb_u32 s29, s37, s29
	s_and_not1_b32 vcc_lo, exec_lo, s34
	s_cbranch_vccnz .LBB7_7
.LBB7_6:
	v_cvt_f32_u32_e32 v2, s30
	s_sub_i32 s17, 0, s30
	s_mov_b32 s29, 0
	s_delay_alu instid0(VALU_DEP_1) | instskip(SKIP_2) | instid1(VALU_DEP_1)
	v_rcp_iflag_f32_e32 v2, v2
	s_waitcnt_depctr 0xfff
	v_mul_f32_e32 v2, 0x4f7ffffe, v2
	v_cvt_u32_f32_e32 v2, v2
	s_delay_alu instid0(VALU_DEP_1) | instskip(NEXT) | instid1(VALU_DEP_1)
	v_readfirstlane_b32 s7, v2
	s_mul_i32 s17, s17, s7
	s_delay_alu instid0(SALU_CYCLE_1) | instskip(NEXT) | instid1(SALU_CYCLE_1)
	s_mul_hi_u32 s17, s7, s17
	s_add_i32 s7, s7, s17
	s_delay_alu instid0(SALU_CYCLE_1) | instskip(NEXT) | instid1(SALU_CYCLE_1)
	s_mul_hi_u32 s7, s24, s7
	s_mul_i32 s17, s7, s30
	s_add_i32 s21, s7, 1
	s_sub_i32 s17, s24, s17
	s_delay_alu instid0(SALU_CYCLE_1)
	s_sub_i32 s28, s17, s30
	s_cmp_ge_u32 s17, s30
	s_cselect_b32 s7, s21, s7
	s_cselect_b32 s17, s28, s17
	s_add_i32 s21, s7, 1
	s_cmp_ge_u32 s17, s30
	s_cselect_b32 s28, s21, s7
.LBB7_7:
	s_delay_alu instid0(SALU_CYCLE_1)
	s_mul_i32 s7, s28, s31
	s_mul_hi_u32 s17, s28, s30
	s_mul_i32 s21, s28, s30
	s_add_i32 s7, s17, s7
	s_mul_i32 s17, s29, s30
	s_mul_hi_u32 s34, s28, s4
	s_add_i32 s7, s7, s17
	s_sub_u32 s17, s24, s21
	s_subb_u32 s33, s25, s7
	s_mul_i32 s35, s29, s4
	s_mul_i32 s30, s28, s4
	s_mul_hi_u32 s29, s17, s5
	s_mul_i32 s33, s33, s5
	s_mul_i32 s24, s17, s5
	s_mov_b32 s36, exec_lo
	v_cmpx_gt_i32_e64 s20, v1
	s_cbranch_execz .LBB7_10
; %bb.8:
	s_load_b64 s[38:39], s[0:1], 0x4
	s_load_b32 s0, s[2:3], 0x8c
	v_bfe_u32 v2, v0, 10, 10
	v_bfe_u32 v3, v0, 20, 10
	s_ashr_i32 s1, s4, 31
	s_ashr_i32 s25, s5, 31
	s_lshl_b64 s[26:27], s[26:27], 2
	s_ashr_i32 s21, s20, 31
	s_ashr_i32 s7, s6, 31
	s_mul_i32 s31, s28, s1
	s_mul_i32 s25, s17, s25
	v_lshlrev_b32_e32 v9, 2, v1
	v_dual_mov_b32 v11, v1 :: v_dual_lshlrev_b32 v10, 3, v1
	s_mul_i32 s9, s9, s16
	s_waitcnt lgkmcnt(0)
	s_lshr_b32 s37, s38, 16
	s_and_b32 s1, s0, 0xffff
	s_mul_i32 s37, s37, s39
	s_add_u32 s0, s22, s26
	v_mul_lo_u32 v0, s37, v1
	s_addc_u32 s23, s23, s27
	s_lshl_b64 s[26:27], s[20:21], 2
	s_add_i32 s21, s34, s31
	s_add_i32 s25, s29, s25
	;; [unrolled: 1-line block ×4, first 2 shown]
	s_lshl_b64 s[40:41], s[30:31], 2
	s_lshl_b64 s[42:43], s[24:25], 2
	v_mad_u32_u24 v2, v2, s39, v0
	v_add_co_u32 v0, s0, s0, v9
	s_lshl_b32 s22, s1, 2
	v_add_co_ci_u32_e64 v4, null, s23, 0, s0
	s_add_u32 s0, s40, s42
	s_addc_u32 s21, s41, s43
	s_lshl_b64 s[38:39], s[6:7], 2
	v_add_lshl_u32 v5, v2, v3, 1
	s_add_u32 s7, s18, s38
	s_addc_u32 s23, s19, s39
	s_add_u32 s0, s7, s0
	s_addc_u32 s7, s23, s21
	s_mul_hi_u32 s21, s8, s16
	s_mul_i32 s8, s8, s16
	s_add_i32 s9, s21, s9
	v_add_co_u32 v2, s0, s0, v10
	s_lshl_b64 s[8:9], s[8:9], 1
	v_add_co_u32 v6, vcc_lo, v0, s26
	v_add_co_ci_u32_e64 v3, null, s7, 0, s0
	s_lshl_b32 s7, s1, 3
	s_add_u32 s0, s12, s8
	v_add_co_ci_u32_e32 v7, vcc_lo, s27, v4, vcc_lo
	v_add_co_u32 v2, vcc_lo, v2, 4
	s_addc_u32 s8, s13, s9
	v_add_co_u32 v9, s0, s0, v9
	v_add_nc_u32_e32 v8, 0x800, v5
	v_add_co_ci_u32_e32 v3, vcc_lo, 0, v3, vcc_lo
	v_add_co_ci_u32_e64 v10, null, s8, 0, s0
	s_mov_b32 s12, 0
	s_mov_b64 s[8:9], 0
	s_set_inst_prefetch_distance 0x1
	.p2align	6
.LBB7_9:                                ; =>This Inner Loop Header: Depth=1
	v_add_co_u32 v12, vcc_lo, v6, s8
	v_add_co_ci_u32_e32 v13, vcc_lo, s9, v7, vcc_lo
	v_add_co_u32 v14, vcc_lo, v9, s8
	v_add_co_ci_u32_e32 v15, vcc_lo, s9, v10, vcc_lo
	;; [unrolled: 2-line block ×3, first 2 shown]
	global_load_b32 v12, v[12:13], off
	global_load_b32 v13, v[14:15], off
	;; [unrolled: 1-line block ×3, first 2 shown]
	v_add_nc_u32_e32 v11, s1, v11
	s_add_u32 s8, s8, s22
	s_addc_u32 s9, s9, 0
	s_delay_alu instid0(VALU_DEP_1)
	v_cmp_le_i32_e32 vcc_lo, s20, v11
	s_or_b32 s12, vcc_lo, s12
	s_waitcnt vmcnt(2)
	v_cvt_f16_f32_e32 v12, v12
	s_waitcnt vmcnt(1)
	v_lshrrev_b32_e32 v17, 16, v13
	s_waitcnt vmcnt(0)
	v_cvt_f16_f32_e32 v16, v16
	s_delay_alu instid0(VALU_DEP_2) | instskip(NEXT) | instid1(VALU_DEP_2)
	v_mul_f16_e32 v18, v17, v12
	v_mul_f16_e32 v17, v17, v16
	s_delay_alu instid0(VALU_DEP_2) | instskip(NEXT) | instid1(VALU_DEP_2)
	v_fma_f16 v16, v13, v16, -v18
	v_fmac_f16_e32 v17, v13, v12
	ds_store_b16 v8, v16
	ds_store_b16 v5, v17
	ds_load_b32 v12, v8
	ds_load_b32 v13, v5
	v_pack_b32_f16 v16, v16, v17
	global_store_b32 v[14:15], v16, off
	s_waitcnt lgkmcnt(0)
	global_store_b64 v[2:3], v[12:13], off offset:-4
	v_add_co_u32 v2, s0, v2, s7
	s_delay_alu instid0(VALU_DEP_1)
	v_add_co_ci_u32_e64 v3, s0, 0, v3, s0
	s_and_not1_b32 exec_lo, exec_lo, s12
	s_cbranch_execnz .LBB7_9
.LBB7_10:
	s_set_inst_prefetch_distance 0x2
	s_or_b32 exec_lo, exec_lo, s36
	s_delay_alu instid0(SALU_CYCLE_1)
	s_mov_b32 s0, exec_lo
	v_cmpx_gt_i32_e64 s6, v1
	s_cbranch_execz .LBB7_13
; %bb.11:
	s_mul_i32 s1, s16, s11
	s_mul_hi_u32 s7, s16, s10
	s_mul_i32 s0, s16, s10
	s_add_i32 s1, s7, s1
	s_delay_alu instid0(SALU_CYCLE_1) | instskip(NEXT) | instid1(SALU_CYCLE_1)
	s_lshl_b64 s[8:9], s[0:1], 1
	s_add_u32 s1, s14, s8
	s_addc_u32 s7, s15, s9
	s_ashr_i32 s0, s4, 31
	s_load_b32 s4, s[2:3], 0x8c
	s_mul_i32 s0, s28, s0
	s_delay_alu instid0(SALU_CYCLE_1) | instskip(NEXT) | instid1(SALU_CYCLE_1)
	s_add_i32 s0, s34, s0
	s_add_i32 s31, s0, s35
	s_delay_alu instid0(SALU_CYCLE_1) | instskip(NEXT) | instid1(SALU_CYCLE_1)
	s_lshl_b64 s[2:3], s[30:31], 2
	s_add_u32 s0, s18, s2
	s_addc_u32 s8, s19, s3
	s_ashr_i32 s2, s5, 31
	s_mov_b32 s5, 0
	s_mul_i32 s17, s17, s2
	s_delay_alu instid0(SALU_CYCLE_1) | instskip(NEXT) | instid1(SALU_CYCLE_1)
	s_add_i32 s2, s29, s17
	s_add_i32 s25, s2, s33
	s_delay_alu instid0(SALU_CYCLE_1) | instskip(NEXT) | instid1(SALU_CYCLE_1)
	s_lshl_b64 s[2:3], s[24:25], 2
	s_add_u32 s2, s0, s2
	s_addc_u32 s3, s8, s3
	s_waitcnt lgkmcnt(0)
	s_and_b32 s4, s4, 0xffff
	.p2align	6
.LBB7_12:                               ; =>This Inner Loop Header: Depth=1
	v_ashrrev_i32_e32 v2, 31, v1
	s_delay_alu instid0(VALU_DEP_1) | instskip(NEXT) | instid1(VALU_DEP_1)
	v_lshlrev_b64 v[3:4], 1, v[1:2]
	v_add_co_u32 v3, vcc_lo, s1, v3
	s_delay_alu instid0(VALU_DEP_2) | instskip(SKIP_3) | instid1(VALU_DEP_1)
	v_add_co_ci_u32_e32 v4, vcc_lo, s7, v4, vcc_lo
	global_load_b32 v0, v[3:4], off
	v_lshlrev_b64 v[2:3], 2, v[1:2]
	v_add_nc_u32_e32 v1, s4, v1
	v_cmp_le_i32_e32 vcc_lo, s6, v1
	s_delay_alu instid0(VALU_DEP_3) | instskip(NEXT) | instid1(VALU_DEP_1)
	v_add_co_u32 v2, s0, s2, v2
	v_add_co_ci_u32_e64 v3, s0, s3, v3, s0
	s_or_b32 s5, vcc_lo, s5
	s_waitcnt vmcnt(0)
	global_store_b32 v[2:3], v0, off
	s_and_not1_b32 exec_lo, exec_lo, s5
	s_cbranch_execnz .LBB7_12
.LBB7_13:
	s_nop 0
	s_sendmsg sendmsg(MSG_DEALLOC_VGPRS)
	s_endpgm
.LBB7_14:
                                        ; implicit-def: $sgpr28_sgpr29
	s_branch .LBB7_6
	.section	.rodata,"a",@progbits
	.p2align	6, 0x0
	.amdhsa_kernel _ZN4vllm38concat_and_cache_mla_rope_fused_kernelIN3c104HalfEfLb0EffLNS_18Fp8KVCacheDataTypeE0EEEvPKlPT_S7_PKS6_PKT0_illlliPT3_S5_iiiiPKf
		.amdhsa_group_segment_fixed_size 4096
		.amdhsa_private_segment_fixed_size 0
		.amdhsa_kernarg_size 384
		.amdhsa_user_sgpr_count 15
		.amdhsa_user_sgpr_dispatch_ptr 1
		.amdhsa_user_sgpr_queue_ptr 0
		.amdhsa_user_sgpr_kernarg_segment_ptr 1
		.amdhsa_user_sgpr_dispatch_id 0
		.amdhsa_user_sgpr_private_segment_size 0
		.amdhsa_wavefront_size32 1
		.amdhsa_uses_dynamic_stack 0
		.amdhsa_enable_private_segment 0
		.amdhsa_system_sgpr_workgroup_id_x 1
		.amdhsa_system_sgpr_workgroup_id_y 0
		.amdhsa_system_sgpr_workgroup_id_z 0
		.amdhsa_system_sgpr_workgroup_info 0
		.amdhsa_system_vgpr_workitem_id 2
		.amdhsa_next_free_vgpr 19
		.amdhsa_next_free_sgpr 45
		.amdhsa_reserve_vcc 1
		.amdhsa_float_round_mode_32 0
		.amdhsa_float_round_mode_16_64 0
		.amdhsa_float_denorm_mode_32 3
		.amdhsa_float_denorm_mode_16_64 3
		.amdhsa_dx10_clamp 1
		.amdhsa_ieee_mode 1
		.amdhsa_fp16_overflow 0
		.amdhsa_workgroup_processor_mode 1
		.amdhsa_memory_ordered 1
		.amdhsa_forward_progress 0
		.amdhsa_shared_vgpr_count 0
		.amdhsa_exception_fp_ieee_invalid_op 0
		.amdhsa_exception_fp_denorm_src 0
		.amdhsa_exception_fp_ieee_div_zero 0
		.amdhsa_exception_fp_ieee_overflow 0
		.amdhsa_exception_fp_ieee_underflow 0
		.amdhsa_exception_fp_ieee_inexact 0
		.amdhsa_exception_int_div_zero 0
	.end_amdhsa_kernel
	.section	.text._ZN4vllm38concat_and_cache_mla_rope_fused_kernelIN3c104HalfEfLb0EffLNS_18Fp8KVCacheDataTypeE0EEEvPKlPT_S7_PKS6_PKT0_illlliPT3_S5_iiiiPKf,"axG",@progbits,_ZN4vllm38concat_and_cache_mla_rope_fused_kernelIN3c104HalfEfLb0EffLNS_18Fp8KVCacheDataTypeE0EEEvPKlPT_S7_PKS6_PKT0_illlliPT3_S5_iiiiPKf,comdat
.Lfunc_end7:
	.size	_ZN4vllm38concat_and_cache_mla_rope_fused_kernelIN3c104HalfEfLb0EffLNS_18Fp8KVCacheDataTypeE0EEEvPKlPT_S7_PKS6_PKT0_illlliPT3_S5_iiiiPKf, .Lfunc_end7-_ZN4vllm38concat_and_cache_mla_rope_fused_kernelIN3c104HalfEfLb0EffLNS_18Fp8KVCacheDataTypeE0EEEvPKlPT_S7_PKS6_PKT0_illlliPT3_S5_iiiiPKf
                                        ; -- End function
	.section	.AMDGPU.csdata,"",@progbits
; Kernel info:
; codeLenInByte = 2428
; NumSgprs: 47
; NumVgprs: 19
; ScratchSize: 0
; MemoryBound: 0
; FloatMode: 240
; IeeeMode: 1
; LDSByteSize: 4096 bytes/workgroup (compile time only)
; SGPRBlocks: 5
; VGPRBlocks: 2
; NumSGPRsForWavesPerEU: 47
; NumVGPRsForWavesPerEU: 19
; Occupancy: 16
; WaveLimiterHint : 1
; COMPUTE_PGM_RSRC2:SCRATCH_EN: 0
; COMPUTE_PGM_RSRC2:USER_SGPR: 15
; COMPUTE_PGM_RSRC2:TRAP_HANDLER: 0
; COMPUTE_PGM_RSRC2:TGID_X_EN: 1
; COMPUTE_PGM_RSRC2:TGID_Y_EN: 0
; COMPUTE_PGM_RSRC2:TGID_Z_EN: 0
; COMPUTE_PGM_RSRC2:TIDIG_COMP_CNT: 2
	.section	.text._ZN4vllm38concat_and_cache_mla_rope_fused_kernelIN3c104HalfES2_Lb1EffLNS_18Fp8KVCacheDataTypeE0EEEvPKlPT_S7_PKS6_PKT0_illlliPT3_S5_iiiiPKf,"axG",@progbits,_ZN4vllm38concat_and_cache_mla_rope_fused_kernelIN3c104HalfES2_Lb1EffLNS_18Fp8KVCacheDataTypeE0EEEvPKlPT_S7_PKS6_PKT0_illlliPT3_S5_iiiiPKf,comdat
	.protected	_ZN4vllm38concat_and_cache_mla_rope_fused_kernelIN3c104HalfES2_Lb1EffLNS_18Fp8KVCacheDataTypeE0EEEvPKlPT_S7_PKS6_PKT0_illlliPT3_S5_iiiiPKf ; -- Begin function _ZN4vllm38concat_and_cache_mla_rope_fused_kernelIN3c104HalfES2_Lb1EffLNS_18Fp8KVCacheDataTypeE0EEEvPKlPT_S7_PKS6_PKT0_illlliPT3_S5_iiiiPKf
	.globl	_ZN4vllm38concat_and_cache_mla_rope_fused_kernelIN3c104HalfES2_Lb1EffLNS_18Fp8KVCacheDataTypeE0EEEvPKlPT_S7_PKS6_PKT0_illlliPT3_S5_iiiiPKf
	.p2align	8
	.type	_ZN4vllm38concat_and_cache_mla_rope_fused_kernelIN3c104HalfES2_Lb1EffLNS_18Fp8KVCacheDataTypeE0EEEvPKlPT_S7_PKS6_PKT0_illlliPT3_S5_iiiiPKf,@function
_ZN4vllm38concat_and_cache_mla_rope_fused_kernelIN3c104HalfES2_Lb1EffLNS_18Fp8KVCacheDataTypeE0EEEvPKlPT_S7_PKS6_PKT0_illlliPT3_S5_iiiiPKf: ; @_ZN4vllm38concat_and_cache_mla_rope_fused_kernelIN3c104HalfES2_Lb1EffLNS_18Fp8KVCacheDataTypeE0EEEvPKlPT_S7_PKS6_PKT0_illlliPT3_S5_iiiiPKf
; %bb.0:
	s_load_b64 s[6:7], s[2:3], 0x60
	s_mov_b32 s16, s15
	s_mov_b32 s17, 0
	s_delay_alu instid0(SALU_CYCLE_1)
	s_lshl_b64 s[4:5], s[16:17], 3
	s_waitcnt lgkmcnt(0)
	s_add_u32 s6, s6, s4
	s_addc_u32 s7, s7, s5
	s_load_b64 s[26:27], s[6:7], 0x0
	s_waitcnt lgkmcnt(0)
	v_cmp_lt_i64_e64 s6, s[26:27], 0
	s_delay_alu instid0(VALU_DEP_1)
	s_and_b32 vcc_lo, exec_lo, s6
	s_cbranch_vccnz .LBB8_13
; %bb.1:
	s_clause 0x2
	s_load_b32 s28, s[2:3], 0x28
	s_load_b64 s[6:7], s[2:3], 0x0
	s_load_b128 s[12:15], s[2:3], 0x10
	v_and_b32_e32 v1, 0x3ff, v0
	s_waitcnt lgkmcnt(0)
	s_ashr_i32 s17, s28, 31
	s_add_u32 s4, s6, s4
	s_addc_u32 s5, s7, s5
	s_load_b64 s[20:21], s[4:5], 0x0
	s_clause 0x3
	s_load_b64 s[22:23], s[2:3], 0x20
	s_load_b32 s29, s[2:3], 0x50
	s_load_b64 s[18:19], s[2:3], 0x58
	s_load_b256 s[4:11], s[2:3], 0x30
	s_waitcnt lgkmcnt(0)
	s_mul_i32 s17, s20, s17
	s_mul_hi_u32 s24, s20, s28
	s_mul_i32 s21, s21, s28
	s_add_i32 s17, s24, s17
	s_mul_i32 s20, s20, s28
	s_add_i32 s21, s17, s21
	s_delay_alu instid0(SALU_CYCLE_1) | instskip(NEXT) | instid1(SALU_CYCLE_1)
	s_lshl_b64 s[24:25], s[20:21], 1
	s_add_u32 s17, s22, s24
	s_addc_u32 s33, s23, s25
	s_lshr_b32 s20, s28, 31
	s_delay_alu instid0(SALU_CYCLE_1) | instskip(NEXT) | instid1(SALU_CYCLE_1)
	s_add_i32 s28, s28, s20
	s_ashr_i32 s20, s28, 1
	s_delay_alu instid0(SALU_CYCLE_1)
	s_mul_i32 s28, s20, s29
	s_mov_b32 s29, exec_lo
	v_cmpx_gt_i32_e64 s28, v1
	s_cbranch_execz .LBB8_4
; %bb.2:
	s_clause 0x1
	s_load_b64 s[30:31], s[2:3], 0x8
	s_load_b32 s35, s[2:3], 0x8c
	s_mul_i32 s5, s16, s5
	s_mul_hi_u32 s21, s16, s4
	s_mul_i32 s4, s16, s4
	s_add_i32 s5, s21, s5
	s_ashr_i32 s21, s20, 31
	s_lshl_b64 s[4:5], s[4:5], 1
	s_mov_b32 s36, 0
	s_waitcnt lgkmcnt(0)
	s_add_u32 s30, s30, s4
	s_addc_u32 s31, s31, s5
	s_abs_i32 s34, s20
	s_and_b32 s35, s35, 0xffff
	v_cvt_f32_u32_e32 v2, s34
	s_sub_i32 s4, 0, s34
	s_sub_i32 s37, 0, s20
	s_delay_alu instid0(VALU_DEP_1) | instskip(SKIP_2) | instid1(VALU_DEP_1)
	v_rcp_iflag_f32_e32 v2, v2
	s_waitcnt_depctr 0xfff
	v_mul_f32_e32 v2, 0x4f7ffffe, v2
	v_cvt_u32_f32_e32 v2, v2
	s_delay_alu instid0(VALU_DEP_1) | instskip(SKIP_1) | instid1(VALU_DEP_1)
	v_mul_lo_u32 v3, s4, v2
	s_lshl_b64 s[4:5], s[20:21], 1
	v_mul_hi_u32 v3, v2, v3
	s_delay_alu instid0(VALU_DEP_1)
	v_dual_mov_b32 v2, v1 :: v_dual_add_nc_u32 v3, v2, v3
.LBB8_3:                                ; =>This Inner Loop Header: Depth=1
	s_delay_alu instid0(VALU_DEP_1) | instskip(SKIP_1) | instid1(VALU_DEP_2)
	v_sub_nc_u32_e32 v4, 0, v2
	v_ashrrev_i32_e32 v5, 31, v2
	v_max_i32_e32 v4, v2, v4
	s_delay_alu instid0(VALU_DEP_2) | instskip(NEXT) | instid1(VALU_DEP_2)
	v_xor_b32_e32 v5, s21, v5
	v_mul_hi_u32 v6, v4, v3
	s_delay_alu instid0(VALU_DEP_1) | instskip(SKIP_1) | instid1(VALU_DEP_2)
	v_mul_lo_u32 v7, v6, s34
	v_add_nc_u32_e32 v8, 1, v6
	v_sub_nc_u32_e32 v4, v4, v7
	s_delay_alu instid0(VALU_DEP_1) | instskip(SKIP_1) | instid1(VALU_DEP_4)
	v_subrev_nc_u32_e32 v7, s34, v4
	v_cmp_le_u32_e32 vcc_lo, s34, v4
	v_cndmask_b32_e32 v6, v6, v8, vcc_lo
	s_delay_alu instid0(VALU_DEP_1) | instskip(NEXT) | instid1(VALU_DEP_1)
	v_dual_cndmask_b32 v4, v4, v7 :: v_dual_add_nc_u32 v7, 1, v6
	v_cmp_le_u32_e32 vcc_lo, s34, v4
	s_delay_alu instid0(VALU_DEP_2) | instskip(NEXT) | instid1(VALU_DEP_1)
	v_cndmask_b32_e32 v4, v6, v7, vcc_lo
	v_xor_b32_e32 v4, v4, v5
	s_delay_alu instid0(VALU_DEP_1) | instskip(NEXT) | instid1(VALU_DEP_1)
	v_sub_nc_u32_e32 v8, v4, v5
	v_ashrrev_i32_e32 v9, 31, v8
	v_mad_u64_u32 v[4:5], null, s37, v8, v[2:3]
	v_mul_lo_u32 v10, v8, s7
	v_mad_u64_u32 v[6:7], null, v8, s6, 0
	s_delay_alu instid0(VALU_DEP_4) | instskip(SKIP_2) | instid1(VALU_DEP_3)
	v_mul_lo_u32 v8, v9, s6
	v_add_nc_u32_e32 v2, s35, v2
	v_ashrrev_i32_e32 v5, 31, v4
	v_add3_u32 v7, v7, v10, v8
	s_delay_alu instid0(VALU_DEP_2) | instskip(NEXT) | instid1(VALU_DEP_2)
	v_lshlrev_b64 v[4:5], 1, v[4:5]
	v_lshlrev_b64 v[6:7], 1, v[6:7]
	s_delay_alu instid0(VALU_DEP_2) | instskip(NEXT) | instid1(VALU_DEP_3)
	v_add_co_u32 v8, vcc_lo, s17, v4
	v_add_co_ci_u32_e32 v9, vcc_lo, s33, v5, vcc_lo
	s_delay_alu instid0(VALU_DEP_3) | instskip(NEXT) | instid1(VALU_DEP_4)
	v_add_co_u32 v10, vcc_lo, s30, v6
	v_add_co_ci_u32_e32 v11, vcc_lo, s31, v7, vcc_lo
	s_delay_alu instid0(VALU_DEP_4) | instskip(NEXT) | instid1(VALU_DEP_4)
	v_add_co_u32 v6, vcc_lo, v8, s4
	v_add_co_ci_u32_e32 v7, vcc_lo, s5, v9, vcc_lo
	s_delay_alu instid0(VALU_DEP_4) | instskip(NEXT) | instid1(VALU_DEP_4)
	v_add_co_u32 v4, vcc_lo, v10, v4
	v_add_co_ci_u32_e32 v5, vcc_lo, v11, v5, vcc_lo
	s_delay_alu instid0(VALU_DEP_2) | instskip(NEXT) | instid1(VALU_DEP_2)
	v_add_co_u32 v10, vcc_lo, v4, s4
	v_add_co_ci_u32_e32 v11, vcc_lo, s5, v5, vcc_lo
	s_clause 0x1
	global_load_u16 v8, v[8:9], off
	global_load_u16 v6, v[6:7], off
	s_clause 0x1
	global_load_u16 v7, v[4:5], off
	global_load_u16 v9, v[10:11], off
	v_cmp_le_i32_e32 vcc_lo, s28, v2
	s_or_b32 s36, vcc_lo, s36
	s_waitcnt vmcnt(0)
	v_mul_f16_e32 v12, v6, v9
	v_mul_f16_e32 v9, v8, v9
	s_delay_alu instid0(VALU_DEP_2) | instskip(NEXT) | instid1(VALU_DEP_2)
	v_fma_f16 v8, v8, v7, -v12
	v_fmac_f16_e32 v9, v6, v7
	s_clause 0x1
	global_store_b16 v[4:5], v8, off
	global_store_b16 v[10:11], v9, off
	s_and_not1_b32 exec_lo, exec_lo, s36
	s_cbranch_execnz .LBB8_3
.LBB8_4:
	s_or_b32 exec_lo, exec_lo, s29
	s_load_b128 s[4:7], s[2:3], 0x68
	s_waitcnt lgkmcnt(0)
	s_ashr_i32 s31, s7, 31
	s_mov_b32 s30, s7
	s_delay_alu instid0(SALU_CYCLE_1) | instskip(SKIP_1) | instid1(SALU_CYCLE_1)
	s_or_b64 s[34:35], s[26:27], s[30:31]
	s_mov_b32 s34, 0
	s_cmp_lg_u64 s[34:35], 0
	s_cbranch_scc0 .LBB8_14
; %bb.5:
	s_add_u32 s36, s30, s31
	s_mov_b32 s28, s31
	s_mov_b32 s29, s31
	s_addc_u32 s37, s31, s31
	s_delay_alu instid0(SALU_CYCLE_1) | instskip(NEXT) | instid1(SALU_CYCLE_1)
	s_xor_b64 s[36:37], s[36:37], s[28:29]
	v_cvt_f32_u32_e32 v2, s36
	v_cvt_f32_u32_e32 v3, s37
	s_sub_u32 s35, 0, s36
	s_subb_u32 s38, 0, s37
	s_delay_alu instid0(VALU_DEP_1) | instskip(NEXT) | instid1(VALU_DEP_1)
	v_fmamk_f32 v2, v3, 0x4f800000, v2
	v_rcp_f32_e32 v2, v2
	s_waitcnt_depctr 0xfff
	v_mul_f32_e32 v2, 0x5f7ffffc, v2
	s_delay_alu instid0(VALU_DEP_1) | instskip(NEXT) | instid1(VALU_DEP_1)
	v_mul_f32_e32 v3, 0x2f800000, v2
	v_trunc_f32_e32 v3, v3
	s_delay_alu instid0(VALU_DEP_1) | instskip(SKIP_1) | instid1(VALU_DEP_2)
	v_fmamk_f32 v2, v3, 0xcf800000, v2
	v_cvt_u32_f32_e32 v3, v3
	v_cvt_u32_f32_e32 v2, v2
	s_delay_alu instid0(VALU_DEP_2) | instskip(NEXT) | instid1(VALU_DEP_2)
	v_readfirstlane_b32 s7, v3
	v_readfirstlane_b32 s21, v2
	s_delay_alu instid0(VALU_DEP_2) | instskip(NEXT) | instid1(VALU_DEP_1)
	s_mul_i32 s39, s35, s7
	s_mul_hi_u32 s41, s35, s21
	s_mul_i32 s40, s38, s21
	s_add_i32 s39, s41, s39
	s_mul_i32 s42, s35, s21
	s_add_i32 s39, s39, s40
	s_mul_hi_u32 s41, s21, s42
	s_mul_hi_u32 s43, s7, s42
	s_mul_i32 s40, s7, s42
	s_mul_hi_u32 s42, s21, s39
	s_mul_i32 s21, s21, s39
	s_mul_hi_u32 s44, s7, s39
	s_add_u32 s21, s41, s21
	s_addc_u32 s41, 0, s42
	s_add_u32 s21, s21, s40
	s_mul_i32 s39, s7, s39
	s_addc_u32 s21, s41, s43
	s_addc_u32 s40, s44, 0
	s_add_u32 s21, s21, s39
	s_addc_u32 s39, 0, s40
	v_add_co_u32 v2, s21, v2, s21
	s_delay_alu instid0(VALU_DEP_1) | instskip(SKIP_1) | instid1(VALU_DEP_1)
	s_cmp_lg_u32 s21, 0
	s_addc_u32 s7, s7, s39
	v_readfirstlane_b32 s21, v2
	s_mul_i32 s39, s35, s7
	s_delay_alu instid0(VALU_DEP_1)
	s_mul_hi_u32 s40, s35, s21
	s_mul_i32 s38, s38, s21
	s_add_i32 s39, s40, s39
	s_mul_i32 s35, s35, s21
	s_add_i32 s39, s39, s38
	s_mul_hi_u32 s40, s7, s35
	s_mul_i32 s41, s7, s35
	s_mul_hi_u32 s35, s21, s35
	s_mul_hi_u32 s42, s21, s39
	s_mul_i32 s21, s21, s39
	s_mul_hi_u32 s38, s7, s39
	s_add_u32 s21, s35, s21
	s_addc_u32 s35, 0, s42
	s_add_u32 s21, s21, s41
	s_mul_i32 s39, s7, s39
	s_addc_u32 s21, s35, s40
	s_addc_u32 s35, s38, 0
	s_add_u32 s21, s21, s39
	s_addc_u32 s35, 0, s35
	v_add_co_u32 v2, s21, v2, s21
	s_delay_alu instid0(VALU_DEP_1) | instskip(SKIP_2) | instid1(VALU_DEP_1)
	s_cmp_lg_u32 s21, 0
	s_addc_u32 s7, s7, s35
	s_ashr_i32 s38, s27, 31
	v_readfirstlane_b32 s21, v2
	s_add_u32 s40, s26, s38
	s_mov_b32 s39, s38
	s_addc_u32 s41, s27, s38
	s_delay_alu instid0(SALU_CYCLE_1) | instskip(NEXT) | instid1(SALU_CYCLE_1)
	s_xor_b64 s[40:41], s[40:41], s[38:39]
	s_mul_i32 s42, s40, s7
	s_mul_hi_u32 s43, s40, s21
	s_mul_hi_u32 s35, s40, s7
	;; [unrolled: 1-line block ×3, first 2 shown]
	s_mul_i32 s21, s41, s21
	s_add_u32 s42, s43, s42
	s_addc_u32 s35, 0, s35
	s_mul_hi_u32 s44, s41, s7
	s_add_u32 s21, s42, s21
	s_mul_i32 s7, s41, s7
	s_addc_u32 s21, s35, s45
	s_addc_u32 s35, s44, 0
	s_add_u32 s7, s21, s7
	s_addc_u32 s21, 0, s35
	s_mul_i32 s44, s36, s7
	s_mul_hi_u32 s35, s36, s7
	s_mul_i32 s43, s36, s21
	v_sub_co_u32 v2, s40, s40, s44
	s_mul_i32 s42, s37, s7
	s_add_i32 s35, s35, s43
	s_delay_alu instid0(SALU_CYCLE_1) | instskip(NEXT) | instid1(VALU_DEP_1)
	s_add_i32 s35, s35, s42
	v_sub_co_u32 v3, s43, v2, s36
	s_sub_i32 s42, s41, s35
	s_cmp_lg_u32 s40, 0
	s_subb_u32 s42, s42, s37
	s_cmp_lg_u32 s43, 0
	v_readfirstlane_b32 s43, v3
	s_subb_u32 s42, s42, 0
	s_delay_alu instid0(SALU_CYCLE_1) | instskip(SKIP_1) | instid1(VALU_DEP_1)
	s_cmp_ge_u32 s42, s37
	s_cselect_b32 s44, -1, 0
	s_cmp_ge_u32 s43, s36
	s_cselect_b32 s43, -1, 0
	s_cmp_eq_u32 s42, s37
	s_cselect_b32 s42, s43, s44
	s_add_u32 s43, s7, 1
	s_addc_u32 s44, s21, 0
	s_add_u32 s45, s7, 2
	s_addc_u32 s46, s21, 0
	s_cmp_lg_u32 s42, 0
	s_cselect_b32 s42, s45, s43
	s_cselect_b32 s43, s46, s44
	s_cmp_lg_u32 s40, 0
	v_readfirstlane_b32 s40, v2
	s_subb_u32 s35, s41, s35
	s_delay_alu instid0(SALU_CYCLE_1) | instskip(SKIP_1) | instid1(VALU_DEP_1)
	s_cmp_ge_u32 s35, s37
	s_cselect_b32 s41, -1, 0
	s_cmp_ge_u32 s40, s36
	s_cselect_b32 s36, -1, 0
	s_cmp_eq_u32 s35, s37
	s_cselect_b32 s35, s36, s41
	s_delay_alu instid0(SALU_CYCLE_1) | instskip(SKIP_3) | instid1(SALU_CYCLE_1)
	s_cmp_lg_u32 s35, 0
	s_cselect_b32 s37, s43, s21
	s_cselect_b32 s36, s42, s7
	s_xor_b64 s[28:29], s[38:39], s[28:29]
	s_xor_b64 s[36:37], s[36:37], s[28:29]
	s_delay_alu instid0(SALU_CYCLE_1)
	s_sub_u32 s28, s36, s28
	s_subb_u32 s29, s37, s29
	s_and_not1_b32 vcc_lo, exec_lo, s34
	s_cbranch_vccnz .LBB8_7
.LBB8_6:
	v_cvt_f32_u32_e32 v2, s30
	s_sub_i32 s21, 0, s30
	s_delay_alu instid0(VALU_DEP_1) | instskip(SKIP_2) | instid1(VALU_DEP_1)
	v_rcp_iflag_f32_e32 v2, v2
	s_waitcnt_depctr 0xfff
	v_mul_f32_e32 v2, 0x4f7ffffe, v2
	v_cvt_u32_f32_e32 v2, v2
	s_delay_alu instid0(VALU_DEP_1) | instskip(NEXT) | instid1(VALU_DEP_1)
	v_readfirstlane_b32 s7, v2
	s_mul_i32 s21, s21, s7
	s_delay_alu instid0(SALU_CYCLE_1) | instskip(NEXT) | instid1(SALU_CYCLE_1)
	s_mul_hi_u32 s21, s7, s21
	s_add_i32 s7, s7, s21
	s_delay_alu instid0(SALU_CYCLE_1) | instskip(NEXT) | instid1(SALU_CYCLE_1)
	s_mul_hi_u32 s7, s26, s7
	s_mul_i32 s21, s7, s30
	s_add_i32 s28, s7, 1
	s_sub_i32 s21, s26, s21
	s_delay_alu instid0(SALU_CYCLE_1)
	s_sub_i32 s29, s21, s30
	s_cmp_ge_u32 s21, s30
	s_cselect_b32 s7, s28, s7
	s_cselect_b32 s21, s29, s21
	s_add_i32 s28, s7, 1
	s_cmp_ge_u32 s21, s30
	s_mov_b32 s29, 0
	s_cselect_b32 s28, s28, s7
.LBB8_7:
	s_delay_alu instid0(SALU_CYCLE_1)
	s_mul_i32 s7, s28, s31
	s_mul_hi_u32 s21, s28, s30
	s_mul_hi_u32 s36, s28, s4
	s_add_i32 s7, s21, s7
	s_mul_i32 s21, s29, s30
	s_mul_i32 s30, s28, s30
	s_add_i32 s7, s7, s21
	s_sub_u32 s34, s26, s30
	s_subb_u32 s35, s27, s7
	s_mul_i32 s37, s29, s4
	s_mul_i32 s30, s28, s4
	s_mul_hi_u32 s29, s34, s5
	s_mul_i32 s35, s35, s5
	s_mul_i32 s26, s34, s5
	s_mov_b32 s38, exec_lo
	v_cmpx_gt_i32_e64 s20, v1
	s_cbranch_execz .LBB8_10
; %bb.8:
	s_load_b64 s[42:43], s[0:1], 0x4
	s_load_b32 s27, s[2:3], 0x8c
	s_mul_i32 s1, s16, s9
	s_mul_hi_u32 s7, s16, s8
	s_mul_i32 s0, s16, s8
	s_add_i32 s1, s7, s1
	s_ashr_i32 s21, s20, 31
	s_lshl_b64 s[8:9], s[0:1], 1
	v_bfe_u32 v2, v0, 10, 10
	v_bfe_u32 v0, v0, 20, 10
	v_dual_mov_b32 v6, v1 :: v_dual_lshlrev_b32 v5, 1, v1
	s_waitcnt lgkmcnt(0)
	s_lshr_b32 s0, s42, 16
	s_add_u32 s1, s12, s8
	s_addc_u32 s39, s13, s9
	s_and_b32 s40, s27, 0xffff
	s_lshl_b64 s[44:45], s[20:21], 1
	s_ashr_i32 s31, s4, 31
	s_ashr_i32 s42, s5, 31
	;; [unrolled: 1-line block ×3, first 2 shown]
	s_lshl_b32 s41, s40, 1
	s_mul_i32 s0, s0, s43
	s_add_u32 s24, s24, s44
	s_addc_u32 s25, s25, s45
	v_mul_lo_u32 v3, s0, v1
	s_add_u32 s22, s22, s24
	s_addc_u32 s23, s23, s25
	s_add_u32 s8, s8, s44
	s_mul_i32 s0, s28, s31
	s_mul_i32 s27, s34, s42
	s_addc_u32 s9, s9, s45
	s_add_u32 s12, s12, s8
	s_addc_u32 s13, s13, s9
	s_add_i32 s0, s36, s0
	s_add_i32 s8, s29, s27
	;; [unrolled: 1-line block ×4, first 2 shown]
	v_mad_u32_u24 v2, v2, s43, v3
	s_lshl_b64 s[24:25], s[30:31], 2
	s_lshl_b64 s[42:43], s[26:27], 2
	;; [unrolled: 1-line block ×3, first 2 shown]
	s_add_u32 s0, s24, s42
	s_addc_u32 s21, s25, s43
	s_lshl_b64 s[24:25], s[6:7], 2
	v_add_lshl_u32 v0, v2, v0, 1
	v_lshlrev_b32_e32 v2, 2, v1
	s_add_u32 s0, s0, s24
	s_addc_u32 s7, s21, s25
	s_add_u32 s0, s18, s0
	s_addc_u32 s7, s19, s7
	v_add_co_u32 v2, s0, s0, v2
	v_add_nc_u32_e32 v4, 0x800, v0
	v_add_co_ci_u32_e64 v3, null, s7, 0, s0
	s_mov_b32 s7, 0
	s_lshl_b32 s21, s40, 2
.LBB8_9:                                ; =>This Inner Loop Header: Depth=1
	v_add_co_u32 v7, s0, s17, v5
	s_delay_alu instid0(VALU_DEP_1) | instskip(SKIP_1) | instid1(VALU_DEP_1)
	v_add_co_ci_u32_e64 v8, null, s33, 0, s0
	v_add_co_u32 v9, s0, s22, v5
	v_add_co_ci_u32_e64 v10, null, s23, 0, s0
	v_add_co_u32 v11, s0, s12, v5
	s_delay_alu instid0(VALU_DEP_1) | instskip(SKIP_1) | instid1(VALU_DEP_1)
	v_add_co_ci_u32_e64 v12, null, s13, 0, s0
	v_add_co_u32 v13, s0, s1, v5
	v_add_co_ci_u32_e64 v14, null, s39, 0, s0
	global_load_u16 v9, v[9:10], off
	global_load_u16 v10, v[11:12], off
	;; [unrolled: 1-line block ×4, first 2 shown]
	v_add_nc_u32_e32 v6, s40, v6
	s_add_u32 s17, s17, s41
	s_addc_u32 s33, s33, 0
	s_add_u32 s22, s22, s41
	s_addc_u32 s23, s23, 0
	;; [unrolled: 2-line block ×4, first 2 shown]
	s_waitcnt vmcnt(2)
	v_mul_f16_e32 v15, v9, v10
	s_waitcnt vmcnt(1)
	v_mul_f16_e32 v10, v7, v10
	s_waitcnt vmcnt(0)
	s_delay_alu instid0(VALU_DEP_2) | instskip(NEXT) | instid1(VALU_DEP_2)
	v_fma_f16 v15, v7, v8, -v15
	v_fmac_f16_e32 v10, v9, v8
	v_add_co_u32 v7, vcc_lo, v2, s8
	v_add_co_ci_u32_e32 v8, vcc_lo, s9, v3, vcc_lo
	ds_store_b16 v4, v15
	ds_load_b32 v9, v4
	ds_store_b16 v0, v10
	ds_load_b32 v16, v0
	v_cmp_le_i32_e32 vcc_lo, s20, v6
	s_or_b32 s7, vcc_lo, s7
	s_waitcnt lgkmcnt(2)
	global_store_b32 v[2:3], v9, off
	v_add_co_u32 v2, s0, v2, s21
	s_delay_alu instid0(VALU_DEP_1)
	v_add_co_ci_u32_e64 v3, s0, 0, v3, s0
	global_store_b16 v[13:14], v15, off
	global_store_b16 v[11:12], v10, off
	s_waitcnt lgkmcnt(0)
	global_store_b32 v[7:8], v16, off
	s_and_not1_b32 exec_lo, exec_lo, s7
	s_cbranch_execnz .LBB8_9
.LBB8_10:
	s_or_b32 exec_lo, exec_lo, s38
	s_delay_alu instid0(SALU_CYCLE_1)
	s_mov_b32 s0, exec_lo
	v_cmpx_gt_i32_e64 s6, v1
	s_cbranch_execz .LBB8_13
; %bb.11:
	s_mul_i32 s1, s16, s11
	s_mul_hi_u32 s7, s16, s10
	s_mul_i32 s0, s16, s10
	s_add_i32 s1, s7, s1
	s_delay_alu instid0(SALU_CYCLE_1) | instskip(NEXT) | instid1(SALU_CYCLE_1)
	s_lshl_b64 s[8:9], s[0:1], 1
	s_add_u32 s1, s14, s8
	s_addc_u32 s7, s15, s9
	s_ashr_i32 s0, s4, 31
	s_load_b32 s4, s[2:3], 0x8c
	s_mul_i32 s0, s28, s0
	s_delay_alu instid0(SALU_CYCLE_1) | instskip(NEXT) | instid1(SALU_CYCLE_1)
	s_add_i32 s0, s36, s0
	s_add_i32 s31, s0, s37
	s_delay_alu instid0(SALU_CYCLE_1) | instskip(NEXT) | instid1(SALU_CYCLE_1)
	s_lshl_b64 s[2:3], s[30:31], 2
	s_add_u32 s0, s18, s2
	s_addc_u32 s8, s19, s3
	s_ashr_i32 s2, s5, 31
	s_mov_b32 s5, 0
	s_mul_i32 s34, s34, s2
	s_delay_alu instid0(SALU_CYCLE_1) | instskip(NEXT) | instid1(SALU_CYCLE_1)
	s_add_i32 s2, s29, s34
	s_add_i32 s27, s2, s35
	s_delay_alu instid0(SALU_CYCLE_1) | instskip(NEXT) | instid1(SALU_CYCLE_1)
	s_lshl_b64 s[2:3], s[26:27], 2
	s_add_u32 s2, s0, s2
	s_addc_u32 s3, s8, s3
	s_waitcnt lgkmcnt(0)
	s_and_b32 s4, s4, 0xffff
	.p2align	6
.LBB8_12:                               ; =>This Inner Loop Header: Depth=1
	v_ashrrev_i32_e32 v2, 31, v1
	s_delay_alu instid0(VALU_DEP_1) | instskip(NEXT) | instid1(VALU_DEP_1)
	v_lshlrev_b64 v[3:4], 1, v[1:2]
	v_add_co_u32 v3, vcc_lo, s1, v3
	s_delay_alu instid0(VALU_DEP_2) | instskip(SKIP_3) | instid1(VALU_DEP_1)
	v_add_co_ci_u32_e32 v4, vcc_lo, s7, v4, vcc_lo
	global_load_b32 v0, v[3:4], off
	v_lshlrev_b64 v[2:3], 2, v[1:2]
	v_add_nc_u32_e32 v1, s4, v1
	v_cmp_le_i32_e32 vcc_lo, s6, v1
	s_delay_alu instid0(VALU_DEP_3) | instskip(NEXT) | instid1(VALU_DEP_1)
	v_add_co_u32 v2, s0, s2, v2
	v_add_co_ci_u32_e64 v3, s0, s3, v3, s0
	s_or_b32 s5, vcc_lo, s5
	s_waitcnt vmcnt(0)
	global_store_b32 v[2:3], v0, off
	s_and_not1_b32 exec_lo, exec_lo, s5
	s_cbranch_execnz .LBB8_12
.LBB8_13:
	s_nop 0
	s_sendmsg sendmsg(MSG_DEALLOC_VGPRS)
	s_endpgm
.LBB8_14:
                                        ; implicit-def: $sgpr28_sgpr29
	s_branch .LBB8_6
	.section	.rodata,"a",@progbits
	.p2align	6, 0x0
	.amdhsa_kernel _ZN4vllm38concat_and_cache_mla_rope_fused_kernelIN3c104HalfES2_Lb1EffLNS_18Fp8KVCacheDataTypeE0EEEvPKlPT_S7_PKS6_PKT0_illlliPT3_S5_iiiiPKf
		.amdhsa_group_segment_fixed_size 4096
		.amdhsa_private_segment_fixed_size 0
		.amdhsa_kernarg_size 384
		.amdhsa_user_sgpr_count 15
		.amdhsa_user_sgpr_dispatch_ptr 1
		.amdhsa_user_sgpr_queue_ptr 0
		.amdhsa_user_sgpr_kernarg_segment_ptr 1
		.amdhsa_user_sgpr_dispatch_id 0
		.amdhsa_user_sgpr_private_segment_size 0
		.amdhsa_wavefront_size32 1
		.amdhsa_uses_dynamic_stack 0
		.amdhsa_enable_private_segment 0
		.amdhsa_system_sgpr_workgroup_id_x 1
		.amdhsa_system_sgpr_workgroup_id_y 0
		.amdhsa_system_sgpr_workgroup_id_z 0
		.amdhsa_system_sgpr_workgroup_info 0
		.amdhsa_system_vgpr_workitem_id 2
		.amdhsa_next_free_vgpr 17
		.amdhsa_next_free_sgpr 47
		.amdhsa_reserve_vcc 1
		.amdhsa_float_round_mode_32 0
		.amdhsa_float_round_mode_16_64 0
		.amdhsa_float_denorm_mode_32 3
		.amdhsa_float_denorm_mode_16_64 3
		.amdhsa_dx10_clamp 1
		.amdhsa_ieee_mode 1
		.amdhsa_fp16_overflow 0
		.amdhsa_workgroup_processor_mode 1
		.amdhsa_memory_ordered 1
		.amdhsa_forward_progress 0
		.amdhsa_shared_vgpr_count 0
		.amdhsa_exception_fp_ieee_invalid_op 0
		.amdhsa_exception_fp_denorm_src 0
		.amdhsa_exception_fp_ieee_div_zero 0
		.amdhsa_exception_fp_ieee_overflow 0
		.amdhsa_exception_fp_ieee_underflow 0
		.amdhsa_exception_fp_ieee_inexact 0
		.amdhsa_exception_int_div_zero 0
	.end_amdhsa_kernel
	.section	.text._ZN4vllm38concat_and_cache_mla_rope_fused_kernelIN3c104HalfES2_Lb1EffLNS_18Fp8KVCacheDataTypeE0EEEvPKlPT_S7_PKS6_PKT0_illlliPT3_S5_iiiiPKf,"axG",@progbits,_ZN4vllm38concat_and_cache_mla_rope_fused_kernelIN3c104HalfES2_Lb1EffLNS_18Fp8KVCacheDataTypeE0EEEvPKlPT_S7_PKS6_PKT0_illlliPT3_S5_iiiiPKf,comdat
.Lfunc_end8:
	.size	_ZN4vllm38concat_and_cache_mla_rope_fused_kernelIN3c104HalfES2_Lb1EffLNS_18Fp8KVCacheDataTypeE0EEEvPKlPT_S7_PKS6_PKT0_illlliPT3_S5_iiiiPKf, .Lfunc_end8-_ZN4vllm38concat_and_cache_mla_rope_fused_kernelIN3c104HalfES2_Lb1EffLNS_18Fp8KVCacheDataTypeE0EEEvPKlPT_S7_PKS6_PKT0_illlliPT3_S5_iiiiPKf
                                        ; -- End function
	.section	.AMDGPU.csdata,"",@progbits
; Kernel info:
; codeLenInByte = 2440
; NumSgprs: 49
; NumVgprs: 17
; ScratchSize: 0
; MemoryBound: 0
; FloatMode: 240
; IeeeMode: 1
; LDSByteSize: 4096 bytes/workgroup (compile time only)
; SGPRBlocks: 6
; VGPRBlocks: 2
; NumSGPRsForWavesPerEU: 49
; NumVGPRsForWavesPerEU: 17
; Occupancy: 16
; WaveLimiterHint : 1
; COMPUTE_PGM_RSRC2:SCRATCH_EN: 0
; COMPUTE_PGM_RSRC2:USER_SGPR: 15
; COMPUTE_PGM_RSRC2:TRAP_HANDLER: 0
; COMPUTE_PGM_RSRC2:TGID_X_EN: 1
; COMPUTE_PGM_RSRC2:TGID_Y_EN: 0
; COMPUTE_PGM_RSRC2:TGID_Z_EN: 0
; COMPUTE_PGM_RSRC2:TIDIG_COMP_CNT: 2
	.section	.text._ZN4vllm38concat_and_cache_mla_rope_fused_kernelIN3c104HalfES2_Lb0EffLNS_18Fp8KVCacheDataTypeE0EEEvPKlPT_S7_PKS6_PKT0_illlliPT3_S5_iiiiPKf,"axG",@progbits,_ZN4vllm38concat_and_cache_mla_rope_fused_kernelIN3c104HalfES2_Lb0EffLNS_18Fp8KVCacheDataTypeE0EEEvPKlPT_S7_PKS6_PKT0_illlliPT3_S5_iiiiPKf,comdat
	.protected	_ZN4vllm38concat_and_cache_mla_rope_fused_kernelIN3c104HalfES2_Lb0EffLNS_18Fp8KVCacheDataTypeE0EEEvPKlPT_S7_PKS6_PKT0_illlliPT3_S5_iiiiPKf ; -- Begin function _ZN4vllm38concat_and_cache_mla_rope_fused_kernelIN3c104HalfES2_Lb0EffLNS_18Fp8KVCacheDataTypeE0EEEvPKlPT_S7_PKS6_PKT0_illlliPT3_S5_iiiiPKf
	.globl	_ZN4vllm38concat_and_cache_mla_rope_fused_kernelIN3c104HalfES2_Lb0EffLNS_18Fp8KVCacheDataTypeE0EEEvPKlPT_S7_PKS6_PKT0_illlliPT3_S5_iiiiPKf
	.p2align	8
	.type	_ZN4vllm38concat_and_cache_mla_rope_fused_kernelIN3c104HalfES2_Lb0EffLNS_18Fp8KVCacheDataTypeE0EEEvPKlPT_S7_PKS6_PKT0_illlliPT3_S5_iiiiPKf,@function
_ZN4vllm38concat_and_cache_mla_rope_fused_kernelIN3c104HalfES2_Lb0EffLNS_18Fp8KVCacheDataTypeE0EEEvPKlPT_S7_PKS6_PKT0_illlliPT3_S5_iiiiPKf: ; @_ZN4vllm38concat_and_cache_mla_rope_fused_kernelIN3c104HalfES2_Lb0EffLNS_18Fp8KVCacheDataTypeE0EEEvPKlPT_S7_PKS6_PKT0_illlliPT3_S5_iiiiPKf
; %bb.0:
	s_load_b64 s[6:7], s[2:3], 0x60
	s_mov_b32 s16, s15
	s_mov_b32 s17, 0
	s_delay_alu instid0(SALU_CYCLE_1)
	s_lshl_b64 s[4:5], s[16:17], 3
	s_waitcnt lgkmcnt(0)
	s_add_u32 s6, s6, s4
	s_addc_u32 s7, s7, s5
	s_load_b64 s[24:25], s[6:7], 0x0
	s_waitcnt lgkmcnt(0)
	v_cmp_lt_i64_e64 s6, s[24:25], 0
	s_delay_alu instid0(VALU_DEP_1)
	s_and_b32 vcc_lo, exec_lo, s6
	s_cbranch_vccnz .LBB9_13
; %bb.1:
	s_clause 0x3
	s_load_b32 s21, s[2:3], 0x28
	s_load_b64 s[6:7], s[2:3], 0x0
	s_load_b128 s[12:15], s[2:3], 0x10
	s_load_b32 s17, s[2:3], 0x50
	v_and_b32_e32 v1, 0x3ff, v0
	s_delay_alu instid0(VALU_DEP_1)
	v_lshlrev_b32_e32 v4, 1, v1
	s_waitcnt lgkmcnt(0)
	s_ashr_i32 s28, s21, 31
	s_add_u32 s4, s6, s4
	s_addc_u32 s5, s7, s5
	s_lshr_b32 s20, s21, 31
	s_load_b64 s[26:27], s[4:5], 0x0
	s_clause 0x2
	s_load_b64 s[22:23], s[2:3], 0x20
	s_load_b64 s[18:19], s[2:3], 0x58
	s_load_b256 s[4:11], s[2:3], 0x30
	s_add_i32 s20, s21, s20
	s_delay_alu instid0(SALU_CYCLE_1) | instskip(NEXT) | instid1(SALU_CYCLE_1)
	s_ashr_i32 s20, s20, 1
	s_mul_i32 s17, s20, s17
	s_waitcnt lgkmcnt(0)
	s_mul_i32 s28, s26, s28
	s_mul_hi_u32 s29, s26, s21
	s_mul_i32 s27, s27, s21
	s_add_i32 s28, s29, s28
	s_mul_i32 s26, s26, s21
	s_add_i32 s27, s28, s27
	s_mov_b32 s28, exec_lo
	v_cmpx_gt_i32_e64 s17, v1
	s_cbranch_execz .LBB9_4
; %bb.2:
	s_clause 0x1
	s_load_b64 s[34:35], s[2:3], 0x8
	s_load_b32 s36, s[2:3], 0x8c
	s_lshl_b64 s[30:31], s[26:27], 1
	s_mul_i32 s5, s16, s5
	s_mul_hi_u32 s21, s16, s4
	s_add_u32 s29, s22, s30
	s_mul_i32 s4, s16, s4
	s_addc_u32 s30, s23, s31
	s_add_i32 s5, s21, s5
	s_ashr_i32 s21, s20, 31
	s_lshl_b64 s[4:5], s[4:5], 1
	s_waitcnt lgkmcnt(0)
	s_add_u32 s31, s34, s4
	s_addc_u32 s33, s35, s5
	s_abs_i32 s34, s20
	s_and_b32 s36, s36, 0xffff
	v_cvt_f32_u32_e32 v2, s34
	s_sub_i32 s4, 0, s34
	s_mov_b32 s35, 0
	s_sub_i32 s37, 0, s20
	s_lshl_b32 s39, s36, 1
	v_rcp_iflag_f32_e32 v2, v2
	s_waitcnt_depctr 0xfff
	v_mul_f32_e32 v2, 0x4f7ffffe, v2
	s_delay_alu instid0(VALU_DEP_1) | instskip(NEXT) | instid1(VALU_DEP_1)
	v_cvt_u32_f32_e32 v3, v2
	v_mul_lo_u32 v2, s4, v3
	s_lshl_b32 s4, s20, 1
	s_delay_alu instid0(SALU_CYCLE_1) | instskip(SKIP_1) | instid1(VALU_DEP_1)
	s_sub_i32 s38, 0, s4
	s_lshl_b64 s[4:5], s[20:21], 1
	v_mul_hi_u32 v5, v3, v2
	s_delay_alu instid0(VALU_DEP_1)
	v_dual_mov_b32 v2, v4 :: v_dual_add_nc_u32 v5, v3, v5
	v_mov_b32_e32 v3, v1
.LBB9_3:                                ; =>This Inner Loop Header: Depth=1
	s_delay_alu instid0(VALU_DEP_1) | instskip(SKIP_1) | instid1(VALU_DEP_2)
	v_sub_nc_u32_e32 v6, 0, v3
	v_ashrrev_i32_e32 v7, 31, v3
	v_max_i32_e32 v6, v3, v6
	s_delay_alu instid0(VALU_DEP_2) | instskip(NEXT) | instid1(VALU_DEP_2)
	v_xor_b32_e32 v7, s21, v7
	v_mul_hi_u32 v8, v6, v5
	s_delay_alu instid0(VALU_DEP_1) | instskip(SKIP_1) | instid1(VALU_DEP_2)
	v_mul_lo_u32 v9, v8, s34
	v_add_nc_u32_e32 v10, 1, v8
	v_sub_nc_u32_e32 v6, v6, v9
	s_delay_alu instid0(VALU_DEP_1) | instskip(SKIP_1) | instid1(VALU_DEP_4)
	v_subrev_nc_u32_e32 v9, s34, v6
	v_cmp_le_u32_e32 vcc_lo, s34, v6
	v_cndmask_b32_e32 v8, v8, v10, vcc_lo
	s_delay_alu instid0(VALU_DEP_1) | instskip(NEXT) | instid1(VALU_DEP_1)
	v_dual_cndmask_b32 v6, v6, v9 :: v_dual_add_nc_u32 v9, 1, v8
	v_cmp_le_u32_e32 vcc_lo, s34, v6
	s_delay_alu instid0(VALU_DEP_2) | instskip(NEXT) | instid1(VALU_DEP_1)
	v_cndmask_b32_e32 v6, v8, v9, vcc_lo
	v_xor_b32_e32 v6, v6, v7
	s_delay_alu instid0(VALU_DEP_1) | instskip(NEXT) | instid1(VALU_DEP_1)
	v_sub_nc_u32_e32 v12, v6, v7
	v_mad_u64_u32 v[6:7], null, s37, v12, v[3:4]
	v_ashrrev_i32_e32 v7, 31, v12
	v_mul_lo_u32 v13, v12, s7
	v_mad_u64_u32 v[8:9], null, v12, s6, 0
	v_mad_u64_u32 v[10:11], null, s38, v12, v[2:3]
	s_delay_alu instid0(VALU_DEP_4) | instskip(SKIP_3) | instid1(VALU_DEP_3)
	v_mul_lo_u32 v12, v7, s6
	v_ashrrev_i32_e32 v7, 31, v6
	v_add_nc_u32_e32 v3, s36, v3
	v_add_nc_u32_e32 v2, s39, v2
	v_lshlrev_b64 v[6:7], 1, v[6:7]
	v_ashrrev_i32_e32 v11, 31, v10
	v_add3_u32 v9, v9, v13, v12
	s_delay_alu instid0(VALU_DEP_3) | instskip(NEXT) | instid1(VALU_DEP_2)
	v_add_co_u32 v6, vcc_lo, s29, v6
	v_lshlrev_b64 v[8:9], 1, v[8:9]
	s_delay_alu instid0(VALU_DEP_4) | instskip(SKIP_1) | instid1(VALU_DEP_3)
	v_lshlrev_b64 v[10:11], 1, v[10:11]
	v_add_co_ci_u32_e32 v7, vcc_lo, s30, v7, vcc_lo
	v_add_co_u32 v8, vcc_lo, s31, v8
	s_delay_alu instid0(VALU_DEP_4) | instskip(NEXT) | instid1(VALU_DEP_2)
	v_add_co_ci_u32_e32 v9, vcc_lo, s33, v9, vcc_lo
	v_add_co_u32 v8, vcc_lo, v8, v10
	s_delay_alu instid0(VALU_DEP_2)
	v_add_co_ci_u32_e32 v9, vcc_lo, v9, v11, vcc_lo
	v_add_co_u32 v10, vcc_lo, v6, s4
	v_add_co_ci_u32_e32 v11, vcc_lo, s5, v7, vcc_lo
	global_load_b32 v12, v[8:9], off
	s_clause 0x1
	global_load_u16 v6, v[6:7], off
	global_load_u16 v7, v[10:11], off
	v_cmp_le_i32_e32 vcc_lo, s17, v3
	s_or_b32 s35, vcc_lo, s35
	s_waitcnt vmcnt(2)
	v_lshrrev_b32_e32 v10, 16, v12
	s_waitcnt vmcnt(0)
	s_delay_alu instid0(VALU_DEP_1) | instskip(SKIP_1) | instid1(VALU_DEP_2)
	v_mul_f16_e32 v11, v7, v10
	v_mul_f16_e32 v10, v6, v10
	v_fma_f16 v6, v6, v12, -v11
	s_delay_alu instid0(VALU_DEP_2) | instskip(NEXT) | instid1(VALU_DEP_1)
	v_fmac_f16_e32 v10, v7, v12
	v_pack_b32_f16 v6, v6, v10
	global_store_b32 v[8:9], v6, off
	s_and_not1_b32 exec_lo, exec_lo, s35
	s_cbranch_execnz .LBB9_3
.LBB9_4:
	s_or_b32 exec_lo, exec_lo, s28
	s_load_b128 s[4:7], s[2:3], 0x68
	s_waitcnt lgkmcnt(0)
	s_ashr_i32 s31, s7, 31
	s_mov_b32 s30, s7
	s_delay_alu instid0(SALU_CYCLE_1) | instskip(SKIP_1) | instid1(SALU_CYCLE_1)
	s_or_b64 s[34:35], s[24:25], s[30:31]
	s_mov_b32 s34, 0
	s_cmp_lg_u64 s[34:35], 0
	s_cbranch_scc0 .LBB9_14
; %bb.5:
	s_add_u32 s36, s30, s31
	s_mov_b32 s28, s31
	s_mov_b32 s29, s31
	s_addc_u32 s37, s31, s31
	s_delay_alu instid0(SALU_CYCLE_1) | instskip(NEXT) | instid1(SALU_CYCLE_1)
	s_xor_b64 s[36:37], s[36:37], s[28:29]
	v_cvt_f32_u32_e32 v2, s36
	v_cvt_f32_u32_e32 v3, s37
	s_sub_u32 s21, 0, s36
	s_subb_u32 s33, 0, s37
	s_delay_alu instid0(VALU_DEP_1) | instskip(NEXT) | instid1(VALU_DEP_1)
	v_fmamk_f32 v2, v3, 0x4f800000, v2
	v_rcp_f32_e32 v2, v2
	s_waitcnt_depctr 0xfff
	v_mul_f32_e32 v2, 0x5f7ffffc, v2
	s_delay_alu instid0(VALU_DEP_1) | instskip(NEXT) | instid1(VALU_DEP_1)
	v_mul_f32_e32 v3, 0x2f800000, v2
	v_trunc_f32_e32 v3, v3
	s_delay_alu instid0(VALU_DEP_1) | instskip(SKIP_1) | instid1(VALU_DEP_2)
	v_fmamk_f32 v2, v3, 0xcf800000, v2
	v_cvt_u32_f32_e32 v3, v3
	v_cvt_u32_f32_e32 v2, v2
	s_delay_alu instid0(VALU_DEP_2) | instskip(NEXT) | instid1(VALU_DEP_2)
	v_readfirstlane_b32 s7, v3
	v_readfirstlane_b32 s17, v2
	s_delay_alu instid0(VALU_DEP_2) | instskip(NEXT) | instid1(VALU_DEP_1)
	s_mul_i32 s35, s21, s7
	s_mul_hi_u32 s39, s21, s17
	s_mul_i32 s38, s33, s17
	s_add_i32 s35, s39, s35
	s_mul_i32 s40, s21, s17
	s_add_i32 s35, s35, s38
	s_mul_hi_u32 s39, s17, s40
	s_mul_hi_u32 s41, s7, s40
	s_mul_i32 s38, s7, s40
	s_mul_hi_u32 s40, s17, s35
	s_mul_i32 s17, s17, s35
	s_mul_hi_u32 s42, s7, s35
	s_add_u32 s17, s39, s17
	s_addc_u32 s39, 0, s40
	s_add_u32 s17, s17, s38
	s_mul_i32 s35, s7, s35
	s_addc_u32 s17, s39, s41
	s_addc_u32 s38, s42, 0
	s_add_u32 s17, s17, s35
	s_addc_u32 s35, 0, s38
	v_add_co_u32 v2, s17, v2, s17
	s_delay_alu instid0(VALU_DEP_1) | instskip(SKIP_1) | instid1(VALU_DEP_1)
	s_cmp_lg_u32 s17, 0
	s_addc_u32 s7, s7, s35
	v_readfirstlane_b32 s17, v2
	s_mul_i32 s35, s21, s7
	s_delay_alu instid0(VALU_DEP_1)
	s_mul_hi_u32 s38, s21, s17
	s_mul_i32 s33, s33, s17
	s_add_i32 s35, s38, s35
	s_mul_i32 s21, s21, s17
	s_add_i32 s35, s35, s33
	s_mul_hi_u32 s38, s7, s21
	s_mul_i32 s39, s7, s21
	s_mul_hi_u32 s21, s17, s21
	s_mul_hi_u32 s40, s17, s35
	s_mul_i32 s17, s17, s35
	s_mul_hi_u32 s33, s7, s35
	s_add_u32 s17, s21, s17
	s_addc_u32 s21, 0, s40
	s_add_u32 s17, s17, s39
	s_mul_i32 s35, s7, s35
	s_addc_u32 s17, s21, s38
	s_addc_u32 s21, s33, 0
	s_add_u32 s17, s17, s35
	s_addc_u32 s21, 0, s21
	v_add_co_u32 v2, s17, v2, s17
	s_delay_alu instid0(VALU_DEP_1) | instskip(SKIP_2) | instid1(VALU_DEP_1)
	s_cmp_lg_u32 s17, 0
	s_addc_u32 s7, s7, s21
	s_ashr_i32 s38, s25, 31
	v_readfirstlane_b32 s17, v2
	s_add_u32 s40, s24, s38
	s_mov_b32 s39, s38
	s_addc_u32 s41, s25, s38
	s_delay_alu instid0(SALU_CYCLE_1) | instskip(NEXT) | instid1(SALU_CYCLE_1)
	s_xor_b64 s[40:41], s[40:41], s[38:39]
	s_mul_i32 s33, s40, s7
	s_mul_hi_u32 s35, s40, s17
	s_mul_hi_u32 s21, s40, s7
	;; [unrolled: 1-line block ×3, first 2 shown]
	s_mul_i32 s17, s41, s17
	s_add_u32 s33, s35, s33
	s_addc_u32 s21, 0, s21
	s_mul_hi_u32 s42, s41, s7
	s_add_u32 s17, s33, s17
	s_mul_i32 s7, s41, s7
	s_addc_u32 s17, s21, s43
	s_addc_u32 s21, s42, 0
	s_add_u32 s7, s17, s7
	s_addc_u32 s17, 0, s21
	s_mul_hi_u32 s21, s36, s7
	s_mul_i32 s35, s36, s17
	s_mul_i32 s42, s36, s7
	s_add_i32 s21, s21, s35
	v_sub_co_u32 v2, s35, s40, s42
	s_mul_i32 s33, s37, s7
	s_delay_alu instid0(SALU_CYCLE_1) | instskip(NEXT) | instid1(VALU_DEP_1)
	s_add_i32 s21, s21, s33
	v_sub_co_u32 v3, s40, v2, s36
	s_sub_i32 s33, s41, s21
	s_cmp_lg_u32 s35, 0
	s_subb_u32 s33, s33, s37
	s_cmp_lg_u32 s40, 0
	v_readfirstlane_b32 s40, v3
	s_subb_u32 s33, s33, 0
	s_delay_alu instid0(SALU_CYCLE_1) | instskip(SKIP_1) | instid1(VALU_DEP_1)
	s_cmp_ge_u32 s33, s37
	s_cselect_b32 s42, -1, 0
	s_cmp_ge_u32 s40, s36
	s_cselect_b32 s40, -1, 0
	s_cmp_eq_u32 s33, s37
	s_cselect_b32 s33, s40, s42
	s_add_u32 s40, s7, 1
	s_addc_u32 s42, s17, 0
	s_add_u32 s43, s7, 2
	s_addc_u32 s44, s17, 0
	s_cmp_lg_u32 s33, 0
	s_cselect_b32 s33, s43, s40
	s_cselect_b32 s40, s44, s42
	s_cmp_lg_u32 s35, 0
	v_readfirstlane_b32 s35, v2
	s_subb_u32 s21, s41, s21
	s_delay_alu instid0(SALU_CYCLE_1) | instskip(SKIP_1) | instid1(VALU_DEP_1)
	s_cmp_ge_u32 s21, s37
	s_cselect_b32 s41, -1, 0
	s_cmp_ge_u32 s35, s36
	s_cselect_b32 s35, -1, 0
	s_cmp_eq_u32 s21, s37
	s_cselect_b32 s21, s35, s41
	s_delay_alu instid0(SALU_CYCLE_1) | instskip(SKIP_3) | instid1(SALU_CYCLE_1)
	s_cmp_lg_u32 s21, 0
	s_cselect_b32 s37, s40, s17
	s_cselect_b32 s36, s33, s7
	s_xor_b64 s[28:29], s[38:39], s[28:29]
	s_xor_b64 s[36:37], s[36:37], s[28:29]
	s_delay_alu instid0(SALU_CYCLE_1)
	s_sub_u32 s28, s36, s28
	s_subb_u32 s29, s37, s29
	s_and_not1_b32 vcc_lo, exec_lo, s34
	s_cbranch_vccnz .LBB9_7
.LBB9_6:
	v_cvt_f32_u32_e32 v2, s30
	s_sub_i32 s17, 0, s30
	s_mov_b32 s29, 0
	s_delay_alu instid0(VALU_DEP_1) | instskip(SKIP_2) | instid1(VALU_DEP_1)
	v_rcp_iflag_f32_e32 v2, v2
	s_waitcnt_depctr 0xfff
	v_mul_f32_e32 v2, 0x4f7ffffe, v2
	v_cvt_u32_f32_e32 v2, v2
	s_delay_alu instid0(VALU_DEP_1) | instskip(NEXT) | instid1(VALU_DEP_1)
	v_readfirstlane_b32 s7, v2
	s_mul_i32 s17, s17, s7
	s_delay_alu instid0(SALU_CYCLE_1) | instskip(NEXT) | instid1(SALU_CYCLE_1)
	s_mul_hi_u32 s17, s7, s17
	s_add_i32 s7, s7, s17
	s_delay_alu instid0(SALU_CYCLE_1) | instskip(NEXT) | instid1(SALU_CYCLE_1)
	s_mul_hi_u32 s7, s24, s7
	s_mul_i32 s17, s7, s30
	s_add_i32 s21, s7, 1
	s_sub_i32 s17, s24, s17
	s_delay_alu instid0(SALU_CYCLE_1)
	s_sub_i32 s28, s17, s30
	s_cmp_ge_u32 s17, s30
	s_cselect_b32 s7, s21, s7
	s_cselect_b32 s17, s28, s17
	s_add_i32 s21, s7, 1
	s_cmp_ge_u32 s17, s30
	s_cselect_b32 s28, s21, s7
.LBB9_7:
	s_delay_alu instid0(SALU_CYCLE_1)
	s_mul_i32 s7, s28, s31
	s_mul_hi_u32 s17, s28, s30
	s_mul_i32 s21, s28, s30
	s_add_i32 s7, s17, s7
	s_mul_i32 s17, s29, s30
	s_mul_hi_u32 s34, s28, s4
	s_add_i32 s7, s7, s17
	s_sub_u32 s17, s24, s21
	s_subb_u32 s33, s25, s7
	s_mul_i32 s35, s29, s4
	s_mul_i32 s30, s28, s4
	s_mul_hi_u32 s29, s17, s5
	s_mul_i32 s33, s33, s5
	s_mul_i32 s24, s17, s5
	s_mov_b32 s36, exec_lo
	v_cmpx_gt_i32_e64 s20, v1
	s_cbranch_execz .LBB9_10
; %bb.8:
	s_load_b64 s[38:39], s[0:1], 0x4
	s_load_b32 s0, s[2:3], 0x8c
	s_ashr_i32 s1, s4, 31
	s_lshl_b64 s[26:27], s[26:27], 1
	s_mul_i32 s37, s9, s16
	s_ashr_i32 s21, s20, 31
	s_ashr_i32 s25, s5, 31
	;; [unrolled: 1-line block ×3, first 2 shown]
	s_mul_i32 s31, s28, s1
	s_mul_i32 s25, s17, s25
	v_bfe_u32 v2, v0, 10, 10
	v_bfe_u32 v0, v0, 20, 10
	v_lshlrev_b32_e32 v5, 3, v1
	s_mul_hi_u32 s42, s8, s16
	v_mov_b32_e32 v9, v1
	s_waitcnt lgkmcnt(0)
	s_lshr_b32 s9, s38, 16
	s_and_b32 s1, s0, 0xffff
	s_add_u32 s0, s22, s26
	s_mul_i32 s22, s9, s39
	s_addc_u32 s38, s23, s27
	v_mul_lo_u32 v3, s22, v1
	s_add_i32 s23, s34, s31
	s_add_i32 s25, s29, s25
	;; [unrolled: 1-line block ×4, first 2 shown]
	s_lshl_b64 s[26:27], s[30:31], 2
	s_lshl_b64 s[40:41], s[24:25], 2
	s_lshl_b32 s9, s1, 1
	s_lshl_b64 s[22:23], s[20:21], 1
	s_add_u32 s21, s26, s40
	s_addc_u32 s25, s27, s41
	s_lshl_b64 s[26:27], s[6:7], 2
	v_mad_u32_u24 v6, v2, s39, v3
	v_add_co_u32 v2, s0, s0, v4
	s_delay_alu instid0(VALU_DEP_1)
	v_add_co_ci_u32_e64 v3, null, s38, 0, s0
	s_add_u32 s0, s18, s26
	s_addc_u32 s7, s19, s27
	s_add_u32 s0, s0, s21
	s_addc_u32 s7, s7, s25
	s_add_i32 s27, s42, s37
	s_mul_i32 s26, s8, s16
	v_add_lshl_u32 v0, v6, v0, 1
	v_add_co_u32 v4, s0, s0, v5
	v_lshlrev_b32_e32 v6, 2, v1
	s_lshl_b64 s[26:27], s[26:27], 1
	v_add_co_ci_u32_e64 v5, null, s7, 0, s0
	s_lshl_b32 s7, s1, 3
	s_add_u32 s0, s12, s26
	s_addc_u32 s8, s13, s27
	v_add_co_u32 v6, s0, s0, v6
	s_delay_alu instid0(VALU_DEP_1) | instskip(SKIP_2) | instid1(VALU_DEP_4)
	v_add_co_ci_u32_e64 v7, null, s8, 0, s0
	v_add_co_u32 v4, vcc_lo, v4, 4
	v_add_co_ci_u32_e32 v5, vcc_lo, 0, v5, vcc_lo
	v_add_co_u32 v6, vcc_lo, v6, 2
	v_add_nc_u32_e32 v8, 0x800, v0
	v_add_co_ci_u32_e32 v7, vcc_lo, 0, v7, vcc_lo
	s_mov_b32 s8, 0
	s_lshl_b32 s12, s1, 2
	s_set_inst_prefetch_distance 0x1
	.p2align	6
.LBB9_9:                                ; =>This Inner Loop Header: Depth=1
	v_add_co_u32 v10, vcc_lo, v2, s22
	v_add_co_ci_u32_e32 v11, vcc_lo, s23, v3, vcc_lo
	v_add_nc_u32_e32 v9, s1, v9
	global_load_b32 v12, v[6:7], off offset:-2
	s_clause 0x1
	global_load_u16 v13, v[2:3], off
	global_load_u16 v10, v[10:11], off
	v_add_co_u32 v2, vcc_lo, v2, s9
	v_add_co_ci_u32_e32 v3, vcc_lo, 0, v3, vcc_lo
	v_cmp_le_i32_e32 vcc_lo, s20, v9
	s_or_b32 s8, vcc_lo, s8
	s_waitcnt vmcnt(2)
	v_lshrrev_b32_e32 v11, 16, v12
	s_waitcnt vmcnt(0)
	s_delay_alu instid0(VALU_DEP_1) | instskip(SKIP_1) | instid1(VALU_DEP_2)
	v_mul_f16_e32 v14, v10, v11
	v_mul_f16_e32 v15, v13, v11
	v_fma_f16 v13, v13, v12, -v14
	s_delay_alu instid0(VALU_DEP_2)
	v_fmac_f16_e32 v15, v10, v12
	ds_store_b16 v8, v13
	ds_store_b16 v0, v15
	ds_load_b32 v10, v8
	ds_load_b32 v11, v0
	v_pack_b32_f16 v12, v13, v15
	global_store_b32 v[6:7], v12, off offset:-2
	v_add_co_u32 v6, s0, v6, s12
	s_delay_alu instid0(VALU_DEP_1) | instskip(SKIP_3) | instid1(VALU_DEP_1)
	v_add_co_ci_u32_e64 v7, s0, 0, v7, s0
	s_waitcnt lgkmcnt(0)
	global_store_b64 v[4:5], v[10:11], off offset:-4
	v_add_co_u32 v4, s0, v4, s7
	v_add_co_ci_u32_e64 v5, s0, 0, v5, s0
	s_and_not1_b32 exec_lo, exec_lo, s8
	s_cbranch_execnz .LBB9_9
.LBB9_10:
	s_set_inst_prefetch_distance 0x2
	s_or_b32 exec_lo, exec_lo, s36
	s_delay_alu instid0(SALU_CYCLE_1)
	s_mov_b32 s0, exec_lo
	v_cmpx_gt_i32_e64 s6, v1
	s_cbranch_execz .LBB9_13
; %bb.11:
	s_mul_i32 s1, s16, s11
	s_mul_hi_u32 s7, s16, s10
	s_mul_i32 s0, s16, s10
	s_add_i32 s1, s7, s1
	s_delay_alu instid0(SALU_CYCLE_1) | instskip(NEXT) | instid1(SALU_CYCLE_1)
	s_lshl_b64 s[8:9], s[0:1], 1
	s_add_u32 s1, s14, s8
	s_addc_u32 s7, s15, s9
	s_ashr_i32 s0, s4, 31
	s_load_b32 s4, s[2:3], 0x8c
	s_mul_i32 s0, s28, s0
	s_delay_alu instid0(SALU_CYCLE_1) | instskip(NEXT) | instid1(SALU_CYCLE_1)
	s_add_i32 s0, s34, s0
	s_add_i32 s31, s0, s35
	s_delay_alu instid0(SALU_CYCLE_1) | instskip(NEXT) | instid1(SALU_CYCLE_1)
	s_lshl_b64 s[2:3], s[30:31], 2
	s_add_u32 s0, s18, s2
	s_addc_u32 s8, s19, s3
	s_ashr_i32 s2, s5, 31
	s_mov_b32 s5, 0
	s_mul_i32 s17, s17, s2
	s_delay_alu instid0(SALU_CYCLE_1) | instskip(NEXT) | instid1(SALU_CYCLE_1)
	s_add_i32 s2, s29, s17
	s_add_i32 s25, s2, s33
	s_delay_alu instid0(SALU_CYCLE_1) | instskip(NEXT) | instid1(SALU_CYCLE_1)
	s_lshl_b64 s[2:3], s[24:25], 2
	s_add_u32 s2, s0, s2
	s_addc_u32 s3, s8, s3
	s_waitcnt lgkmcnt(0)
	s_and_b32 s4, s4, 0xffff
	.p2align	6
.LBB9_12:                               ; =>This Inner Loop Header: Depth=1
	v_ashrrev_i32_e32 v2, 31, v1
	s_delay_alu instid0(VALU_DEP_1) | instskip(NEXT) | instid1(VALU_DEP_1)
	v_lshlrev_b64 v[3:4], 1, v[1:2]
	v_add_co_u32 v3, vcc_lo, s1, v3
	s_delay_alu instid0(VALU_DEP_2) | instskip(SKIP_3) | instid1(VALU_DEP_1)
	v_add_co_ci_u32_e32 v4, vcc_lo, s7, v4, vcc_lo
	global_load_b32 v0, v[3:4], off
	v_lshlrev_b64 v[2:3], 2, v[1:2]
	v_add_nc_u32_e32 v1, s4, v1
	v_cmp_le_i32_e32 vcc_lo, s6, v1
	s_delay_alu instid0(VALU_DEP_3) | instskip(NEXT) | instid1(VALU_DEP_1)
	v_add_co_u32 v2, s0, s2, v2
	v_add_co_ci_u32_e64 v3, s0, s3, v3, s0
	s_or_b32 s5, vcc_lo, s5
	s_waitcnt vmcnt(0)
	global_store_b32 v[2:3], v0, off
	s_and_not1_b32 exec_lo, exec_lo, s5
	s_cbranch_execnz .LBB9_12
.LBB9_13:
	s_nop 0
	s_sendmsg sendmsg(MSG_DEALLOC_VGPRS)
	s_endpgm
.LBB9_14:
                                        ; implicit-def: $sgpr28_sgpr29
	s_branch .LBB9_6
	.section	.rodata,"a",@progbits
	.p2align	6, 0x0
	.amdhsa_kernel _ZN4vllm38concat_and_cache_mla_rope_fused_kernelIN3c104HalfES2_Lb0EffLNS_18Fp8KVCacheDataTypeE0EEEvPKlPT_S7_PKS6_PKT0_illlliPT3_S5_iiiiPKf
		.amdhsa_group_segment_fixed_size 4096
		.amdhsa_private_segment_fixed_size 0
		.amdhsa_kernarg_size 384
		.amdhsa_user_sgpr_count 15
		.amdhsa_user_sgpr_dispatch_ptr 1
		.amdhsa_user_sgpr_queue_ptr 0
		.amdhsa_user_sgpr_kernarg_segment_ptr 1
		.amdhsa_user_sgpr_dispatch_id 0
		.amdhsa_user_sgpr_private_segment_size 0
		.amdhsa_wavefront_size32 1
		.amdhsa_uses_dynamic_stack 0
		.amdhsa_enable_private_segment 0
		.amdhsa_system_sgpr_workgroup_id_x 1
		.amdhsa_system_sgpr_workgroup_id_y 0
		.amdhsa_system_sgpr_workgroup_id_z 0
		.amdhsa_system_sgpr_workgroup_info 0
		.amdhsa_system_vgpr_workitem_id 2
		.amdhsa_next_free_vgpr 16
		.amdhsa_next_free_sgpr 45
		.amdhsa_reserve_vcc 1
		.amdhsa_float_round_mode_32 0
		.amdhsa_float_round_mode_16_64 0
		.amdhsa_float_denorm_mode_32 3
		.amdhsa_float_denorm_mode_16_64 3
		.amdhsa_dx10_clamp 1
		.amdhsa_ieee_mode 1
		.amdhsa_fp16_overflow 0
		.amdhsa_workgroup_processor_mode 1
		.amdhsa_memory_ordered 1
		.amdhsa_forward_progress 0
		.amdhsa_shared_vgpr_count 0
		.amdhsa_exception_fp_ieee_invalid_op 0
		.amdhsa_exception_fp_denorm_src 0
		.amdhsa_exception_fp_ieee_div_zero 0
		.amdhsa_exception_fp_ieee_overflow 0
		.amdhsa_exception_fp_ieee_underflow 0
		.amdhsa_exception_fp_ieee_inexact 0
		.amdhsa_exception_int_div_zero 0
	.end_amdhsa_kernel
	.section	.text._ZN4vllm38concat_and_cache_mla_rope_fused_kernelIN3c104HalfES2_Lb0EffLNS_18Fp8KVCacheDataTypeE0EEEvPKlPT_S7_PKS6_PKT0_illlliPT3_S5_iiiiPKf,"axG",@progbits,_ZN4vllm38concat_and_cache_mla_rope_fused_kernelIN3c104HalfES2_Lb0EffLNS_18Fp8KVCacheDataTypeE0EEEvPKlPT_S7_PKS6_PKT0_illlliPT3_S5_iiiiPKf,comdat
.Lfunc_end9:
	.size	_ZN4vllm38concat_and_cache_mla_rope_fused_kernelIN3c104HalfES2_Lb0EffLNS_18Fp8KVCacheDataTypeE0EEEvPKlPT_S7_PKS6_PKT0_illlliPT3_S5_iiiiPKf, .Lfunc_end9-_ZN4vllm38concat_and_cache_mla_rope_fused_kernelIN3c104HalfES2_Lb0EffLNS_18Fp8KVCacheDataTypeE0EEEvPKlPT_S7_PKS6_PKT0_illlliPT3_S5_iiiiPKf
                                        ; -- End function
	.section	.AMDGPU.csdata,"",@progbits
; Kernel info:
; codeLenInByte = 2420
; NumSgprs: 47
; NumVgprs: 16
; ScratchSize: 0
; MemoryBound: 0
; FloatMode: 240
; IeeeMode: 1
; LDSByteSize: 4096 bytes/workgroup (compile time only)
; SGPRBlocks: 5
; VGPRBlocks: 1
; NumSGPRsForWavesPerEU: 47
; NumVGPRsForWavesPerEU: 16
; Occupancy: 16
; WaveLimiterHint : 1
; COMPUTE_PGM_RSRC2:SCRATCH_EN: 0
; COMPUTE_PGM_RSRC2:USER_SGPR: 15
; COMPUTE_PGM_RSRC2:TRAP_HANDLER: 0
; COMPUTE_PGM_RSRC2:TGID_X_EN: 1
; COMPUTE_PGM_RSRC2:TGID_Y_EN: 0
; COMPUTE_PGM_RSRC2:TGID_Z_EN: 0
; COMPUTE_PGM_RSRC2:TIDIG_COMP_CNT: 2
	.section	.text._ZN4vllm38concat_and_cache_mla_rope_fused_kernelIN3c104HalfENS1_8BFloat16ELb1EffLNS_18Fp8KVCacheDataTypeE0EEEvPKlPT_S8_PKS7_PKT0_illlliPT3_S6_iiiiPKf,"axG",@progbits,_ZN4vllm38concat_and_cache_mla_rope_fused_kernelIN3c104HalfENS1_8BFloat16ELb1EffLNS_18Fp8KVCacheDataTypeE0EEEvPKlPT_S8_PKS7_PKT0_illlliPT3_S6_iiiiPKf,comdat
	.protected	_ZN4vllm38concat_and_cache_mla_rope_fused_kernelIN3c104HalfENS1_8BFloat16ELb1EffLNS_18Fp8KVCacheDataTypeE0EEEvPKlPT_S8_PKS7_PKT0_illlliPT3_S6_iiiiPKf ; -- Begin function _ZN4vllm38concat_and_cache_mla_rope_fused_kernelIN3c104HalfENS1_8BFloat16ELb1EffLNS_18Fp8KVCacheDataTypeE0EEEvPKlPT_S8_PKS7_PKT0_illlliPT3_S6_iiiiPKf
	.globl	_ZN4vllm38concat_and_cache_mla_rope_fused_kernelIN3c104HalfENS1_8BFloat16ELb1EffLNS_18Fp8KVCacheDataTypeE0EEEvPKlPT_S8_PKS7_PKT0_illlliPT3_S6_iiiiPKf
	.p2align	8
	.type	_ZN4vllm38concat_and_cache_mla_rope_fused_kernelIN3c104HalfENS1_8BFloat16ELb1EffLNS_18Fp8KVCacheDataTypeE0EEEvPKlPT_S8_PKS7_PKT0_illlliPT3_S6_iiiiPKf,@function
_ZN4vllm38concat_and_cache_mla_rope_fused_kernelIN3c104HalfENS1_8BFloat16ELb1EffLNS_18Fp8KVCacheDataTypeE0EEEvPKlPT_S8_PKS7_PKT0_illlliPT3_S6_iiiiPKf: ; @_ZN4vllm38concat_and_cache_mla_rope_fused_kernelIN3c104HalfENS1_8BFloat16ELb1EffLNS_18Fp8KVCacheDataTypeE0EEEvPKlPT_S8_PKS7_PKT0_illlliPT3_S6_iiiiPKf
; %bb.0:
	s_load_b64 s[6:7], s[2:3], 0x60
	s_mov_b32 s16, s15
	s_mov_b32 s17, 0
	s_delay_alu instid0(SALU_CYCLE_1)
	s_lshl_b64 s[4:5], s[16:17], 3
	s_waitcnt lgkmcnt(0)
	s_add_u32 s6, s6, s4
	s_addc_u32 s7, s7, s5
	s_load_b64 s[26:27], s[6:7], 0x0
	s_waitcnt lgkmcnt(0)
	v_cmp_lt_i64_e64 s6, s[26:27], 0
	s_delay_alu instid0(VALU_DEP_1)
	s_and_b32 vcc_lo, exec_lo, s6
	s_cbranch_vccnz .LBB10_13
; %bb.1:
	s_clause 0x2
	s_load_b32 s28, s[2:3], 0x28
	s_load_b64 s[6:7], s[2:3], 0x0
	s_load_b128 s[12:15], s[2:3], 0x10
	v_and_b32_e32 v1, 0x3ff, v0
	s_waitcnt lgkmcnt(0)
	s_ashr_i32 s17, s28, 31
	s_add_u32 s4, s6, s4
	s_addc_u32 s5, s7, s5
	s_load_b64 s[20:21], s[4:5], 0x0
	s_clause 0x3
	s_load_b64 s[22:23], s[2:3], 0x20
	s_load_b32 s29, s[2:3], 0x50
	s_load_b64 s[18:19], s[2:3], 0x58
	s_load_b256 s[4:11], s[2:3], 0x30
	s_waitcnt lgkmcnt(0)
	s_mul_i32 s17, s20, s17
	s_mul_hi_u32 s24, s20, s28
	s_mul_i32 s21, s21, s28
	s_add_i32 s17, s24, s17
	s_mul_i32 s20, s20, s28
	s_add_i32 s21, s17, s21
	s_delay_alu instid0(SALU_CYCLE_1) | instskip(NEXT) | instid1(SALU_CYCLE_1)
	s_lshl_b64 s[24:25], s[20:21], 1
	s_add_u32 s17, s22, s24
	s_addc_u32 s33, s23, s25
	s_lshr_b32 s20, s28, 31
	s_delay_alu instid0(SALU_CYCLE_1) | instskip(NEXT) | instid1(SALU_CYCLE_1)
	s_add_i32 s28, s28, s20
	s_ashr_i32 s20, s28, 1
	s_delay_alu instid0(SALU_CYCLE_1)
	s_mul_i32 s28, s20, s29
	s_mov_b32 s29, exec_lo
	v_cmpx_gt_i32_e64 s28, v1
	s_cbranch_execz .LBB10_4
; %bb.2:
	s_clause 0x1
	s_load_b64 s[30:31], s[2:3], 0x8
	s_load_b32 s35, s[2:3], 0x8c
	s_mul_i32 s5, s16, s5
	s_mul_hi_u32 s21, s16, s4
	s_mul_i32 s4, s16, s4
	s_add_i32 s5, s21, s5
	s_ashr_i32 s21, s20, 31
	s_lshl_b64 s[4:5], s[4:5], 1
	s_mov_b32 s36, 0
	s_waitcnt lgkmcnt(0)
	s_add_u32 s30, s30, s4
	s_addc_u32 s31, s31, s5
	s_abs_i32 s34, s20
	s_and_b32 s35, s35, 0xffff
	v_cvt_f32_u32_e32 v2, s34
	s_sub_i32 s4, 0, s34
	s_sub_i32 s37, 0, s20
	s_delay_alu instid0(VALU_DEP_1) | instskip(SKIP_2) | instid1(VALU_DEP_1)
	v_rcp_iflag_f32_e32 v2, v2
	s_waitcnt_depctr 0xfff
	v_mul_f32_e32 v2, 0x4f7ffffe, v2
	v_cvt_u32_f32_e32 v2, v2
	s_delay_alu instid0(VALU_DEP_1) | instskip(SKIP_1) | instid1(VALU_DEP_1)
	v_mul_lo_u32 v3, s4, v2
	s_lshl_b64 s[4:5], s[20:21], 1
	v_mul_hi_u32 v3, v2, v3
	s_delay_alu instid0(VALU_DEP_1)
	v_dual_mov_b32 v2, v1 :: v_dual_add_nc_u32 v3, v2, v3
.LBB10_3:                               ; =>This Inner Loop Header: Depth=1
	s_delay_alu instid0(VALU_DEP_1) | instskip(SKIP_1) | instid1(VALU_DEP_2)
	v_sub_nc_u32_e32 v4, 0, v2
	v_ashrrev_i32_e32 v5, 31, v2
	v_max_i32_e32 v4, v2, v4
	s_delay_alu instid0(VALU_DEP_2) | instskip(NEXT) | instid1(VALU_DEP_2)
	v_xor_b32_e32 v5, s21, v5
	v_mul_hi_u32 v6, v4, v3
	s_delay_alu instid0(VALU_DEP_1) | instskip(SKIP_1) | instid1(VALU_DEP_2)
	v_mul_lo_u32 v7, v6, s34
	v_add_nc_u32_e32 v8, 1, v6
	v_sub_nc_u32_e32 v4, v4, v7
	s_delay_alu instid0(VALU_DEP_1) | instskip(SKIP_1) | instid1(VALU_DEP_4)
	v_subrev_nc_u32_e32 v7, s34, v4
	v_cmp_le_u32_e32 vcc_lo, s34, v4
	v_cndmask_b32_e32 v6, v6, v8, vcc_lo
	s_delay_alu instid0(VALU_DEP_1) | instskip(NEXT) | instid1(VALU_DEP_1)
	v_dual_cndmask_b32 v4, v4, v7 :: v_dual_add_nc_u32 v7, 1, v6
	v_cmp_le_u32_e32 vcc_lo, s34, v4
	s_delay_alu instid0(VALU_DEP_2) | instskip(NEXT) | instid1(VALU_DEP_1)
	v_cndmask_b32_e32 v4, v6, v7, vcc_lo
	v_xor_b32_e32 v4, v4, v5
	s_delay_alu instid0(VALU_DEP_1) | instskip(NEXT) | instid1(VALU_DEP_1)
	v_sub_nc_u32_e32 v8, v4, v5
	v_mad_u64_u32 v[4:5], null, s37, v8, v[2:3]
	v_ashrrev_i32_e32 v9, 31, v8
	v_mul_lo_u32 v10, v8, s7
	v_mad_u64_u32 v[6:7], null, v8, s6, 0
	v_add_nc_u32_e32 v2, s35, v2
	s_delay_alu instid0(VALU_DEP_4) | instskip(SKIP_1) | instid1(VALU_DEP_1)
	v_mul_lo_u32 v8, v9, s6
	v_ashrrev_i32_e32 v5, 31, v4
	v_lshlrev_b64 v[4:5], 1, v[4:5]
	s_delay_alu instid0(VALU_DEP_3) | instskip(NEXT) | instid1(VALU_DEP_2)
	v_add3_u32 v7, v7, v10, v8
	v_add_co_u32 v8, vcc_lo, s17, v4
	s_delay_alu instid0(VALU_DEP_2) | instskip(NEXT) | instid1(VALU_DEP_4)
	v_lshlrev_b64 v[6:7], 1, v[6:7]
	v_add_co_ci_u32_e32 v9, vcc_lo, s33, v5, vcc_lo
	s_delay_alu instid0(VALU_DEP_3) | instskip(NEXT) | instid1(VALU_DEP_2)
	v_add_co_u32 v10, vcc_lo, v8, s4
	v_add_co_ci_u32_e32 v11, vcc_lo, s5, v9, vcc_lo
	s_delay_alu instid0(VALU_DEP_4)
	v_add_co_u32 v6, vcc_lo, s30, v6
	v_add_co_ci_u32_e32 v7, vcc_lo, s31, v7, vcc_lo
	s_clause 0x1
	global_load_u16 v8, v[8:9], off
	global_load_u16 v9, v[10:11], off
	v_add_co_u32 v4, vcc_lo, v6, v4
	v_add_co_ci_u32_e32 v5, vcc_lo, v7, v5, vcc_lo
	s_delay_alu instid0(VALU_DEP_2) | instskip(NEXT) | instid1(VALU_DEP_2)
	v_add_co_u32 v6, vcc_lo, v4, s4
	v_add_co_ci_u32_e32 v7, vcc_lo, s5, v5, vcc_lo
	s_clause 0x1
	global_load_u16 v10, v[4:5], off
	global_load_u16 v11, v[6:7], off
	v_cmp_le_i32_e32 vcc_lo, s28, v2
	s_or_b32 s36, vcc_lo, s36
	s_waitcnt vmcnt(3)
	v_lshlrev_b32_e32 v8, 16, v8
	s_waitcnt vmcnt(2)
	v_lshlrev_b32_e32 v9, 16, v9
	s_delay_alu instid0(VALU_DEP_2) | instskip(NEXT) | instid1(VALU_DEP_2)
	v_cvt_f16_f32_e32 v8, v8
	v_cvt_f16_f32_e32 v9, v9
	s_waitcnt vmcnt(0)
	s_delay_alu instid0(VALU_DEP_1) | instskip(SKIP_1) | instid1(VALU_DEP_2)
	v_mul_f16_e32 v12, v11, v9
	v_mul_f16_e32 v9, v10, v9
	v_fma_f16 v10, v10, v8, -v12
	s_delay_alu instid0(VALU_DEP_2)
	v_fmac_f16_e32 v9, v11, v8
	s_clause 0x1
	global_store_b16 v[4:5], v10, off
	global_store_b16 v[6:7], v9, off
	s_and_not1_b32 exec_lo, exec_lo, s36
	s_cbranch_execnz .LBB10_3
.LBB10_4:
	s_or_b32 exec_lo, exec_lo, s29
	s_load_b128 s[4:7], s[2:3], 0x68
	s_waitcnt lgkmcnt(0)
	s_ashr_i32 s31, s7, 31
	s_mov_b32 s30, s7
	s_delay_alu instid0(SALU_CYCLE_1) | instskip(SKIP_1) | instid1(SALU_CYCLE_1)
	s_or_b64 s[34:35], s[26:27], s[30:31]
	s_mov_b32 s34, 0
	s_cmp_lg_u64 s[34:35], 0
	s_cbranch_scc0 .LBB10_14
; %bb.5:
	s_add_u32 s36, s30, s31
	s_mov_b32 s28, s31
	s_mov_b32 s29, s31
	s_addc_u32 s37, s31, s31
	s_delay_alu instid0(SALU_CYCLE_1) | instskip(NEXT) | instid1(SALU_CYCLE_1)
	s_xor_b64 s[36:37], s[36:37], s[28:29]
	v_cvt_f32_u32_e32 v2, s36
	v_cvt_f32_u32_e32 v3, s37
	s_sub_u32 s35, 0, s36
	s_subb_u32 s38, 0, s37
	s_delay_alu instid0(VALU_DEP_1) | instskip(NEXT) | instid1(VALU_DEP_1)
	v_fmamk_f32 v2, v3, 0x4f800000, v2
	v_rcp_f32_e32 v2, v2
	s_waitcnt_depctr 0xfff
	v_mul_f32_e32 v2, 0x5f7ffffc, v2
	s_delay_alu instid0(VALU_DEP_1) | instskip(NEXT) | instid1(VALU_DEP_1)
	v_mul_f32_e32 v3, 0x2f800000, v2
	v_trunc_f32_e32 v3, v3
	s_delay_alu instid0(VALU_DEP_1) | instskip(SKIP_1) | instid1(VALU_DEP_2)
	v_fmamk_f32 v2, v3, 0xcf800000, v2
	v_cvt_u32_f32_e32 v3, v3
	v_cvt_u32_f32_e32 v2, v2
	s_delay_alu instid0(VALU_DEP_2) | instskip(NEXT) | instid1(VALU_DEP_2)
	v_readfirstlane_b32 s7, v3
	v_readfirstlane_b32 s21, v2
	s_delay_alu instid0(VALU_DEP_2) | instskip(NEXT) | instid1(VALU_DEP_1)
	s_mul_i32 s39, s35, s7
	s_mul_hi_u32 s41, s35, s21
	s_mul_i32 s40, s38, s21
	s_add_i32 s39, s41, s39
	s_mul_i32 s42, s35, s21
	s_add_i32 s39, s39, s40
	s_mul_hi_u32 s41, s21, s42
	s_mul_hi_u32 s43, s7, s42
	s_mul_i32 s40, s7, s42
	s_mul_hi_u32 s42, s21, s39
	s_mul_i32 s21, s21, s39
	s_mul_hi_u32 s44, s7, s39
	s_add_u32 s21, s41, s21
	s_addc_u32 s41, 0, s42
	s_add_u32 s21, s21, s40
	s_mul_i32 s39, s7, s39
	s_addc_u32 s21, s41, s43
	s_addc_u32 s40, s44, 0
	s_add_u32 s21, s21, s39
	s_addc_u32 s39, 0, s40
	v_add_co_u32 v2, s21, v2, s21
	s_delay_alu instid0(VALU_DEP_1) | instskip(SKIP_1) | instid1(VALU_DEP_1)
	s_cmp_lg_u32 s21, 0
	s_addc_u32 s7, s7, s39
	v_readfirstlane_b32 s21, v2
	s_mul_i32 s39, s35, s7
	s_delay_alu instid0(VALU_DEP_1)
	s_mul_hi_u32 s40, s35, s21
	s_mul_i32 s38, s38, s21
	s_add_i32 s39, s40, s39
	s_mul_i32 s35, s35, s21
	s_add_i32 s39, s39, s38
	s_mul_hi_u32 s40, s7, s35
	s_mul_i32 s41, s7, s35
	s_mul_hi_u32 s35, s21, s35
	s_mul_hi_u32 s42, s21, s39
	s_mul_i32 s21, s21, s39
	s_mul_hi_u32 s38, s7, s39
	s_add_u32 s21, s35, s21
	s_addc_u32 s35, 0, s42
	s_add_u32 s21, s21, s41
	s_mul_i32 s39, s7, s39
	s_addc_u32 s21, s35, s40
	s_addc_u32 s35, s38, 0
	s_add_u32 s21, s21, s39
	s_addc_u32 s35, 0, s35
	v_add_co_u32 v2, s21, v2, s21
	s_delay_alu instid0(VALU_DEP_1) | instskip(SKIP_2) | instid1(VALU_DEP_1)
	s_cmp_lg_u32 s21, 0
	s_addc_u32 s7, s7, s35
	s_ashr_i32 s38, s27, 31
	v_readfirstlane_b32 s21, v2
	s_add_u32 s40, s26, s38
	s_mov_b32 s39, s38
	s_addc_u32 s41, s27, s38
	s_delay_alu instid0(SALU_CYCLE_1) | instskip(NEXT) | instid1(SALU_CYCLE_1)
	s_xor_b64 s[40:41], s[40:41], s[38:39]
	s_mul_i32 s42, s40, s7
	s_mul_hi_u32 s43, s40, s21
	s_mul_hi_u32 s35, s40, s7
	;; [unrolled: 1-line block ×3, first 2 shown]
	s_mul_i32 s21, s41, s21
	s_add_u32 s42, s43, s42
	s_addc_u32 s35, 0, s35
	s_mul_hi_u32 s44, s41, s7
	s_add_u32 s21, s42, s21
	s_mul_i32 s7, s41, s7
	s_addc_u32 s21, s35, s45
	s_addc_u32 s35, s44, 0
	s_add_u32 s7, s21, s7
	s_addc_u32 s21, 0, s35
	s_mul_i32 s44, s36, s7
	s_mul_hi_u32 s35, s36, s7
	s_mul_i32 s43, s36, s21
	v_sub_co_u32 v2, s40, s40, s44
	s_mul_i32 s42, s37, s7
	s_add_i32 s35, s35, s43
	s_delay_alu instid0(SALU_CYCLE_1) | instskip(NEXT) | instid1(VALU_DEP_1)
	s_add_i32 s35, s35, s42
	v_sub_co_u32 v3, s43, v2, s36
	s_sub_i32 s42, s41, s35
	s_cmp_lg_u32 s40, 0
	s_subb_u32 s42, s42, s37
	s_cmp_lg_u32 s43, 0
	v_readfirstlane_b32 s43, v3
	s_subb_u32 s42, s42, 0
	s_delay_alu instid0(SALU_CYCLE_1) | instskip(SKIP_1) | instid1(VALU_DEP_1)
	s_cmp_ge_u32 s42, s37
	s_cselect_b32 s44, -1, 0
	s_cmp_ge_u32 s43, s36
	s_cselect_b32 s43, -1, 0
	s_cmp_eq_u32 s42, s37
	s_cselect_b32 s42, s43, s44
	s_add_u32 s43, s7, 1
	s_addc_u32 s44, s21, 0
	s_add_u32 s45, s7, 2
	s_addc_u32 s46, s21, 0
	s_cmp_lg_u32 s42, 0
	s_cselect_b32 s42, s45, s43
	s_cselect_b32 s43, s46, s44
	s_cmp_lg_u32 s40, 0
	v_readfirstlane_b32 s40, v2
	s_subb_u32 s35, s41, s35
	s_delay_alu instid0(SALU_CYCLE_1) | instskip(SKIP_1) | instid1(VALU_DEP_1)
	s_cmp_ge_u32 s35, s37
	s_cselect_b32 s41, -1, 0
	s_cmp_ge_u32 s40, s36
	s_cselect_b32 s36, -1, 0
	s_cmp_eq_u32 s35, s37
	s_cselect_b32 s35, s36, s41
	s_delay_alu instid0(SALU_CYCLE_1) | instskip(SKIP_3) | instid1(SALU_CYCLE_1)
	s_cmp_lg_u32 s35, 0
	s_cselect_b32 s37, s43, s21
	s_cselect_b32 s36, s42, s7
	s_xor_b64 s[28:29], s[38:39], s[28:29]
	s_xor_b64 s[36:37], s[36:37], s[28:29]
	s_delay_alu instid0(SALU_CYCLE_1)
	s_sub_u32 s28, s36, s28
	s_subb_u32 s29, s37, s29
	s_and_not1_b32 vcc_lo, exec_lo, s34
	s_cbranch_vccnz .LBB10_7
.LBB10_6:
	v_cvt_f32_u32_e32 v2, s30
	s_sub_i32 s21, 0, s30
	s_delay_alu instid0(VALU_DEP_1) | instskip(SKIP_2) | instid1(VALU_DEP_1)
	v_rcp_iflag_f32_e32 v2, v2
	s_waitcnt_depctr 0xfff
	v_mul_f32_e32 v2, 0x4f7ffffe, v2
	v_cvt_u32_f32_e32 v2, v2
	s_delay_alu instid0(VALU_DEP_1) | instskip(NEXT) | instid1(VALU_DEP_1)
	v_readfirstlane_b32 s7, v2
	s_mul_i32 s21, s21, s7
	s_delay_alu instid0(SALU_CYCLE_1) | instskip(NEXT) | instid1(SALU_CYCLE_1)
	s_mul_hi_u32 s21, s7, s21
	s_add_i32 s7, s7, s21
	s_delay_alu instid0(SALU_CYCLE_1) | instskip(NEXT) | instid1(SALU_CYCLE_1)
	s_mul_hi_u32 s7, s26, s7
	s_mul_i32 s21, s7, s30
	s_add_i32 s28, s7, 1
	s_sub_i32 s21, s26, s21
	s_delay_alu instid0(SALU_CYCLE_1)
	s_sub_i32 s29, s21, s30
	s_cmp_ge_u32 s21, s30
	s_cselect_b32 s7, s28, s7
	s_cselect_b32 s21, s29, s21
	s_add_i32 s28, s7, 1
	s_cmp_ge_u32 s21, s30
	s_mov_b32 s29, 0
	s_cselect_b32 s28, s28, s7
.LBB10_7:
	s_delay_alu instid0(SALU_CYCLE_1)
	s_mul_i32 s7, s28, s31
	s_mul_hi_u32 s21, s28, s30
	s_mul_hi_u32 s36, s28, s4
	s_add_i32 s7, s21, s7
	s_mul_i32 s21, s29, s30
	s_mul_i32 s30, s28, s30
	s_add_i32 s7, s7, s21
	s_sub_u32 s34, s26, s30
	s_subb_u32 s35, s27, s7
	s_mul_i32 s37, s29, s4
	s_mul_i32 s30, s28, s4
	s_mul_hi_u32 s29, s34, s5
	s_mul_i32 s35, s35, s5
	s_mul_i32 s26, s34, s5
	s_mov_b32 s38, exec_lo
	v_cmpx_gt_i32_e64 s20, v1
	s_cbranch_execz .LBB10_10
; %bb.8:
	s_load_b64 s[42:43], s[0:1], 0x4
	s_load_b32 s27, s[2:3], 0x8c
	s_mul_i32 s1, s16, s9
	s_mul_hi_u32 s7, s16, s8
	s_mul_i32 s0, s16, s8
	s_add_i32 s1, s7, s1
	s_ashr_i32 s21, s20, 31
	s_lshl_b64 s[8:9], s[0:1], 1
	v_bfe_u32 v2, v0, 10, 10
	v_bfe_u32 v0, v0, 20, 10
	v_dual_mov_b32 v6, v1 :: v_dual_lshlrev_b32 v5, 1, v1
	s_waitcnt lgkmcnt(0)
	s_lshr_b32 s0, s42, 16
	s_add_u32 s1, s12, s8
	s_addc_u32 s39, s13, s9
	s_and_b32 s40, s27, 0xffff
	s_lshl_b64 s[44:45], s[20:21], 1
	s_ashr_i32 s31, s4, 31
	s_ashr_i32 s42, s5, 31
	;; [unrolled: 1-line block ×3, first 2 shown]
	s_lshl_b32 s41, s40, 1
	s_mul_i32 s0, s0, s43
	s_add_u32 s24, s24, s44
	s_addc_u32 s25, s25, s45
	v_mul_lo_u32 v3, s0, v1
	s_add_u32 s22, s22, s24
	s_addc_u32 s23, s23, s25
	s_add_u32 s8, s8, s44
	s_mul_i32 s0, s28, s31
	s_mul_i32 s27, s34, s42
	s_addc_u32 s9, s9, s45
	s_add_u32 s12, s12, s8
	s_addc_u32 s13, s13, s9
	s_add_i32 s0, s36, s0
	s_add_i32 s8, s29, s27
	s_add_i32 s31, s0, s37
	s_add_i32 s27, s8, s35
	v_mad_u32_u24 v2, v2, s43, v3
	s_lshl_b64 s[24:25], s[30:31], 2
	s_lshl_b64 s[42:43], s[26:27], 2
	;; [unrolled: 1-line block ×3, first 2 shown]
	s_add_u32 s0, s24, s42
	s_addc_u32 s21, s25, s43
	s_lshl_b64 s[24:25], s[6:7], 2
	v_add_lshl_u32 v0, v2, v0, 1
	v_lshlrev_b32_e32 v2, 2, v1
	s_add_u32 s0, s0, s24
	s_addc_u32 s7, s21, s25
	s_add_u32 s0, s18, s0
	s_addc_u32 s7, s19, s7
	v_add_co_u32 v2, s0, s0, v2
	v_add_nc_u32_e32 v4, 0x800, v0
	v_add_co_ci_u32_e64 v3, null, s7, 0, s0
	s_mov_b32 s7, 0
	s_lshl_b32 s21, s40, 2
.LBB10_9:                               ; =>This Inner Loop Header: Depth=1
	v_add_co_u32 v7, s0, s17, v5
	s_delay_alu instid0(VALU_DEP_1) | instskip(SKIP_1) | instid1(VALU_DEP_1)
	v_add_co_ci_u32_e64 v8, null, s33, 0, s0
	v_add_co_u32 v9, s0, s22, v5
	v_add_co_ci_u32_e64 v10, null, s23, 0, s0
	v_add_co_u32 v11, s0, s1, v5
	s_delay_alu instid0(VALU_DEP_1) | instskip(SKIP_1) | instid1(VALU_DEP_1)
	v_add_co_ci_u32_e64 v12, null, s39, 0, s0
	v_add_co_u32 v13, s0, s12, v5
	v_add_co_ci_u32_e64 v14, null, s13, 0, s0
	global_load_u16 v9, v[9:10], off
	global_load_u16 v7, v[7:8], off
	;; [unrolled: 1-line block ×4, first 2 shown]
	v_add_nc_u32_e32 v6, s40, v6
	s_add_u32 s17, s17, s41
	s_addc_u32 s33, s33, 0
	s_add_u32 s22, s22, s41
	s_addc_u32 s23, s23, 0
	;; [unrolled: 2-line block ×4, first 2 shown]
	s_waitcnt vmcnt(3)
	v_lshlrev_b32_e32 v9, 16, v9
	s_waitcnt vmcnt(2)
	v_lshlrev_b32_e32 v7, 16, v7
	s_delay_alu instid0(VALU_DEP_2) | instskip(NEXT) | instid1(VALU_DEP_2)
	v_cvt_f16_f32_e32 v9, v9
	v_cvt_f16_f32_e32 v7, v7
	s_waitcnt vmcnt(1)
	s_delay_alu instid0(VALU_DEP_2) | instskip(SKIP_2) | instid1(VALU_DEP_2)
	v_mul_f16_e32 v15, v8, v9
	s_waitcnt vmcnt(0)
	v_mul_f16_e32 v9, v10, v9
	v_fma_f16 v10, v10, v7, -v15
	s_delay_alu instid0(VALU_DEP_2)
	v_fmac_f16_e32 v9, v8, v7
	v_add_co_u32 v7, vcc_lo, v2, s8
	v_add_co_ci_u32_e32 v8, vcc_lo, s9, v3, vcc_lo
	ds_store_b16 v4, v10
	ds_load_b32 v15, v4
	ds_store_b16 v0, v9
	ds_load_b32 v16, v0
	v_cmp_le_i32_e32 vcc_lo, s20, v6
	s_or_b32 s7, vcc_lo, s7
	s_waitcnt lgkmcnt(2)
	global_store_b32 v[2:3], v15, off
	v_add_co_u32 v2, s0, v2, s21
	s_delay_alu instid0(VALU_DEP_1)
	v_add_co_ci_u32_e64 v3, s0, 0, v3, s0
	global_store_b16 v[11:12], v10, off
	global_store_b16 v[13:14], v9, off
	s_waitcnt lgkmcnt(0)
	global_store_b32 v[7:8], v16, off
	s_and_not1_b32 exec_lo, exec_lo, s7
	s_cbranch_execnz .LBB10_9
.LBB10_10:
	s_or_b32 exec_lo, exec_lo, s38
	s_delay_alu instid0(SALU_CYCLE_1)
	s_mov_b32 s0, exec_lo
	v_cmpx_gt_i32_e64 s6, v1
	s_cbranch_execz .LBB10_13
; %bb.11:
	s_mul_i32 s1, s16, s11
	s_mul_hi_u32 s7, s16, s10
	s_mul_i32 s0, s16, s10
	s_add_i32 s1, s7, s1
	s_delay_alu instid0(SALU_CYCLE_1) | instskip(NEXT) | instid1(SALU_CYCLE_1)
	s_lshl_b64 s[8:9], s[0:1], 1
	s_add_u32 s1, s14, s8
	s_addc_u32 s7, s15, s9
	s_ashr_i32 s0, s4, 31
	s_load_b32 s4, s[2:3], 0x8c
	s_mul_i32 s0, s28, s0
	s_delay_alu instid0(SALU_CYCLE_1) | instskip(NEXT) | instid1(SALU_CYCLE_1)
	s_add_i32 s0, s36, s0
	s_add_i32 s31, s0, s37
	s_delay_alu instid0(SALU_CYCLE_1) | instskip(NEXT) | instid1(SALU_CYCLE_1)
	s_lshl_b64 s[2:3], s[30:31], 2
	s_add_u32 s0, s18, s2
	s_addc_u32 s8, s19, s3
	s_ashr_i32 s2, s5, 31
	s_mov_b32 s5, 0
	s_mul_i32 s34, s34, s2
	s_delay_alu instid0(SALU_CYCLE_1) | instskip(NEXT) | instid1(SALU_CYCLE_1)
	s_add_i32 s2, s29, s34
	s_add_i32 s27, s2, s35
	s_delay_alu instid0(SALU_CYCLE_1) | instskip(NEXT) | instid1(SALU_CYCLE_1)
	s_lshl_b64 s[2:3], s[26:27], 2
	s_add_u32 s2, s0, s2
	s_addc_u32 s3, s8, s3
	s_waitcnt lgkmcnt(0)
	s_and_b32 s4, s4, 0xffff
	.p2align	6
.LBB10_12:                              ; =>This Inner Loop Header: Depth=1
	v_ashrrev_i32_e32 v2, 31, v1
	s_delay_alu instid0(VALU_DEP_1) | instskip(NEXT) | instid1(VALU_DEP_1)
	v_lshlrev_b64 v[3:4], 1, v[1:2]
	v_add_co_u32 v3, vcc_lo, s1, v3
	s_delay_alu instid0(VALU_DEP_2) | instskip(SKIP_3) | instid1(VALU_DEP_1)
	v_add_co_ci_u32_e32 v4, vcc_lo, s7, v4, vcc_lo
	global_load_b32 v0, v[3:4], off
	v_lshlrev_b64 v[2:3], 2, v[1:2]
	v_add_nc_u32_e32 v1, s4, v1
	v_cmp_le_i32_e32 vcc_lo, s6, v1
	s_delay_alu instid0(VALU_DEP_3) | instskip(NEXT) | instid1(VALU_DEP_1)
	v_add_co_u32 v2, s0, s2, v2
	v_add_co_ci_u32_e64 v3, s0, s3, v3, s0
	s_or_b32 s5, vcc_lo, s5
	s_waitcnt vmcnt(0)
	global_store_b32 v[2:3], v0, off
	s_and_not1_b32 exec_lo, exec_lo, s5
	s_cbranch_execnz .LBB10_12
.LBB10_13:
	s_nop 0
	s_sendmsg sendmsg(MSG_DEALLOC_VGPRS)
	s_endpgm
.LBB10_14:
                                        ; implicit-def: $sgpr28_sgpr29
	s_branch .LBB10_6
	.section	.rodata,"a",@progbits
	.p2align	6, 0x0
	.amdhsa_kernel _ZN4vllm38concat_and_cache_mla_rope_fused_kernelIN3c104HalfENS1_8BFloat16ELb1EffLNS_18Fp8KVCacheDataTypeE0EEEvPKlPT_S8_PKS7_PKT0_illlliPT3_S6_iiiiPKf
		.amdhsa_group_segment_fixed_size 4096
		.amdhsa_private_segment_fixed_size 0
		.amdhsa_kernarg_size 384
		.amdhsa_user_sgpr_count 15
		.amdhsa_user_sgpr_dispatch_ptr 1
		.amdhsa_user_sgpr_queue_ptr 0
		.amdhsa_user_sgpr_kernarg_segment_ptr 1
		.amdhsa_user_sgpr_dispatch_id 0
		.amdhsa_user_sgpr_private_segment_size 0
		.amdhsa_wavefront_size32 1
		.amdhsa_uses_dynamic_stack 0
		.amdhsa_enable_private_segment 0
		.amdhsa_system_sgpr_workgroup_id_x 1
		.amdhsa_system_sgpr_workgroup_id_y 0
		.amdhsa_system_sgpr_workgroup_id_z 0
		.amdhsa_system_sgpr_workgroup_info 0
		.amdhsa_system_vgpr_workitem_id 2
		.amdhsa_next_free_vgpr 17
		.amdhsa_next_free_sgpr 47
		.amdhsa_reserve_vcc 1
		.amdhsa_float_round_mode_32 0
		.amdhsa_float_round_mode_16_64 0
		.amdhsa_float_denorm_mode_32 3
		.amdhsa_float_denorm_mode_16_64 3
		.amdhsa_dx10_clamp 1
		.amdhsa_ieee_mode 1
		.amdhsa_fp16_overflow 0
		.amdhsa_workgroup_processor_mode 1
		.amdhsa_memory_ordered 1
		.amdhsa_forward_progress 0
		.amdhsa_shared_vgpr_count 0
		.amdhsa_exception_fp_ieee_invalid_op 0
		.amdhsa_exception_fp_denorm_src 0
		.amdhsa_exception_fp_ieee_div_zero 0
		.amdhsa_exception_fp_ieee_overflow 0
		.amdhsa_exception_fp_ieee_underflow 0
		.amdhsa_exception_fp_ieee_inexact 0
		.amdhsa_exception_int_div_zero 0
	.end_amdhsa_kernel
	.section	.text._ZN4vllm38concat_and_cache_mla_rope_fused_kernelIN3c104HalfENS1_8BFloat16ELb1EffLNS_18Fp8KVCacheDataTypeE0EEEvPKlPT_S8_PKS7_PKT0_illlliPT3_S6_iiiiPKf,"axG",@progbits,_ZN4vllm38concat_and_cache_mla_rope_fused_kernelIN3c104HalfENS1_8BFloat16ELb1EffLNS_18Fp8KVCacheDataTypeE0EEEvPKlPT_S8_PKS7_PKT0_illlliPT3_S6_iiiiPKf,comdat
.Lfunc_end10:
	.size	_ZN4vllm38concat_and_cache_mla_rope_fused_kernelIN3c104HalfENS1_8BFloat16ELb1EffLNS_18Fp8KVCacheDataTypeE0EEEvPKlPT_S8_PKS7_PKT0_illlliPT3_S6_iiiiPKf, .Lfunc_end10-_ZN4vllm38concat_and_cache_mla_rope_fused_kernelIN3c104HalfENS1_8BFloat16ELb1EffLNS_18Fp8KVCacheDataTypeE0EEEvPKlPT_S8_PKS7_PKT0_illlliPT3_S6_iiiiPKf
                                        ; -- End function
	.section	.AMDGPU.csdata,"",@progbits
; Kernel info:
; codeLenInByte = 2496
; NumSgprs: 49
; NumVgprs: 17
; ScratchSize: 0
; MemoryBound: 0
; FloatMode: 240
; IeeeMode: 1
; LDSByteSize: 4096 bytes/workgroup (compile time only)
; SGPRBlocks: 6
; VGPRBlocks: 2
; NumSGPRsForWavesPerEU: 49
; NumVGPRsForWavesPerEU: 17
; Occupancy: 16
; WaveLimiterHint : 1
; COMPUTE_PGM_RSRC2:SCRATCH_EN: 0
; COMPUTE_PGM_RSRC2:USER_SGPR: 15
; COMPUTE_PGM_RSRC2:TRAP_HANDLER: 0
; COMPUTE_PGM_RSRC2:TGID_X_EN: 1
; COMPUTE_PGM_RSRC2:TGID_Y_EN: 0
; COMPUTE_PGM_RSRC2:TGID_Z_EN: 0
; COMPUTE_PGM_RSRC2:TIDIG_COMP_CNT: 2
	.section	.text._ZN4vllm38concat_and_cache_mla_rope_fused_kernelIN3c104HalfENS1_8BFloat16ELb0EffLNS_18Fp8KVCacheDataTypeE0EEEvPKlPT_S8_PKS7_PKT0_illlliPT3_S6_iiiiPKf,"axG",@progbits,_ZN4vllm38concat_and_cache_mla_rope_fused_kernelIN3c104HalfENS1_8BFloat16ELb0EffLNS_18Fp8KVCacheDataTypeE0EEEvPKlPT_S8_PKS7_PKT0_illlliPT3_S6_iiiiPKf,comdat
	.protected	_ZN4vllm38concat_and_cache_mla_rope_fused_kernelIN3c104HalfENS1_8BFloat16ELb0EffLNS_18Fp8KVCacheDataTypeE0EEEvPKlPT_S8_PKS7_PKT0_illlliPT3_S6_iiiiPKf ; -- Begin function _ZN4vllm38concat_and_cache_mla_rope_fused_kernelIN3c104HalfENS1_8BFloat16ELb0EffLNS_18Fp8KVCacheDataTypeE0EEEvPKlPT_S8_PKS7_PKT0_illlliPT3_S6_iiiiPKf
	.globl	_ZN4vllm38concat_and_cache_mla_rope_fused_kernelIN3c104HalfENS1_8BFloat16ELb0EffLNS_18Fp8KVCacheDataTypeE0EEEvPKlPT_S8_PKS7_PKT0_illlliPT3_S6_iiiiPKf
	.p2align	8
	.type	_ZN4vllm38concat_and_cache_mla_rope_fused_kernelIN3c104HalfENS1_8BFloat16ELb0EffLNS_18Fp8KVCacheDataTypeE0EEEvPKlPT_S8_PKS7_PKT0_illlliPT3_S6_iiiiPKf,@function
_ZN4vllm38concat_and_cache_mla_rope_fused_kernelIN3c104HalfENS1_8BFloat16ELb0EffLNS_18Fp8KVCacheDataTypeE0EEEvPKlPT_S8_PKS7_PKT0_illlliPT3_S6_iiiiPKf: ; @_ZN4vllm38concat_and_cache_mla_rope_fused_kernelIN3c104HalfENS1_8BFloat16ELb0EffLNS_18Fp8KVCacheDataTypeE0EEEvPKlPT_S8_PKS7_PKT0_illlliPT3_S6_iiiiPKf
; %bb.0:
	s_load_b64 s[6:7], s[2:3], 0x60
	s_mov_b32 s16, s15
	s_mov_b32 s17, 0
	s_delay_alu instid0(SALU_CYCLE_1)
	s_lshl_b64 s[4:5], s[16:17], 3
	s_waitcnt lgkmcnt(0)
	s_add_u32 s6, s6, s4
	s_addc_u32 s7, s7, s5
	s_load_b64 s[24:25], s[6:7], 0x0
	s_waitcnt lgkmcnt(0)
	v_cmp_lt_i64_e64 s6, s[24:25], 0
	s_delay_alu instid0(VALU_DEP_1)
	s_and_b32 vcc_lo, exec_lo, s6
	s_cbranch_vccnz .LBB11_13
; %bb.1:
	s_clause 0x3
	s_load_b32 s21, s[2:3], 0x28
	s_load_b64 s[6:7], s[2:3], 0x0
	s_load_b128 s[12:15], s[2:3], 0x10
	s_load_b32 s17, s[2:3], 0x50
	v_and_b32_e32 v1, 0x3ff, v0
	s_delay_alu instid0(VALU_DEP_1)
	v_lshlrev_b32_e32 v4, 1, v1
	s_waitcnt lgkmcnt(0)
	s_ashr_i32 s28, s21, 31
	s_add_u32 s4, s6, s4
	s_addc_u32 s5, s7, s5
	s_lshr_b32 s20, s21, 31
	s_load_b64 s[26:27], s[4:5], 0x0
	s_clause 0x2
	s_load_b64 s[22:23], s[2:3], 0x20
	s_load_b64 s[18:19], s[2:3], 0x58
	s_load_b256 s[4:11], s[2:3], 0x30
	s_add_i32 s20, s21, s20
	s_delay_alu instid0(SALU_CYCLE_1) | instskip(NEXT) | instid1(SALU_CYCLE_1)
	s_ashr_i32 s20, s20, 1
	s_mul_i32 s17, s20, s17
	s_waitcnt lgkmcnt(0)
	s_mul_i32 s28, s26, s28
	s_mul_hi_u32 s29, s26, s21
	s_mul_i32 s27, s27, s21
	s_add_i32 s28, s29, s28
	s_mul_i32 s26, s26, s21
	s_add_i32 s27, s28, s27
	s_mov_b32 s28, exec_lo
	v_cmpx_gt_i32_e64 s17, v1
	s_cbranch_execz .LBB11_4
; %bb.2:
	s_clause 0x1
	s_load_b64 s[34:35], s[2:3], 0x8
	s_load_b32 s36, s[2:3], 0x8c
	s_lshl_b64 s[30:31], s[26:27], 1
	s_mul_i32 s5, s16, s5
	s_mul_hi_u32 s21, s16, s4
	s_add_u32 s29, s22, s30
	s_mul_i32 s4, s16, s4
	s_addc_u32 s30, s23, s31
	s_add_i32 s5, s21, s5
	s_ashr_i32 s21, s20, 31
	s_lshl_b64 s[4:5], s[4:5], 1
	s_waitcnt lgkmcnt(0)
	s_add_u32 s31, s34, s4
	s_addc_u32 s33, s35, s5
	s_abs_i32 s34, s20
	s_and_b32 s36, s36, 0xffff
	v_cvt_f32_u32_e32 v2, s34
	s_sub_i32 s4, 0, s34
	s_mov_b32 s35, 0
	s_sub_i32 s37, 0, s20
	s_lshl_b32 s39, s36, 1
	v_rcp_iflag_f32_e32 v2, v2
	s_waitcnt_depctr 0xfff
	v_mul_f32_e32 v2, 0x4f7ffffe, v2
	s_delay_alu instid0(VALU_DEP_1) | instskip(NEXT) | instid1(VALU_DEP_1)
	v_cvt_u32_f32_e32 v3, v2
	v_mul_lo_u32 v2, s4, v3
	s_lshl_b32 s4, s20, 1
	s_delay_alu instid0(SALU_CYCLE_1) | instskip(SKIP_1) | instid1(VALU_DEP_1)
	s_sub_i32 s38, 0, s4
	s_lshl_b64 s[4:5], s[20:21], 1
	v_mul_hi_u32 v5, v3, v2
	s_delay_alu instid0(VALU_DEP_1)
	v_dual_mov_b32 v2, v4 :: v_dual_add_nc_u32 v5, v3, v5
	v_mov_b32_e32 v3, v1
.LBB11_3:                               ; =>This Inner Loop Header: Depth=1
	s_delay_alu instid0(VALU_DEP_1) | instskip(SKIP_1) | instid1(VALU_DEP_2)
	v_sub_nc_u32_e32 v6, 0, v3
	v_ashrrev_i32_e32 v7, 31, v3
	v_max_i32_e32 v6, v3, v6
	s_delay_alu instid0(VALU_DEP_2) | instskip(NEXT) | instid1(VALU_DEP_2)
	v_xor_b32_e32 v7, s21, v7
	v_mul_hi_u32 v8, v6, v5
	s_delay_alu instid0(VALU_DEP_1) | instskip(SKIP_1) | instid1(VALU_DEP_2)
	v_mul_lo_u32 v9, v8, s34
	v_add_nc_u32_e32 v10, 1, v8
	v_sub_nc_u32_e32 v6, v6, v9
	s_delay_alu instid0(VALU_DEP_1) | instskip(SKIP_1) | instid1(VALU_DEP_4)
	v_subrev_nc_u32_e32 v9, s34, v6
	v_cmp_le_u32_e32 vcc_lo, s34, v6
	v_cndmask_b32_e32 v8, v8, v10, vcc_lo
	s_delay_alu instid0(VALU_DEP_1) | instskip(NEXT) | instid1(VALU_DEP_1)
	v_dual_cndmask_b32 v6, v6, v9 :: v_dual_add_nc_u32 v9, 1, v8
	v_cmp_le_u32_e32 vcc_lo, s34, v6
	s_delay_alu instid0(VALU_DEP_2) | instskip(NEXT) | instid1(VALU_DEP_1)
	v_cndmask_b32_e32 v6, v8, v9, vcc_lo
	v_xor_b32_e32 v6, v6, v7
	s_delay_alu instid0(VALU_DEP_1) | instskip(NEXT) | instid1(VALU_DEP_1)
	v_sub_nc_u32_e32 v12, v6, v7
	v_mad_u64_u32 v[6:7], null, s37, v12, v[3:4]
	v_ashrrev_i32_e32 v7, 31, v12
	v_mul_lo_u32 v13, v12, s7
	v_mad_u64_u32 v[8:9], null, v12, s6, 0
	v_mad_u64_u32 v[10:11], null, s38, v12, v[2:3]
	v_add_nc_u32_e32 v3, s36, v3
	v_mul_lo_u32 v12, v7, s6
	v_ashrrev_i32_e32 v7, 31, v6
	v_add_nc_u32_e32 v2, s39, v2
	v_ashrrev_i32_e32 v11, 31, v10
	s_delay_alu instid0(VALU_DEP_3) | instskip(SKIP_1) | instid1(VALU_DEP_3)
	v_lshlrev_b64 v[6:7], 1, v[6:7]
	v_add3_u32 v9, v9, v13, v12
	v_lshlrev_b64 v[10:11], 1, v[10:11]
	s_delay_alu instid0(VALU_DEP_3) | instskip(NEXT) | instid1(VALU_DEP_3)
	v_add_co_u32 v6, vcc_lo, s29, v6
	v_lshlrev_b64 v[8:9], 1, v[8:9]
	v_add_co_ci_u32_e32 v7, vcc_lo, s30, v7, vcc_lo
	s_delay_alu instid0(VALU_DEP_3) | instskip(NEXT) | instid1(VALU_DEP_2)
	v_add_co_u32 v12, vcc_lo, v6, s4
	v_add_co_ci_u32_e32 v13, vcc_lo, s5, v7, vcc_lo
	s_delay_alu instid0(VALU_DEP_4)
	v_add_co_u32 v8, vcc_lo, s31, v8
	v_add_co_ci_u32_e32 v9, vcc_lo, s33, v9, vcc_lo
	s_clause 0x1
	global_load_u16 v14, v[6:7], off
	global_load_u16 v12, v[12:13], off
	v_add_co_u32 v6, vcc_lo, v8, v10
	v_add_co_ci_u32_e32 v7, vcc_lo, v9, v11, vcc_lo
	v_cmp_le_i32_e32 vcc_lo, s17, v3
	global_load_b32 v8, v[6:7], off
	s_or_b32 s35, vcc_lo, s35
	s_waitcnt vmcnt(2)
	v_lshlrev_b32_e32 v10, 16, v14
	s_waitcnt vmcnt(1)
	v_lshlrev_b32_e32 v9, 16, v12
	s_delay_alu instid0(VALU_DEP_2) | instskip(NEXT) | instid1(VALU_DEP_2)
	v_cvt_f16_f32_e32 v10, v10
	v_cvt_f16_f32_e32 v9, v9
	s_waitcnt vmcnt(0)
	v_lshrrev_b32_e32 v11, 16, v8
	s_delay_alu instid0(VALU_DEP_1) | instskip(SKIP_1) | instid1(VALU_DEP_2)
	v_mul_f16_e32 v12, v11, v9
	v_mul_f16_e32 v9, v8, v9
	v_fma_f16 v8, v8, v10, -v12
	s_delay_alu instid0(VALU_DEP_2) | instskip(NEXT) | instid1(VALU_DEP_1)
	v_fmac_f16_e32 v9, v11, v10
	v_pack_b32_f16 v8, v8, v9
	global_store_b32 v[6:7], v8, off
	s_and_not1_b32 exec_lo, exec_lo, s35
	s_cbranch_execnz .LBB11_3
.LBB11_4:
	s_or_b32 exec_lo, exec_lo, s28
	s_load_b128 s[4:7], s[2:3], 0x68
	s_waitcnt lgkmcnt(0)
	s_ashr_i32 s31, s7, 31
	s_mov_b32 s30, s7
	s_delay_alu instid0(SALU_CYCLE_1) | instskip(SKIP_1) | instid1(SALU_CYCLE_1)
	s_or_b64 s[34:35], s[24:25], s[30:31]
	s_mov_b32 s34, 0
	s_cmp_lg_u64 s[34:35], 0
	s_cbranch_scc0 .LBB11_14
; %bb.5:
	s_add_u32 s36, s30, s31
	s_mov_b32 s28, s31
	s_mov_b32 s29, s31
	s_addc_u32 s37, s31, s31
	s_delay_alu instid0(SALU_CYCLE_1) | instskip(NEXT) | instid1(SALU_CYCLE_1)
	s_xor_b64 s[36:37], s[36:37], s[28:29]
	v_cvt_f32_u32_e32 v2, s36
	v_cvt_f32_u32_e32 v3, s37
	s_sub_u32 s21, 0, s36
	s_subb_u32 s33, 0, s37
	s_delay_alu instid0(VALU_DEP_1) | instskip(NEXT) | instid1(VALU_DEP_1)
	v_fmamk_f32 v2, v3, 0x4f800000, v2
	v_rcp_f32_e32 v2, v2
	s_waitcnt_depctr 0xfff
	v_mul_f32_e32 v2, 0x5f7ffffc, v2
	s_delay_alu instid0(VALU_DEP_1) | instskip(NEXT) | instid1(VALU_DEP_1)
	v_mul_f32_e32 v3, 0x2f800000, v2
	v_trunc_f32_e32 v3, v3
	s_delay_alu instid0(VALU_DEP_1) | instskip(SKIP_1) | instid1(VALU_DEP_2)
	v_fmamk_f32 v2, v3, 0xcf800000, v2
	v_cvt_u32_f32_e32 v3, v3
	v_cvt_u32_f32_e32 v2, v2
	s_delay_alu instid0(VALU_DEP_2) | instskip(NEXT) | instid1(VALU_DEP_2)
	v_readfirstlane_b32 s7, v3
	v_readfirstlane_b32 s17, v2
	s_delay_alu instid0(VALU_DEP_2) | instskip(NEXT) | instid1(VALU_DEP_1)
	s_mul_i32 s35, s21, s7
	s_mul_hi_u32 s39, s21, s17
	s_mul_i32 s38, s33, s17
	s_add_i32 s35, s39, s35
	s_mul_i32 s40, s21, s17
	s_add_i32 s35, s35, s38
	s_mul_hi_u32 s39, s17, s40
	s_mul_hi_u32 s41, s7, s40
	s_mul_i32 s38, s7, s40
	s_mul_hi_u32 s40, s17, s35
	s_mul_i32 s17, s17, s35
	s_mul_hi_u32 s42, s7, s35
	s_add_u32 s17, s39, s17
	s_addc_u32 s39, 0, s40
	s_add_u32 s17, s17, s38
	s_mul_i32 s35, s7, s35
	s_addc_u32 s17, s39, s41
	s_addc_u32 s38, s42, 0
	s_add_u32 s17, s17, s35
	s_addc_u32 s35, 0, s38
	v_add_co_u32 v2, s17, v2, s17
	s_delay_alu instid0(VALU_DEP_1) | instskip(SKIP_1) | instid1(VALU_DEP_1)
	s_cmp_lg_u32 s17, 0
	s_addc_u32 s7, s7, s35
	v_readfirstlane_b32 s17, v2
	s_mul_i32 s35, s21, s7
	s_delay_alu instid0(VALU_DEP_1)
	s_mul_hi_u32 s38, s21, s17
	s_mul_i32 s33, s33, s17
	s_add_i32 s35, s38, s35
	s_mul_i32 s21, s21, s17
	s_add_i32 s35, s35, s33
	s_mul_hi_u32 s38, s7, s21
	s_mul_i32 s39, s7, s21
	s_mul_hi_u32 s21, s17, s21
	s_mul_hi_u32 s40, s17, s35
	s_mul_i32 s17, s17, s35
	s_mul_hi_u32 s33, s7, s35
	s_add_u32 s17, s21, s17
	s_addc_u32 s21, 0, s40
	s_add_u32 s17, s17, s39
	s_mul_i32 s35, s7, s35
	s_addc_u32 s17, s21, s38
	s_addc_u32 s21, s33, 0
	s_add_u32 s17, s17, s35
	s_addc_u32 s21, 0, s21
	v_add_co_u32 v2, s17, v2, s17
	s_delay_alu instid0(VALU_DEP_1) | instskip(SKIP_2) | instid1(VALU_DEP_1)
	s_cmp_lg_u32 s17, 0
	s_addc_u32 s7, s7, s21
	s_ashr_i32 s38, s25, 31
	v_readfirstlane_b32 s17, v2
	s_add_u32 s40, s24, s38
	s_mov_b32 s39, s38
	s_addc_u32 s41, s25, s38
	s_delay_alu instid0(SALU_CYCLE_1) | instskip(NEXT) | instid1(SALU_CYCLE_1)
	s_xor_b64 s[40:41], s[40:41], s[38:39]
	s_mul_i32 s33, s40, s7
	s_mul_hi_u32 s35, s40, s17
	s_mul_hi_u32 s21, s40, s7
	;; [unrolled: 1-line block ×3, first 2 shown]
	s_mul_i32 s17, s41, s17
	s_add_u32 s33, s35, s33
	s_addc_u32 s21, 0, s21
	s_mul_hi_u32 s42, s41, s7
	s_add_u32 s17, s33, s17
	s_mul_i32 s7, s41, s7
	s_addc_u32 s17, s21, s43
	s_addc_u32 s21, s42, 0
	s_add_u32 s7, s17, s7
	s_addc_u32 s17, 0, s21
	s_mul_hi_u32 s21, s36, s7
	s_mul_i32 s35, s36, s17
	s_mul_i32 s42, s36, s7
	s_add_i32 s21, s21, s35
	v_sub_co_u32 v2, s35, s40, s42
	s_mul_i32 s33, s37, s7
	s_delay_alu instid0(SALU_CYCLE_1) | instskip(NEXT) | instid1(VALU_DEP_1)
	s_add_i32 s21, s21, s33
	v_sub_co_u32 v3, s40, v2, s36
	s_sub_i32 s33, s41, s21
	s_cmp_lg_u32 s35, 0
	s_subb_u32 s33, s33, s37
	s_cmp_lg_u32 s40, 0
	v_readfirstlane_b32 s40, v3
	s_subb_u32 s33, s33, 0
	s_delay_alu instid0(SALU_CYCLE_1) | instskip(SKIP_1) | instid1(VALU_DEP_1)
	s_cmp_ge_u32 s33, s37
	s_cselect_b32 s42, -1, 0
	s_cmp_ge_u32 s40, s36
	s_cselect_b32 s40, -1, 0
	s_cmp_eq_u32 s33, s37
	s_cselect_b32 s33, s40, s42
	s_add_u32 s40, s7, 1
	s_addc_u32 s42, s17, 0
	s_add_u32 s43, s7, 2
	s_addc_u32 s44, s17, 0
	s_cmp_lg_u32 s33, 0
	s_cselect_b32 s33, s43, s40
	s_cselect_b32 s40, s44, s42
	s_cmp_lg_u32 s35, 0
	v_readfirstlane_b32 s35, v2
	s_subb_u32 s21, s41, s21
	s_delay_alu instid0(SALU_CYCLE_1) | instskip(SKIP_1) | instid1(VALU_DEP_1)
	s_cmp_ge_u32 s21, s37
	s_cselect_b32 s41, -1, 0
	s_cmp_ge_u32 s35, s36
	s_cselect_b32 s35, -1, 0
	s_cmp_eq_u32 s21, s37
	s_cselect_b32 s21, s35, s41
	s_delay_alu instid0(SALU_CYCLE_1) | instskip(SKIP_3) | instid1(SALU_CYCLE_1)
	s_cmp_lg_u32 s21, 0
	s_cselect_b32 s37, s40, s17
	s_cselect_b32 s36, s33, s7
	s_xor_b64 s[28:29], s[38:39], s[28:29]
	s_xor_b64 s[36:37], s[36:37], s[28:29]
	s_delay_alu instid0(SALU_CYCLE_1)
	s_sub_u32 s28, s36, s28
	s_subb_u32 s29, s37, s29
	s_and_not1_b32 vcc_lo, exec_lo, s34
	s_cbranch_vccnz .LBB11_7
.LBB11_6:
	v_cvt_f32_u32_e32 v2, s30
	s_sub_i32 s17, 0, s30
	s_mov_b32 s29, 0
	s_delay_alu instid0(VALU_DEP_1) | instskip(SKIP_2) | instid1(VALU_DEP_1)
	v_rcp_iflag_f32_e32 v2, v2
	s_waitcnt_depctr 0xfff
	v_mul_f32_e32 v2, 0x4f7ffffe, v2
	v_cvt_u32_f32_e32 v2, v2
	s_delay_alu instid0(VALU_DEP_1) | instskip(NEXT) | instid1(VALU_DEP_1)
	v_readfirstlane_b32 s7, v2
	s_mul_i32 s17, s17, s7
	s_delay_alu instid0(SALU_CYCLE_1) | instskip(NEXT) | instid1(SALU_CYCLE_1)
	s_mul_hi_u32 s17, s7, s17
	s_add_i32 s7, s7, s17
	s_delay_alu instid0(SALU_CYCLE_1) | instskip(NEXT) | instid1(SALU_CYCLE_1)
	s_mul_hi_u32 s7, s24, s7
	s_mul_i32 s17, s7, s30
	s_add_i32 s21, s7, 1
	s_sub_i32 s17, s24, s17
	s_delay_alu instid0(SALU_CYCLE_1)
	s_sub_i32 s28, s17, s30
	s_cmp_ge_u32 s17, s30
	s_cselect_b32 s7, s21, s7
	s_cselect_b32 s17, s28, s17
	s_add_i32 s21, s7, 1
	s_cmp_ge_u32 s17, s30
	s_cselect_b32 s28, s21, s7
.LBB11_7:
	s_delay_alu instid0(SALU_CYCLE_1)
	s_mul_i32 s7, s28, s31
	s_mul_hi_u32 s17, s28, s30
	s_mul_i32 s21, s28, s30
	s_add_i32 s7, s17, s7
	s_mul_i32 s17, s29, s30
	s_mul_hi_u32 s34, s28, s4
	s_add_i32 s7, s7, s17
	s_sub_u32 s17, s24, s21
	s_subb_u32 s33, s25, s7
	s_mul_i32 s35, s29, s4
	s_mul_i32 s30, s28, s4
	s_mul_hi_u32 s29, s17, s5
	s_mul_i32 s33, s33, s5
	s_mul_i32 s24, s17, s5
	s_mov_b32 s36, exec_lo
	v_cmpx_gt_i32_e64 s20, v1
	s_cbranch_execz .LBB11_10
; %bb.8:
	s_load_b64 s[38:39], s[0:1], 0x4
	s_load_b32 s0, s[2:3], 0x8c
	s_ashr_i32 s1, s4, 31
	s_lshl_b64 s[26:27], s[26:27], 1
	s_mul_i32 s37, s9, s16
	s_ashr_i32 s21, s20, 31
	s_ashr_i32 s25, s5, 31
	s_ashr_i32 s7, s6, 31
	s_mul_i32 s31, s28, s1
	s_mul_i32 s25, s17, s25
	v_bfe_u32 v2, v0, 10, 10
	v_bfe_u32 v0, v0, 20, 10
	v_lshlrev_b32_e32 v5, 3, v1
	s_mul_hi_u32 s42, s8, s16
	v_mov_b32_e32 v9, v1
	s_waitcnt lgkmcnt(0)
	s_lshr_b32 s9, s38, 16
	s_and_b32 s1, s0, 0xffff
	s_add_u32 s0, s22, s26
	s_mul_i32 s22, s9, s39
	s_addc_u32 s38, s23, s27
	v_mul_lo_u32 v3, s22, v1
	s_add_i32 s23, s34, s31
	s_add_i32 s25, s29, s25
	;; [unrolled: 1-line block ×4, first 2 shown]
	s_lshl_b64 s[26:27], s[30:31], 2
	s_lshl_b64 s[40:41], s[24:25], 2
	s_lshl_b32 s9, s1, 1
	s_lshl_b64 s[22:23], s[20:21], 1
	s_add_u32 s21, s26, s40
	s_addc_u32 s25, s27, s41
	s_lshl_b64 s[26:27], s[6:7], 2
	v_mad_u32_u24 v6, v2, s39, v3
	v_add_co_u32 v2, s0, s0, v4
	s_delay_alu instid0(VALU_DEP_1)
	v_add_co_ci_u32_e64 v3, null, s38, 0, s0
	s_add_u32 s0, s18, s26
	s_addc_u32 s7, s19, s27
	s_add_u32 s0, s0, s21
	s_addc_u32 s7, s7, s25
	s_add_i32 s27, s42, s37
	s_mul_i32 s26, s8, s16
	v_add_lshl_u32 v0, v6, v0, 1
	v_add_co_u32 v4, s0, s0, v5
	v_lshlrev_b32_e32 v6, 2, v1
	s_lshl_b64 s[26:27], s[26:27], 1
	v_add_co_ci_u32_e64 v5, null, s7, 0, s0
	s_lshl_b32 s7, s1, 3
	s_add_u32 s0, s12, s26
	s_addc_u32 s8, s13, s27
	v_add_co_u32 v6, s0, s0, v6
	s_delay_alu instid0(VALU_DEP_1) | instskip(SKIP_2) | instid1(VALU_DEP_4)
	v_add_co_ci_u32_e64 v7, null, s8, 0, s0
	v_add_co_u32 v4, vcc_lo, v4, 4
	v_add_co_ci_u32_e32 v5, vcc_lo, 0, v5, vcc_lo
	v_add_co_u32 v6, vcc_lo, v6, 2
	v_add_nc_u32_e32 v8, 0x800, v0
	v_add_co_ci_u32_e32 v7, vcc_lo, 0, v7, vcc_lo
	s_mov_b32 s8, 0
	s_lshl_b32 s12, s1, 2
.LBB11_9:                               ; =>This Inner Loop Header: Depth=1
	v_add_co_u32 v10, vcc_lo, v2, s22
	v_add_co_ci_u32_e32 v11, vcc_lo, s23, v3, vcc_lo
	v_add_nc_u32_e32 v9, s1, v9
	s_clause 0x1
	global_load_u16 v12, v[2:3], off
	global_load_u16 v10, v[10:11], off
	global_load_b32 v11, v[6:7], off offset:-2
	v_add_co_u32 v2, vcc_lo, v2, s9
	v_add_co_ci_u32_e32 v3, vcc_lo, 0, v3, vcc_lo
	v_cmp_le_i32_e32 vcc_lo, s20, v9
	s_or_b32 s8, vcc_lo, s8
	s_waitcnt vmcnt(2)
	v_lshlrev_b32_e32 v12, 16, v12
	s_waitcnt vmcnt(1)
	v_lshlrev_b32_e32 v10, 16, v10
	s_waitcnt vmcnt(0)
	v_lshrrev_b32_e32 v13, 16, v11
	v_cvt_f16_f32_e32 v12, v12
	s_delay_alu instid0(VALU_DEP_3) | instskip(NEXT) | instid1(VALU_DEP_1)
	v_cvt_f16_f32_e32 v10, v10
	v_mul_f16_e32 v14, v13, v10
	v_mul_f16_e32 v15, v11, v10
	s_delay_alu instid0(VALU_DEP_2) | instskip(NEXT) | instid1(VALU_DEP_2)
	v_fma_f16 v14, v11, v12, -v14
	v_fmac_f16_e32 v15, v13, v12
	ds_store_b16 v8, v14
	ds_store_b16 v0, v15
	ds_load_b32 v10, v8
	ds_load_b32 v11, v0
	v_pack_b32_f16 v12, v14, v15
	global_store_b32 v[6:7], v12, off offset:-2
	v_add_co_u32 v6, s0, v6, s12
	s_delay_alu instid0(VALU_DEP_1) | instskip(SKIP_3) | instid1(VALU_DEP_1)
	v_add_co_ci_u32_e64 v7, s0, 0, v7, s0
	s_waitcnt lgkmcnt(0)
	global_store_b64 v[4:5], v[10:11], off offset:-4
	v_add_co_u32 v4, s0, v4, s7
	v_add_co_ci_u32_e64 v5, s0, 0, v5, s0
	s_and_not1_b32 exec_lo, exec_lo, s8
	s_cbranch_execnz .LBB11_9
.LBB11_10:
	s_or_b32 exec_lo, exec_lo, s36
	s_delay_alu instid0(SALU_CYCLE_1)
	s_mov_b32 s0, exec_lo
	v_cmpx_gt_i32_e64 s6, v1
	s_cbranch_execz .LBB11_13
; %bb.11:
	s_mul_i32 s1, s16, s11
	s_mul_hi_u32 s7, s16, s10
	s_mul_i32 s0, s16, s10
	s_add_i32 s1, s7, s1
	s_delay_alu instid0(SALU_CYCLE_1) | instskip(NEXT) | instid1(SALU_CYCLE_1)
	s_lshl_b64 s[8:9], s[0:1], 1
	s_add_u32 s1, s14, s8
	s_addc_u32 s7, s15, s9
	s_ashr_i32 s0, s4, 31
	s_load_b32 s4, s[2:3], 0x8c
	s_mul_i32 s0, s28, s0
	s_delay_alu instid0(SALU_CYCLE_1) | instskip(NEXT) | instid1(SALU_CYCLE_1)
	s_add_i32 s0, s34, s0
	s_add_i32 s31, s0, s35
	s_delay_alu instid0(SALU_CYCLE_1) | instskip(NEXT) | instid1(SALU_CYCLE_1)
	s_lshl_b64 s[2:3], s[30:31], 2
	s_add_u32 s0, s18, s2
	s_addc_u32 s8, s19, s3
	s_ashr_i32 s2, s5, 31
	s_mov_b32 s5, 0
	s_mul_i32 s17, s17, s2
	s_delay_alu instid0(SALU_CYCLE_1) | instskip(NEXT) | instid1(SALU_CYCLE_1)
	s_add_i32 s2, s29, s17
	s_add_i32 s25, s2, s33
	s_delay_alu instid0(SALU_CYCLE_1) | instskip(NEXT) | instid1(SALU_CYCLE_1)
	s_lshl_b64 s[2:3], s[24:25], 2
	s_add_u32 s2, s0, s2
	s_addc_u32 s3, s8, s3
	s_waitcnt lgkmcnt(0)
	s_and_b32 s4, s4, 0xffff
	.p2align	6
.LBB11_12:                              ; =>This Inner Loop Header: Depth=1
	v_ashrrev_i32_e32 v2, 31, v1
	s_delay_alu instid0(VALU_DEP_1) | instskip(NEXT) | instid1(VALU_DEP_1)
	v_lshlrev_b64 v[3:4], 1, v[1:2]
	v_add_co_u32 v3, vcc_lo, s1, v3
	s_delay_alu instid0(VALU_DEP_2) | instskip(SKIP_3) | instid1(VALU_DEP_1)
	v_add_co_ci_u32_e32 v4, vcc_lo, s7, v4, vcc_lo
	global_load_b32 v0, v[3:4], off
	v_lshlrev_b64 v[2:3], 2, v[1:2]
	v_add_nc_u32_e32 v1, s4, v1
	v_cmp_le_i32_e32 vcc_lo, s6, v1
	s_delay_alu instid0(VALU_DEP_3) | instskip(NEXT) | instid1(VALU_DEP_1)
	v_add_co_u32 v2, s0, s2, v2
	v_add_co_ci_u32_e64 v3, s0, s3, v3, s0
	s_or_b32 s5, vcc_lo, s5
	s_waitcnt vmcnt(0)
	global_store_b32 v[2:3], v0, off
	s_and_not1_b32 exec_lo, exec_lo, s5
	s_cbranch_execnz .LBB11_12
.LBB11_13:
	s_nop 0
	s_sendmsg sendmsg(MSG_DEALLOC_VGPRS)
	s_endpgm
.LBB11_14:
                                        ; implicit-def: $sgpr28_sgpr29
	s_branch .LBB11_6
	.section	.rodata,"a",@progbits
	.p2align	6, 0x0
	.amdhsa_kernel _ZN4vllm38concat_and_cache_mla_rope_fused_kernelIN3c104HalfENS1_8BFloat16ELb0EffLNS_18Fp8KVCacheDataTypeE0EEEvPKlPT_S8_PKS7_PKT0_illlliPT3_S6_iiiiPKf
		.amdhsa_group_segment_fixed_size 4096
		.amdhsa_private_segment_fixed_size 0
		.amdhsa_kernarg_size 384
		.amdhsa_user_sgpr_count 15
		.amdhsa_user_sgpr_dispatch_ptr 1
		.amdhsa_user_sgpr_queue_ptr 0
		.amdhsa_user_sgpr_kernarg_segment_ptr 1
		.amdhsa_user_sgpr_dispatch_id 0
		.amdhsa_user_sgpr_private_segment_size 0
		.amdhsa_wavefront_size32 1
		.amdhsa_uses_dynamic_stack 0
		.amdhsa_enable_private_segment 0
		.amdhsa_system_sgpr_workgroup_id_x 1
		.amdhsa_system_sgpr_workgroup_id_y 0
		.amdhsa_system_sgpr_workgroup_id_z 0
		.amdhsa_system_sgpr_workgroup_info 0
		.amdhsa_system_vgpr_workitem_id 2
		.amdhsa_next_free_vgpr 16
		.amdhsa_next_free_sgpr 45
		.amdhsa_reserve_vcc 1
		.amdhsa_float_round_mode_32 0
		.amdhsa_float_round_mode_16_64 0
		.amdhsa_float_denorm_mode_32 3
		.amdhsa_float_denorm_mode_16_64 3
		.amdhsa_dx10_clamp 1
		.amdhsa_ieee_mode 1
		.amdhsa_fp16_overflow 0
		.amdhsa_workgroup_processor_mode 1
		.amdhsa_memory_ordered 1
		.amdhsa_forward_progress 0
		.amdhsa_shared_vgpr_count 0
		.amdhsa_exception_fp_ieee_invalid_op 0
		.amdhsa_exception_fp_denorm_src 0
		.amdhsa_exception_fp_ieee_div_zero 0
		.amdhsa_exception_fp_ieee_overflow 0
		.amdhsa_exception_fp_ieee_underflow 0
		.amdhsa_exception_fp_ieee_inexact 0
		.amdhsa_exception_int_div_zero 0
	.end_amdhsa_kernel
	.section	.text._ZN4vllm38concat_and_cache_mla_rope_fused_kernelIN3c104HalfENS1_8BFloat16ELb0EffLNS_18Fp8KVCacheDataTypeE0EEEvPKlPT_S8_PKS7_PKT0_illlliPT3_S6_iiiiPKf,"axG",@progbits,_ZN4vllm38concat_and_cache_mla_rope_fused_kernelIN3c104HalfENS1_8BFloat16ELb0EffLNS_18Fp8KVCacheDataTypeE0EEEvPKlPT_S8_PKS7_PKT0_illlliPT3_S6_iiiiPKf,comdat
.Lfunc_end11:
	.size	_ZN4vllm38concat_and_cache_mla_rope_fused_kernelIN3c104HalfENS1_8BFloat16ELb0EffLNS_18Fp8KVCacheDataTypeE0EEEvPKlPT_S8_PKS7_PKT0_illlliPT3_S6_iiiiPKf, .Lfunc_end11-_ZN4vllm38concat_and_cache_mla_rope_fused_kernelIN3c104HalfENS1_8BFloat16ELb0EffLNS_18Fp8KVCacheDataTypeE0EEEvPKlPT_S8_PKS7_PKT0_illlliPT3_S6_iiiiPKf
                                        ; -- End function
	.section	.AMDGPU.csdata,"",@progbits
; Kernel info:
; codeLenInByte = 2452
; NumSgprs: 47
; NumVgprs: 16
; ScratchSize: 0
; MemoryBound: 0
; FloatMode: 240
; IeeeMode: 1
; LDSByteSize: 4096 bytes/workgroup (compile time only)
; SGPRBlocks: 5
; VGPRBlocks: 1
; NumSGPRsForWavesPerEU: 47
; NumVGPRsForWavesPerEU: 16
; Occupancy: 16
; WaveLimiterHint : 1
; COMPUTE_PGM_RSRC2:SCRATCH_EN: 0
; COMPUTE_PGM_RSRC2:USER_SGPR: 15
; COMPUTE_PGM_RSRC2:TRAP_HANDLER: 0
; COMPUTE_PGM_RSRC2:TGID_X_EN: 1
; COMPUTE_PGM_RSRC2:TGID_Y_EN: 0
; COMPUTE_PGM_RSRC2:TGID_Z_EN: 0
; COMPUTE_PGM_RSRC2:TIDIG_COMP_CNT: 2
	.section	.text._ZN4vllm38concat_and_cache_mla_rope_fused_kernelIN3c108BFloat16EfLb1EffLNS_18Fp8KVCacheDataTypeE0EEEvPKlPT_S7_PKS6_PKT0_illlliPT3_S5_iiiiPKf,"axG",@progbits,_ZN4vllm38concat_and_cache_mla_rope_fused_kernelIN3c108BFloat16EfLb1EffLNS_18Fp8KVCacheDataTypeE0EEEvPKlPT_S7_PKS6_PKT0_illlliPT3_S5_iiiiPKf,comdat
	.protected	_ZN4vllm38concat_and_cache_mla_rope_fused_kernelIN3c108BFloat16EfLb1EffLNS_18Fp8KVCacheDataTypeE0EEEvPKlPT_S7_PKS6_PKT0_illlliPT3_S5_iiiiPKf ; -- Begin function _ZN4vllm38concat_and_cache_mla_rope_fused_kernelIN3c108BFloat16EfLb1EffLNS_18Fp8KVCacheDataTypeE0EEEvPKlPT_S7_PKS6_PKT0_illlliPT3_S5_iiiiPKf
	.globl	_ZN4vllm38concat_and_cache_mla_rope_fused_kernelIN3c108BFloat16EfLb1EffLNS_18Fp8KVCacheDataTypeE0EEEvPKlPT_S7_PKS6_PKT0_illlliPT3_S5_iiiiPKf
	.p2align	8
	.type	_ZN4vllm38concat_and_cache_mla_rope_fused_kernelIN3c108BFloat16EfLb1EffLNS_18Fp8KVCacheDataTypeE0EEEvPKlPT_S7_PKS6_PKT0_illlliPT3_S5_iiiiPKf,@function
_ZN4vllm38concat_and_cache_mla_rope_fused_kernelIN3c108BFloat16EfLb1EffLNS_18Fp8KVCacheDataTypeE0EEEvPKlPT_S7_PKS6_PKT0_illlliPT3_S5_iiiiPKf: ; @_ZN4vllm38concat_and_cache_mla_rope_fused_kernelIN3c108BFloat16EfLb1EffLNS_18Fp8KVCacheDataTypeE0EEEvPKlPT_S7_PKS6_PKT0_illlliPT3_S5_iiiiPKf
; %bb.0:
	s_load_b64 s[6:7], s[2:3], 0x60
	s_mov_b32 s20, s15
	s_mov_b32 s21, 0
	s_delay_alu instid0(SALU_CYCLE_1)
	s_lshl_b64 s[4:5], s[20:21], 3
	s_waitcnt lgkmcnt(0)
	s_add_u32 s6, s6, s4
	s_addc_u32 s7, s7, s5
	s_load_b64 s[30:31], s[6:7], 0x0
	s_waitcnt lgkmcnt(0)
	v_cmp_lt_i64_e64 s6, s[30:31], 0
	s_delay_alu instid0(VALU_DEP_1)
	s_and_b32 vcc_lo, exec_lo, s6
	s_cbranch_vccnz .LBB12_13
; %bb.1:
	s_clause 0x2
	s_load_b32 s18, s[2:3], 0x28
	s_load_b64 s[6:7], s[2:3], 0x0
	s_load_b128 s[12:15], s[2:3], 0x10
	v_and_b32_e32 v1, 0x3ff, v0
	s_mov_b32 s35, exec_lo
	s_waitcnt lgkmcnt(0)
	s_ashr_i32 s19, s18, 31
	s_add_u32 s4, s6, s4
	s_addc_u32 s5, s7, s5
	s_load_b64 s[16:17], s[4:5], 0x0
	s_clause 0x3
	s_load_b64 s[26:27], s[2:3], 0x20
	s_load_b32 s25, s[2:3], 0x50
	s_load_b64 s[22:23], s[2:3], 0x58
	s_load_b256 s[4:11], s[2:3], 0x30
	s_waitcnt lgkmcnt(0)
	s_mul_i32 s19, s16, s19
	s_mul_hi_u32 s21, s16, s18
	s_mul_i32 s17, s17, s18
	s_add_i32 s19, s21, s19
	s_mul_i32 s16, s16, s18
	s_add_i32 s17, s19, s17
	s_delay_alu instid0(SALU_CYCLE_1) | instskip(NEXT) | instid1(SALU_CYCLE_1)
	s_lshl_b64 s[28:29], s[16:17], 2
	s_add_u32 s21, s26, s28
	s_addc_u32 s33, s27, s29
	s_lshr_b32 s16, s18, 31
	s_delay_alu instid0(SALU_CYCLE_1) | instskip(NEXT) | instid1(SALU_CYCLE_1)
	s_add_i32 s18, s18, s16
	s_ashr_i32 s24, s18, 1
	s_delay_alu instid0(SALU_CYCLE_1) | instskip(NEXT) | instid1(SALU_CYCLE_1)
	s_mul_i32 s34, s24, s25
	v_cmpx_gt_i32_e64 s34, v1
	s_cbranch_execz .LBB12_4
; %bb.2:
	s_load_b64 s[16:17], s[2:3], 0x8
	s_mul_i32 s5, s20, s5
	s_mul_hi_u32 s18, s20, s4
	s_mul_i32 s4, s20, s4
	s_add_i32 s5, s18, s5
	s_load_b32 s18, s[2:3], 0x8c
	s_lshl_b64 s[4:5], s[4:5], 1
	s_ashr_i32 s25, s24, 31
	s_mov_b32 s39, 0
	s_waitcnt lgkmcnt(0)
	s_add_u32 s36, s16, s4
	s_addc_u32 s37, s17, s5
	s_abs_i32 s38, s24
	s_sub_i32 s41, 0, s24
	v_cvt_f32_u32_e32 v2, s38
	s_sub_i32 s4, 0, s38
	s_and_b32 s40, s18, 0xffff
	s_lshl_b64 s[16:17], s[24:25], 2
	s_lshl_b64 s[18:19], s[24:25], 1
	v_rcp_iflag_f32_e32 v2, v2
	s_waitcnt_depctr 0xfff
	v_mul_f32_e32 v2, 0x4f7ffffe, v2
	s_delay_alu instid0(VALU_DEP_1) | instskip(NEXT) | instid1(VALU_DEP_1)
	v_cvt_u32_f32_e32 v2, v2
	v_mul_lo_u32 v3, s4, v2
	s_delay_alu instid0(VALU_DEP_1) | instskip(NEXT) | instid1(VALU_DEP_1)
	v_mul_hi_u32 v3, v2, v3
	v_dual_mov_b32 v2, v1 :: v_dual_add_nc_u32 v3, v2, v3
.LBB12_3:                               ; =>This Inner Loop Header: Depth=1
	s_delay_alu instid0(VALU_DEP_1) | instskip(SKIP_1) | instid1(VALU_DEP_2)
	v_sub_nc_u32_e32 v4, 0, v2
	v_ashrrev_i32_e32 v5, 31, v2
	v_max_i32_e32 v4, v2, v4
	s_delay_alu instid0(VALU_DEP_2) | instskip(NEXT) | instid1(VALU_DEP_2)
	v_xor_b32_e32 v5, s25, v5
	v_mul_hi_u32 v6, v4, v3
	s_delay_alu instid0(VALU_DEP_1) | instskip(SKIP_1) | instid1(VALU_DEP_2)
	v_mul_lo_u32 v7, v6, s38
	v_add_nc_u32_e32 v8, 1, v6
	v_sub_nc_u32_e32 v4, v4, v7
	s_delay_alu instid0(VALU_DEP_1) | instskip(SKIP_1) | instid1(VALU_DEP_4)
	v_subrev_nc_u32_e32 v7, s38, v4
	v_cmp_le_u32_e32 vcc_lo, s38, v4
	v_cndmask_b32_e32 v6, v6, v8, vcc_lo
	s_delay_alu instid0(VALU_DEP_1) | instskip(NEXT) | instid1(VALU_DEP_1)
	v_dual_cndmask_b32 v4, v4, v7 :: v_dual_add_nc_u32 v7, 1, v6
	v_cmp_le_u32_e32 vcc_lo, s38, v4
	s_delay_alu instid0(VALU_DEP_2) | instskip(NEXT) | instid1(VALU_DEP_1)
	v_cndmask_b32_e32 v4, v6, v7, vcc_lo
	v_xor_b32_e32 v4, v4, v5
	s_delay_alu instid0(VALU_DEP_1) | instskip(NEXT) | instid1(VALU_DEP_1)
	v_sub_nc_u32_e32 v8, v4, v5
	v_ashrrev_i32_e32 v9, 31, v8
	v_mad_u64_u32 v[4:5], null, s41, v8, v[2:3]
	v_mul_lo_u32 v10, v8, s7
	v_mad_u64_u32 v[6:7], null, v8, s6, 0
	s_delay_alu instid0(VALU_DEP_4) | instskip(SKIP_2) | instid1(VALU_DEP_3)
	v_mul_lo_u32 v8, v9, s6
	v_add_nc_u32_e32 v2, s40, v2
	v_ashrrev_i32_e32 v5, 31, v4
	v_add3_u32 v7, v7, v10, v8
	s_delay_alu instid0(VALU_DEP_2) | instskip(SKIP_1) | instid1(VALU_DEP_3)
	v_lshlrev_b64 v[8:9], 2, v[4:5]
	v_lshlrev_b64 v[4:5], 1, v[4:5]
	;; [unrolled: 1-line block ×3, first 2 shown]
	s_delay_alu instid0(VALU_DEP_3) | instskip(NEXT) | instid1(VALU_DEP_4)
	v_add_co_u32 v8, vcc_lo, s21, v8
	v_add_co_ci_u32_e32 v9, vcc_lo, s33, v9, vcc_lo
	global_load_b32 v10, v[8:9], off
	v_add_co_u32 v8, vcc_lo, v8, s16
	v_add_co_ci_u32_e32 v9, vcc_lo, s17, v9, vcc_lo
	v_add_co_u32 v6, vcc_lo, s36, v6
	v_add_co_ci_u32_e32 v7, vcc_lo, s37, v7, vcc_lo
	global_load_b32 v8, v[8:9], off
	v_add_co_u32 v4, vcc_lo, v6, v4
	v_add_co_ci_u32_e32 v5, vcc_lo, v7, v5, vcc_lo
	s_delay_alu instid0(VALU_DEP_2) | instskip(NEXT) | instid1(VALU_DEP_2)
	v_add_co_u32 v6, vcc_lo, v4, s18
	v_add_co_ci_u32_e32 v7, vcc_lo, s19, v5, vcc_lo
	s_clause 0x1
	global_load_u16 v9, v[4:5], off
	global_load_u16 v11, v[6:7], off
	s_waitcnt vmcnt(3)
	v_bfe_u32 v12, v10, 16, 1
	v_cmp_o_f32_e32 vcc_lo, v10, v10
	s_delay_alu instid0(VALU_DEP_2) | instskip(SKIP_2) | instid1(VALU_DEP_2)
	v_add3_u32 v12, v10, v12, 0x7fff
	s_waitcnt vmcnt(2)
	v_bfe_u32 v13, v8, 16, 1
	v_and_b32_e32 v12, 0xffff0000, v12
	s_delay_alu instid0(VALU_DEP_2) | instskip(NEXT) | instid1(VALU_DEP_2)
	v_add3_u32 v13, v8, v13, 0x7fff
	v_cndmask_b32_e32 v10, 0x7fc00000, v12, vcc_lo
	v_cmp_o_f32_e32 vcc_lo, v8, v8
	s_delay_alu instid0(VALU_DEP_3) | instskip(SKIP_3) | instid1(VALU_DEP_2)
	v_and_b32_e32 v12, 0xffff0000, v13
	s_waitcnt vmcnt(1)
	v_lshlrev_b32_e32 v9, 16, v9
	s_waitcnt vmcnt(0)
	v_dual_cndmask_b32 v12, 0x7fc00000, v12 :: v_dual_lshlrev_b32 v11, 16, v11
	s_delay_alu instid0(VALU_DEP_2) | instskip(NEXT) | instid1(VALU_DEP_2)
	v_mul_f32_e32 v8, v10, v9
	v_mul_f32_e32 v9, v12, v9
	s_delay_alu instid0(VALU_DEP_2) | instskip(SKIP_1) | instid1(VALU_DEP_3)
	v_bfe_u32 v13, v8, 16, 1
	v_cmp_o_f32_e64 s4, v8, v8
	v_bfe_u32 v15, v9, 16, 1
	s_delay_alu instid0(VALU_DEP_3) | instskip(SKIP_2) | instid1(VALU_DEP_4)
	v_add3_u32 v13, v8, v13, 0x7fff
	v_mul_f32_e32 v10, v10, v11
	v_mul_f32_e32 v11, v12, v11
	v_add3_u32 v15, v9, v15, 0x7fff
	s_delay_alu instid0(VALU_DEP_4) | instskip(NEXT) | instid1(VALU_DEP_4)
	v_and_b32_e32 v13, 0xffff0000, v13
	v_bfe_u32 v12, v10, 16, 1
	s_delay_alu instid0(VALU_DEP_4) | instskip(SKIP_1) | instid1(VALU_DEP_3)
	v_bfe_u32 v14, v11, 16, 1
	v_cmp_o_f32_e32 vcc_lo, v10, v10
	v_add3_u32 v12, v10, v12, 0x7fff
	s_delay_alu instid0(VALU_DEP_3) | instskip(SKIP_4) | instid1(VALU_DEP_1)
	v_add3_u32 v14, v11, v14, 0x7fff
	v_cndmask_b32_e64 v10, 0x7fc00000, v13, s4
	v_and_b32_e32 v13, 0xffff0000, v15
	v_cmp_o_f32_e64 s4, v11, v11
	v_and_b32_e32 v12, 0xffff0000, v12
	v_cndmask_b32_e32 v12, 0x7fc00000, v12, vcc_lo
	v_cmp_o_f32_e32 vcc_lo, v9, v9
	v_cndmask_b32_e32 v9, 0x7fc00000, v13, vcc_lo
	v_and_b32_e32 v8, 0xffff0000, v14
	v_cmp_le_i32_e32 vcc_lo, s34, v2
	s_delay_alu instid0(VALU_DEP_3) | instskip(NEXT) | instid1(VALU_DEP_3)
	v_add_f32_e32 v9, v12, v9
	v_cndmask_b32_e64 v8, 0x7fc00000, v8, s4
	s_or_b32 s39, vcc_lo, s39
	s_delay_alu instid0(VALU_DEP_2) | instskip(NEXT) | instid1(VALU_DEP_2)
	v_bfe_u32 v11, v9, 16, 1
	v_sub_f32_e32 v8, v10, v8
	v_cmp_o_f32_e64 s4, v9, v9
	s_delay_alu instid0(VALU_DEP_3) | instskip(NEXT) | instid1(VALU_DEP_3)
	v_add3_u32 v11, v9, v11, 0x7fff
	v_bfe_u32 v10, v8, 16, 1
	v_cmp_o_f32_e64 s5, v8, v8
	s_delay_alu instid0(VALU_DEP_3) | instskip(NEXT) | instid1(VALU_DEP_3)
	v_lshrrev_b32_e32 v11, 16, v11
	v_add3_u32 v10, v8, v10, 0x7fff
	s_delay_alu instid0(VALU_DEP_2) | instskip(NEXT) | instid1(VALU_DEP_2)
	v_cndmask_b32_e64 v9, 0x7fc0, v11, s4
	v_lshrrev_b32_e32 v10, 16, v10
	s_delay_alu instid0(VALU_DEP_1)
	v_cndmask_b32_e64 v8, 0x7fc0, v10, s5
	s_clause 0x1
	global_store_b16 v[4:5], v8, off
	global_store_b16 v[6:7], v9, off
	s_and_not1_b32 exec_lo, exec_lo, s39
	s_cbranch_execnz .LBB12_3
.LBB12_4:
	s_or_b32 exec_lo, exec_lo, s35
	s_load_b128 s[16:19], s[2:3], 0x68
	s_waitcnt lgkmcnt(0)
	s_ashr_i32 s5, s19, 31
	s_mov_b32 s4, s19
	s_delay_alu instid0(SALU_CYCLE_1) | instskip(SKIP_1) | instid1(SALU_CYCLE_1)
	s_or_b64 s[34:35], s[30:31], s[4:5]
	s_mov_b32 s34, 0
	s_cmp_lg_u64 s[34:35], 0
	s_cbranch_scc0 .LBB12_14
; %bb.5:
	s_add_u32 s36, s4, s5
	s_mov_b32 s6, s5
	s_mov_b32 s7, s5
	s_addc_u32 s37, s5, s5
	s_delay_alu instid0(SALU_CYCLE_1) | instskip(NEXT) | instid1(SALU_CYCLE_1)
	s_xor_b64 s[36:37], s[36:37], s[6:7]
	v_cvt_f32_u32_e32 v2, s36
	v_cvt_f32_u32_e32 v3, s37
	s_sub_u32 s35, 0, s36
	s_subb_u32 s38, 0, s37
	s_delay_alu instid0(VALU_DEP_1) | instskip(NEXT) | instid1(VALU_DEP_1)
	v_fmamk_f32 v2, v3, 0x4f800000, v2
	v_rcp_f32_e32 v2, v2
	s_waitcnt_depctr 0xfff
	v_mul_f32_e32 v2, 0x5f7ffffc, v2
	s_delay_alu instid0(VALU_DEP_1) | instskip(NEXT) | instid1(VALU_DEP_1)
	v_mul_f32_e32 v3, 0x2f800000, v2
	v_trunc_f32_e32 v3, v3
	s_delay_alu instid0(VALU_DEP_1) | instskip(SKIP_1) | instid1(VALU_DEP_2)
	v_fmamk_f32 v2, v3, 0xcf800000, v2
	v_cvt_u32_f32_e32 v3, v3
	v_cvt_u32_f32_e32 v2, v2
	s_delay_alu instid0(VALU_DEP_2) | instskip(NEXT) | instid1(VALU_DEP_2)
	v_readfirstlane_b32 s19, v3
	v_readfirstlane_b32 s25, v2
	s_delay_alu instid0(VALU_DEP_2) | instskip(NEXT) | instid1(VALU_DEP_1)
	s_mul_i32 s39, s35, s19
	s_mul_hi_u32 s41, s35, s25
	s_mul_i32 s40, s38, s25
	s_add_i32 s39, s41, s39
	s_mul_i32 s42, s35, s25
	s_add_i32 s39, s39, s40
	s_mul_hi_u32 s41, s25, s42
	s_mul_hi_u32 s43, s19, s42
	s_mul_i32 s40, s19, s42
	s_mul_hi_u32 s42, s25, s39
	s_mul_i32 s25, s25, s39
	s_mul_hi_u32 s44, s19, s39
	s_add_u32 s25, s41, s25
	s_addc_u32 s41, 0, s42
	s_add_u32 s25, s25, s40
	s_mul_i32 s39, s19, s39
	s_addc_u32 s25, s41, s43
	s_addc_u32 s40, s44, 0
	s_add_u32 s25, s25, s39
	s_addc_u32 s39, 0, s40
	v_add_co_u32 v2, s25, v2, s25
	s_delay_alu instid0(VALU_DEP_1) | instskip(SKIP_1) | instid1(VALU_DEP_1)
	s_cmp_lg_u32 s25, 0
	s_addc_u32 s19, s19, s39
	v_readfirstlane_b32 s25, v2
	s_mul_i32 s39, s35, s19
	s_delay_alu instid0(VALU_DEP_1)
	s_mul_hi_u32 s40, s35, s25
	s_mul_i32 s38, s38, s25
	s_add_i32 s39, s40, s39
	s_mul_i32 s35, s35, s25
	s_add_i32 s39, s39, s38
	s_mul_hi_u32 s40, s19, s35
	s_mul_i32 s41, s19, s35
	s_mul_hi_u32 s35, s25, s35
	s_mul_hi_u32 s42, s25, s39
	s_mul_i32 s25, s25, s39
	s_mul_hi_u32 s38, s19, s39
	s_add_u32 s25, s35, s25
	s_addc_u32 s35, 0, s42
	s_add_u32 s25, s25, s41
	s_mul_i32 s39, s19, s39
	s_addc_u32 s25, s35, s40
	s_addc_u32 s35, s38, 0
	s_add_u32 s25, s25, s39
	s_addc_u32 s35, 0, s35
	v_add_co_u32 v2, s25, v2, s25
	s_delay_alu instid0(VALU_DEP_1) | instskip(SKIP_2) | instid1(VALU_DEP_1)
	s_cmp_lg_u32 s25, 0
	s_addc_u32 s19, s19, s35
	s_ashr_i32 s38, s31, 31
	v_readfirstlane_b32 s25, v2
	s_add_u32 s40, s30, s38
	s_mov_b32 s39, s38
	s_addc_u32 s41, s31, s38
	s_delay_alu instid0(SALU_CYCLE_1) | instskip(NEXT) | instid1(SALU_CYCLE_1)
	s_xor_b64 s[40:41], s[40:41], s[38:39]
	s_mul_i32 s42, s40, s19
	s_mul_hi_u32 s43, s40, s25
	s_mul_hi_u32 s35, s40, s19
	;; [unrolled: 1-line block ×3, first 2 shown]
	s_mul_i32 s25, s41, s25
	s_add_u32 s42, s43, s42
	s_addc_u32 s35, 0, s35
	s_mul_hi_u32 s44, s41, s19
	s_add_u32 s25, s42, s25
	s_mul_i32 s19, s41, s19
	s_addc_u32 s25, s35, s45
	s_addc_u32 s35, s44, 0
	s_add_u32 s19, s25, s19
	s_addc_u32 s25, 0, s35
	s_mul_i32 s44, s36, s19
	s_mul_hi_u32 s35, s36, s19
	s_mul_i32 s43, s36, s25
	v_sub_co_u32 v2, s40, s40, s44
	s_mul_i32 s42, s37, s19
	s_add_i32 s35, s35, s43
	s_delay_alu instid0(SALU_CYCLE_1) | instskip(NEXT) | instid1(VALU_DEP_1)
	s_add_i32 s35, s35, s42
	v_sub_co_u32 v3, s43, v2, s36
	s_sub_i32 s42, s41, s35
	s_cmp_lg_u32 s40, 0
	s_subb_u32 s42, s42, s37
	s_cmp_lg_u32 s43, 0
	v_readfirstlane_b32 s43, v3
	s_subb_u32 s42, s42, 0
	s_delay_alu instid0(SALU_CYCLE_1) | instskip(SKIP_1) | instid1(VALU_DEP_1)
	s_cmp_ge_u32 s42, s37
	s_cselect_b32 s44, -1, 0
	s_cmp_ge_u32 s43, s36
	s_cselect_b32 s43, -1, 0
	s_cmp_eq_u32 s42, s37
	s_cselect_b32 s42, s43, s44
	s_add_u32 s43, s19, 1
	s_addc_u32 s44, s25, 0
	s_add_u32 s45, s19, 2
	s_addc_u32 s46, s25, 0
	s_cmp_lg_u32 s42, 0
	s_cselect_b32 s42, s45, s43
	s_cselect_b32 s43, s46, s44
	s_cmp_lg_u32 s40, 0
	v_readfirstlane_b32 s40, v2
	s_subb_u32 s35, s41, s35
	s_delay_alu instid0(SALU_CYCLE_1) | instskip(SKIP_1) | instid1(VALU_DEP_1)
	s_cmp_ge_u32 s35, s37
	s_cselect_b32 s41, -1, 0
	s_cmp_ge_u32 s40, s36
	s_cselect_b32 s36, -1, 0
	s_cmp_eq_u32 s35, s37
	s_cselect_b32 s35, s36, s41
	s_delay_alu instid0(SALU_CYCLE_1) | instskip(SKIP_3) | instid1(SALU_CYCLE_1)
	s_cmp_lg_u32 s35, 0
	s_cselect_b32 s37, s43, s25
	s_cselect_b32 s36, s42, s19
	s_xor_b64 s[6:7], s[38:39], s[6:7]
	s_xor_b64 s[36:37], s[36:37], s[6:7]
	s_delay_alu instid0(SALU_CYCLE_1)
	s_sub_u32 s6, s36, s6
	s_subb_u32 s7, s37, s7
	s_and_not1_b32 vcc_lo, exec_lo, s34
	s_cbranch_vccnz .LBB12_7
.LBB12_6:
	v_cvt_f32_u32_e32 v2, s4
	s_sub_i32 s7, 0, s4
	s_delay_alu instid0(VALU_DEP_1) | instskip(SKIP_2) | instid1(VALU_DEP_1)
	v_rcp_iflag_f32_e32 v2, v2
	s_waitcnt_depctr 0xfff
	v_mul_f32_e32 v2, 0x4f7ffffe, v2
	v_cvt_u32_f32_e32 v2, v2
	s_delay_alu instid0(VALU_DEP_1) | instskip(NEXT) | instid1(VALU_DEP_1)
	v_readfirstlane_b32 s6, v2
	s_mul_i32 s7, s7, s6
	s_delay_alu instid0(SALU_CYCLE_1) | instskip(NEXT) | instid1(SALU_CYCLE_1)
	s_mul_hi_u32 s7, s6, s7
	s_add_i32 s6, s6, s7
	s_delay_alu instid0(SALU_CYCLE_1) | instskip(NEXT) | instid1(SALU_CYCLE_1)
	s_mul_hi_u32 s6, s30, s6
	s_mul_i32 s7, s6, s4
	s_add_i32 s19, s6, 1
	s_sub_i32 s7, s30, s7
	s_delay_alu instid0(SALU_CYCLE_1)
	s_sub_i32 s25, s7, s4
	s_cmp_ge_u32 s7, s4
	s_cselect_b32 s6, s19, s6
	s_cselect_b32 s7, s25, s7
	s_add_i32 s19, s6, 1
	s_cmp_ge_u32 s7, s4
	s_mov_b32 s7, 0
	s_cselect_b32 s6, s19, s6
.LBB12_7:
	s_delay_alu instid0(SALU_CYCLE_1)
	s_mul_i32 s5, s6, s5
	s_mul_hi_u32 s19, s6, s4
	s_mul_hi_u32 s37, s6, s16
	s_add_i32 s5, s19, s5
	s_mul_i32 s19, s7, s4
	s_mul_i32 s4, s6, s4
	s_add_i32 s19, s5, s19
	s_sub_u32 s5, s30, s4
	s_subb_u32 s36, s31, s19
	s_mul_i32 s38, s7, s16
	s_mul_i32 s34, s6, s16
	s_mul_hi_u32 s7, s5, s17
	s_mul_i32 s36, s36, s17
	s_mul_i32 s30, s5, s17
	s_mov_b32 s39, exec_lo
	v_cmpx_gt_i32_e64 s24, v1
	s_cbranch_execz .LBB12_10
; %bb.8:
	s_load_b64 s[0:1], s[0:1], 0x4
	s_load_b32 s44, s[2:3], 0x8c
	s_ashr_i32 s4, s16, 31
	s_ashr_i32 s19, s17, 31
	s_mul_i32 s4, s6, s4
	s_mul_i32 s19, s5, s19
	s_add_i32 s4, s37, s4
	s_add_i32 s19, s7, s19
	;; [unrolled: 1-line block ×4, first 2 shown]
	s_lshl_b64 s[40:41], s[34:35], 2
	s_lshl_b64 s[42:43], s[30:31], 2
	s_ashr_i32 s25, s24, 31
	v_bfe_u32 v2, v0, 10, 10
	v_bfe_u32 v3, v0, 20, 10
	s_mul_i32 s9, s9, s20
	s_mul_hi_u32 s46, s8, s20
	v_lshlrev_b32_e32 v0, 2, v1
	v_mov_b32_e32 v6, v1
	s_waitcnt lgkmcnt(0)
	s_lshr_b32 s0, s0, 16
	s_add_u32 s4, s40, s42
	s_mul_i32 s0, s0, s1
	s_addc_u32 s41, s41, s43
	s_add_u32 s31, s4, s22
	v_mul_lo_u32 v4, s0, v1
	s_addc_u32 s35, s41, s23
	s_ashr_i32 s19, s18, 31
	s_mul_i32 s0, s8, s20
	s_lshl_b64 s[42:43], s[18:19], 2
	s_delay_alu instid0(SALU_CYCLE_1)
	s_add_u32 s19, s31, s42
	s_addc_u32 s31, s35, s43
	s_and_b32 s35, s44, 0xffff
	s_lshl_b64 s[44:45], s[24:25], 2
	v_mad_u32_u24 v2, v2, s1, v4
	s_lshl_b32 s40, s35, 2
	s_add_u32 s1, s28, s44
	s_addc_u32 s8, s29, s45
	s_add_u32 s26, s26, s1
	s_addc_u32 s27, s27, s8
	s_add_i32 s1, s46, s9
	v_add_lshl_u32 v4, v2, v3, 1
	v_lshlrev_b32_e32 v2, 1, v1
	s_lshl_b64 s[0:1], s[0:1], 1
	s_lshl_b64 s[8:9], s[24:25], 1
	s_add_u32 s0, s12, s0
	s_addc_u32 s1, s13, s1
	v_add_co_u32 v2, s0, s0, v2
	s_lshl_b32 s12, s35, 1
	v_add_co_ci_u32_e64 v3, null, s1, 0, s0
	s_add_u32 s0, s4, s44
	s_addc_u32 s1, s41, s45
	v_add_nc_u32_e32 v5, 0x800, v4
	s_add_u32 s0, s0, s42
	s_addc_u32 s1, s1, s43
	s_add_u32 s13, s22, s0
	s_mov_b32 s28, 0
	s_addc_u32 s25, s23, s1
.LBB12_9:                               ; =>This Inner Loop Header: Depth=1
	v_add_co_u32 v7, s0, s21, v0
	s_delay_alu instid0(VALU_DEP_1)
	v_add_co_ci_u32_e64 v8, null, s33, 0, s0
	v_add_co_u32 v9, s0, s26, v0
	v_add_co_u32 v11, vcc_lo, v2, s8
	v_add_co_ci_u32_e64 v10, null, s27, 0, s0
	v_add_co_ci_u32_e32 v12, vcc_lo, s9, v3, vcc_lo
	global_load_u16 v13, v[2:3], off
	global_load_b32 v7, v[7:8], off
	global_load_b32 v8, v[9:10], off
	global_load_u16 v9, v[11:12], off
	v_add_nc_u32_e32 v6, s35, v6
	s_add_u32 s21, s21, s40
	s_addc_u32 s33, s33, 0
	s_add_u32 s26, s26, s40
	s_addc_u32 s27, s27, 0
	s_waitcnt vmcnt(3)
	v_lshlrev_b32_e32 v10, 16, v13
	s_waitcnt vmcnt(2)
	v_bfe_u32 v13, v7, 16, 1
	s_waitcnt vmcnt(1)
	v_bfe_u32 v14, v8, 16, 1
	v_cmp_o_f32_e32 vcc_lo, v8, v8
	v_cmp_o_f32_e64 s0, v7, v7
	v_add3_u32 v13, v7, v13, 0x7fff
	s_delay_alu instid0(VALU_DEP_4) | instskip(NEXT) | instid1(VALU_DEP_1)
	v_add3_u32 v14, v8, v14, 0x7fff
	v_and_b32_e32 v14, 0xffff0000, v14
	s_waitcnt vmcnt(0)
	s_delay_alu instid0(VALU_DEP_1) | instskip(SKIP_1) | instid1(VALU_DEP_2)
	v_dual_cndmask_b32 v8, 0x7fc00000, v14 :: v_dual_lshlrev_b32 v9, 16, v9
	v_and_b32_e32 v13, 0xffff0000, v13
	v_mul_f32_e32 v14, v8, v9
	v_mul_f32_e32 v8, v8, v10
	s_delay_alu instid0(VALU_DEP_3) | instskip(NEXT) | instid1(VALU_DEP_3)
	v_cndmask_b32_e64 v7, 0x7fc00000, v13, s0
	v_cmp_o_f32_e32 vcc_lo, v14, v14
	s_delay_alu instid0(VALU_DEP_3) | instskip(NEXT) | instid1(VALU_DEP_3)
	v_bfe_u32 v16, v8, 16, 1
	v_mul_f32_e32 v13, v7, v10
	v_mul_f32_e32 v7, v7, v9
	v_bfe_u32 v10, v14, 16, 1
	v_cmp_o_f32_e64 s1, v8, v8
	v_add3_u32 v16, v8, v16, 0x7fff
	s_delay_alu instid0(VALU_DEP_4) | instskip(NEXT) | instid1(VALU_DEP_4)
	v_bfe_u32 v15, v7, 16, 1
	v_add3_u32 v10, v14, v10, 0x7fff
	v_cmp_o_f32_e64 s0, v7, v7
	s_delay_alu instid0(VALU_DEP_3) | instskip(NEXT) | instid1(VALU_DEP_3)
	v_add3_u32 v15, v7, v15, 0x7fff
	v_and_b32_e32 v10, 0xffff0000, v10
	s_delay_alu instid0(VALU_DEP_2) | instskip(SKIP_4) | instid1(VALU_DEP_4)
	v_and_b32_e32 v14, 0xffff0000, v15
	v_bfe_u32 v9, v13, 16, 1
	v_cmp_o_f32_e64 s4, v13, v13
	v_and_b32_e32 v15, 0xffff0000, v16
	v_cndmask_b32_e32 v8, 0x7fc00000, v10, vcc_lo
	v_add3_u32 v9, v13, v9, 0x7fff
	s_delay_alu instid0(VALU_DEP_3) | instskip(NEXT) | instid1(VALU_DEP_2)
	v_cndmask_b32_e64 v10, 0x7fc00000, v15, s1
	v_and_b32_e32 v9, 0xffff0000, v9
	s_delay_alu instid0(VALU_DEP_1) | instskip(SKIP_1) | instid1(VALU_DEP_2)
	v_cndmask_b32_e64 v7, 0x7fc00000, v9, s4
	v_cndmask_b32_e64 v9, 0x7fc00000, v14, s0
	v_sub_f32_e32 v13, v7, v8
	s_delay_alu instid0(VALU_DEP_2) | instskip(SKIP_1) | instid1(VALU_DEP_3)
	v_add_f32_e32 v9, v9, v10
	v_add_co_u32 v7, s0, s19, v0
	v_bfe_u32 v8, v13, 16, 1
	s_delay_alu instid0(VALU_DEP_3) | instskip(SKIP_1) | instid1(VALU_DEP_3)
	v_bfe_u32 v10, v9, 16, 1
	v_cmp_o_f32_e32 vcc_lo, v9, v9
	v_add3_u32 v14, v13, v8, 0x7fff
	s_delay_alu instid0(VALU_DEP_3) | instskip(SKIP_2) | instid1(VALU_DEP_4)
	v_add3_u32 v10, v9, v10, 0x7fff
	v_add_co_ci_u32_e64 v8, null, s31, 0, s0
	v_cmp_o_f32_e64 s0, v13, v13
	v_lshrrev_b32_e32 v14, 16, v14
	s_delay_alu instid0(VALU_DEP_4) | instskip(NEXT) | instid1(VALU_DEP_2)
	v_lshrrev_b32_e32 v10, 16, v10
	v_cndmask_b32_e64 v13, 0x7fc0, v14, s0
	s_delay_alu instid0(VALU_DEP_2)
	v_cndmask_b32_e32 v14, 0x7fc0, v10, vcc_lo
	ds_store_b16 v5, v13
	ds_store_b16 v4, v14
	ds_load_b32 v15, v5
	ds_load_b32 v16, v4
	v_add_co_u32 v9, s0, s13, v0
	s_delay_alu instid0(VALU_DEP_1)
	v_add_co_ci_u32_e64 v10, null, s25, 0, s0
	v_cmp_le_i32_e32 vcc_lo, s24, v6
	global_store_b16 v[2:3], v13, off
	v_add_co_u32 v2, s0, v2, s12
	s_add_u32 s13, s13, s40
	s_addc_u32 s25, s25, 0
	v_add_co_ci_u32_e64 v3, s0, 0, v3, s0
	s_add_u32 s19, s19, s40
	s_addc_u32 s31, s31, 0
	s_or_b32 s28, vcc_lo, s28
	global_store_b16 v[11:12], v14, off
	s_waitcnt lgkmcnt(1)
	global_store_b32 v[7:8], v15, off
	s_waitcnt lgkmcnt(0)
	global_store_b32 v[9:10], v16, off
	s_and_not1_b32 exec_lo, exec_lo, s28
	s_cbranch_execnz .LBB12_9
.LBB12_10:
	s_or_b32 exec_lo, exec_lo, s39
	s_delay_alu instid0(SALU_CYCLE_1)
	s_mov_b32 s0, exec_lo
	v_cmpx_gt_i32_e64 s18, v1
	s_cbranch_execz .LBB12_13
; %bb.11:
	s_mul_i32 s1, s20, s11
	s_mul_hi_u32 s4, s20, s10
	s_mul_i32 s0, s20, s10
	s_add_i32 s1, s4, s1
	s_delay_alu instid0(SALU_CYCLE_1) | instskip(NEXT) | instid1(SALU_CYCLE_1)
	s_lshl_b64 s[8:9], s[0:1], 1
	s_add_u32 s1, s14, s8
	s_addc_u32 s4, s15, s9
	s_ashr_i32 s0, s16, 31
	s_delay_alu instid0(SALU_CYCLE_1) | instskip(SKIP_2) | instid1(SALU_CYCLE_1)
	s_mul_i32 s0, s6, s0
	s_load_b32 s6, s[2:3], 0x8c
	s_add_i32 s0, s37, s0
	s_add_i32 s35, s0, s38
	s_delay_alu instid0(SALU_CYCLE_1) | instskip(NEXT) | instid1(SALU_CYCLE_1)
	s_lshl_b64 s[2:3], s[34:35], 2
	s_add_u32 s0, s22, s2
	s_addc_u32 s8, s23, s3
	s_ashr_i32 s2, s17, 31
	s_delay_alu instid0(SALU_CYCLE_1) | instskip(NEXT) | instid1(SALU_CYCLE_1)
	s_mul_i32 s5, s5, s2
	s_add_i32 s2, s7, s5
	s_delay_alu instid0(SALU_CYCLE_1) | instskip(NEXT) | instid1(SALU_CYCLE_1)
	s_add_i32 s31, s2, s36
	s_lshl_b64 s[2:3], s[30:31], 2
	s_delay_alu instid0(SALU_CYCLE_1)
	s_add_u32 s2, s0, s2
	s_addc_u32 s3, s8, s3
	s_waitcnt lgkmcnt(0)
	s_and_b32 s5, s6, 0xffff
	s_mov_b32 s6, 0
	.p2align	6
.LBB12_12:                              ; =>This Inner Loop Header: Depth=1
	v_ashrrev_i32_e32 v2, 31, v1
	s_delay_alu instid0(VALU_DEP_1) | instskip(NEXT) | instid1(VALU_DEP_1)
	v_lshlrev_b64 v[3:4], 1, v[1:2]
	v_add_co_u32 v3, vcc_lo, s1, v3
	s_delay_alu instid0(VALU_DEP_2) | instskip(SKIP_3) | instid1(VALU_DEP_1)
	v_add_co_ci_u32_e32 v4, vcc_lo, s4, v4, vcc_lo
	global_load_b32 v0, v[3:4], off
	v_lshlrev_b64 v[2:3], 2, v[1:2]
	v_add_nc_u32_e32 v1, s5, v1
	v_cmp_le_i32_e32 vcc_lo, s18, v1
	s_delay_alu instid0(VALU_DEP_3) | instskip(NEXT) | instid1(VALU_DEP_1)
	v_add_co_u32 v2, s0, s2, v2
	v_add_co_ci_u32_e64 v3, s0, s3, v3, s0
	s_or_b32 s6, vcc_lo, s6
	s_waitcnt vmcnt(0)
	global_store_b32 v[2:3], v0, off
	s_and_not1_b32 exec_lo, exec_lo, s6
	s_cbranch_execnz .LBB12_12
.LBB12_13:
	s_nop 0
	s_sendmsg sendmsg(MSG_DEALLOC_VGPRS)
	s_endpgm
.LBB12_14:
                                        ; implicit-def: $sgpr6_sgpr7
	s_branch .LBB12_6
	.section	.rodata,"a",@progbits
	.p2align	6, 0x0
	.amdhsa_kernel _ZN4vllm38concat_and_cache_mla_rope_fused_kernelIN3c108BFloat16EfLb1EffLNS_18Fp8KVCacheDataTypeE0EEEvPKlPT_S7_PKS6_PKT0_illlliPT3_S5_iiiiPKf
		.amdhsa_group_segment_fixed_size 4096
		.amdhsa_private_segment_fixed_size 0
		.amdhsa_kernarg_size 384
		.amdhsa_user_sgpr_count 15
		.amdhsa_user_sgpr_dispatch_ptr 1
		.amdhsa_user_sgpr_queue_ptr 0
		.amdhsa_user_sgpr_kernarg_segment_ptr 1
		.amdhsa_user_sgpr_dispatch_id 0
		.amdhsa_user_sgpr_private_segment_size 0
		.amdhsa_wavefront_size32 1
		.amdhsa_uses_dynamic_stack 0
		.amdhsa_enable_private_segment 0
		.amdhsa_system_sgpr_workgroup_id_x 1
		.amdhsa_system_sgpr_workgroup_id_y 0
		.amdhsa_system_sgpr_workgroup_id_z 0
		.amdhsa_system_sgpr_workgroup_info 0
		.amdhsa_system_vgpr_workitem_id 2
		.amdhsa_next_free_vgpr 17
		.amdhsa_next_free_sgpr 47
		.amdhsa_reserve_vcc 1
		.amdhsa_float_round_mode_32 0
		.amdhsa_float_round_mode_16_64 0
		.amdhsa_float_denorm_mode_32 3
		.amdhsa_float_denorm_mode_16_64 3
		.amdhsa_dx10_clamp 1
		.amdhsa_ieee_mode 1
		.amdhsa_fp16_overflow 0
		.amdhsa_workgroup_processor_mode 1
		.amdhsa_memory_ordered 1
		.amdhsa_forward_progress 0
		.amdhsa_shared_vgpr_count 0
		.amdhsa_exception_fp_ieee_invalid_op 0
		.amdhsa_exception_fp_denorm_src 0
		.amdhsa_exception_fp_ieee_div_zero 0
		.amdhsa_exception_fp_ieee_overflow 0
		.amdhsa_exception_fp_ieee_underflow 0
		.amdhsa_exception_fp_ieee_inexact 0
		.amdhsa_exception_int_div_zero 0
	.end_amdhsa_kernel
	.section	.text._ZN4vllm38concat_and_cache_mla_rope_fused_kernelIN3c108BFloat16EfLb1EffLNS_18Fp8KVCacheDataTypeE0EEEvPKlPT_S7_PKS6_PKT0_illlliPT3_S5_iiiiPKf,"axG",@progbits,_ZN4vllm38concat_and_cache_mla_rope_fused_kernelIN3c108BFloat16EfLb1EffLNS_18Fp8KVCacheDataTypeE0EEEvPKlPT_S7_PKS6_PKT0_illlliPT3_S5_iiiiPKf,comdat
.Lfunc_end12:
	.size	_ZN4vllm38concat_and_cache_mla_rope_fused_kernelIN3c108BFloat16EfLb1EffLNS_18Fp8KVCacheDataTypeE0EEEvPKlPT_S7_PKS6_PKT0_illlliPT3_S5_iiiiPKf, .Lfunc_end12-_ZN4vllm38concat_and_cache_mla_rope_fused_kernelIN3c108BFloat16EfLb1EffLNS_18Fp8KVCacheDataTypeE0EEEvPKlPT_S7_PKS6_PKT0_illlliPT3_S5_iiiiPKf
                                        ; -- End function
	.section	.AMDGPU.csdata,"",@progbits
; Kernel info:
; codeLenInByte = 3284
; NumSgprs: 49
; NumVgprs: 17
; ScratchSize: 0
; MemoryBound: 0
; FloatMode: 240
; IeeeMode: 1
; LDSByteSize: 4096 bytes/workgroup (compile time only)
; SGPRBlocks: 6
; VGPRBlocks: 2
; NumSGPRsForWavesPerEU: 49
; NumVGPRsForWavesPerEU: 17
; Occupancy: 16
; WaveLimiterHint : 1
; COMPUTE_PGM_RSRC2:SCRATCH_EN: 0
; COMPUTE_PGM_RSRC2:USER_SGPR: 15
; COMPUTE_PGM_RSRC2:TRAP_HANDLER: 0
; COMPUTE_PGM_RSRC2:TGID_X_EN: 1
; COMPUTE_PGM_RSRC2:TGID_Y_EN: 0
; COMPUTE_PGM_RSRC2:TGID_Z_EN: 0
; COMPUTE_PGM_RSRC2:TIDIG_COMP_CNT: 2
	.section	.text._ZN4vllm38concat_and_cache_mla_rope_fused_kernelIN3c108BFloat16EfLb0EffLNS_18Fp8KVCacheDataTypeE0EEEvPKlPT_S7_PKS6_PKT0_illlliPT3_S5_iiiiPKf,"axG",@progbits,_ZN4vllm38concat_and_cache_mla_rope_fused_kernelIN3c108BFloat16EfLb0EffLNS_18Fp8KVCacheDataTypeE0EEEvPKlPT_S7_PKS6_PKT0_illlliPT3_S5_iiiiPKf,comdat
	.protected	_ZN4vllm38concat_and_cache_mla_rope_fused_kernelIN3c108BFloat16EfLb0EffLNS_18Fp8KVCacheDataTypeE0EEEvPKlPT_S7_PKS6_PKT0_illlliPT3_S5_iiiiPKf ; -- Begin function _ZN4vllm38concat_and_cache_mla_rope_fused_kernelIN3c108BFloat16EfLb0EffLNS_18Fp8KVCacheDataTypeE0EEEvPKlPT_S7_PKS6_PKT0_illlliPT3_S5_iiiiPKf
	.globl	_ZN4vllm38concat_and_cache_mla_rope_fused_kernelIN3c108BFloat16EfLb0EffLNS_18Fp8KVCacheDataTypeE0EEEvPKlPT_S7_PKS6_PKT0_illlliPT3_S5_iiiiPKf
	.p2align	8
	.type	_ZN4vllm38concat_and_cache_mla_rope_fused_kernelIN3c108BFloat16EfLb0EffLNS_18Fp8KVCacheDataTypeE0EEEvPKlPT_S7_PKS6_PKT0_illlliPT3_S5_iiiiPKf,@function
_ZN4vllm38concat_and_cache_mla_rope_fused_kernelIN3c108BFloat16EfLb0EffLNS_18Fp8KVCacheDataTypeE0EEEvPKlPT_S7_PKS6_PKT0_illlliPT3_S5_iiiiPKf: ; @_ZN4vllm38concat_and_cache_mla_rope_fused_kernelIN3c108BFloat16EfLb0EffLNS_18Fp8KVCacheDataTypeE0EEEvPKlPT_S7_PKS6_PKT0_illlliPT3_S5_iiiiPKf
; %bb.0:
	s_load_b64 s[6:7], s[2:3], 0x60
	s_mov_b32 s20, s15
	s_mov_b32 s21, 0
	s_delay_alu instid0(SALU_CYCLE_1)
	s_lshl_b64 s[4:5], s[20:21], 3
	s_waitcnt lgkmcnt(0)
	s_add_u32 s6, s6, s4
	s_addc_u32 s7, s7, s5
	s_load_b64 s[28:29], s[6:7], 0x0
	s_waitcnt lgkmcnt(0)
	v_cmp_lt_i64_e64 s6, s[28:29], 0
	s_delay_alu instid0(VALU_DEP_1)
	s_and_b32 vcc_lo, exec_lo, s6
	s_cbranch_vccnz .LBB13_13
; %bb.1:
	s_clause 0x3
	s_load_b32 s19, s[2:3], 0x28
	s_load_b64 s[6:7], s[2:3], 0x0
	s_load_b128 s[12:15], s[2:3], 0x10
	s_load_b32 s18, s[2:3], 0x50
	v_and_b32_e32 v1, 0x3ff, v0
	s_waitcnt lgkmcnt(0)
	s_ashr_i32 s21, s19, 31
	s_add_u32 s4, s6, s4
	s_addc_u32 s5, s7, s5
	s_lshr_b32 s24, s19, 31
	s_load_b64 s[16:17], s[4:5], 0x0
	s_clause 0x2
	s_load_b64 s[26:27], s[2:3], 0x20
	s_load_b64 s[22:23], s[2:3], 0x58
	s_load_b256 s[4:11], s[2:3], 0x30
	s_add_i32 s24, s19, s24
	s_delay_alu instid0(SALU_CYCLE_1) | instskip(NEXT) | instid1(SALU_CYCLE_1)
	s_ashr_i32 s24, s24, 1
	s_mul_i32 s18, s24, s18
	s_waitcnt lgkmcnt(0)
	s_mul_i32 s21, s16, s21
	s_mul_hi_u32 s25, s16, s19
	s_mul_i32 s17, s17, s19
	s_add_i32 s21, s25, s21
	s_mul_i32 s30, s16, s19
	s_add_i32 s31, s21, s17
	s_mov_b32 s19, exec_lo
	v_cmpx_gt_i32_e64 s18, v1
	s_cbranch_execz .LBB13_4
; %bb.2:
	s_load_b64 s[16:17], s[2:3], 0x8
	s_lshl_b64 s[34:35], s[30:31], 2
	s_mul_i32 s25, s20, s5
	s_mul_hi_u32 s33, s20, s4
	s_add_u32 s5, s26, s34
	s_mul_i32 s36, s20, s4
	s_load_b32 s4, s[2:3], 0x8c
	s_addc_u32 s21, s27, s35
	s_add_i32 s37, s33, s25
	s_ashr_i32 s25, s24, 31
	s_lshl_b64 s[34:35], s[36:37], 1
	s_mov_b32 s36, 0
	s_waitcnt lgkmcnt(0)
	s_add_u32 s33, s16, s34
	s_addc_u32 s34, s17, s35
	s_abs_i32 s35, s24
	s_sub_i32 s38, 0, s24
	v_cvt_f32_u32_e32 v2, s35
	s_sub_i32 s16, 0, s35
	s_and_b32 s37, s4, 0xffff
	s_lshl_b32 s4, s24, 1
	s_lshl_b32 s40, s37, 1
	v_rcp_iflag_f32_e32 v2, v2
	s_sub_i32 s39, 0, s4
	s_waitcnt_depctr 0xfff
	v_mul_f32_e32 v2, 0x4f7ffffe, v2
	s_delay_alu instid0(VALU_DEP_1) | instskip(NEXT) | instid1(VALU_DEP_1)
	v_cvt_u32_f32_e32 v3, v2
	v_mul_lo_u32 v2, s16, v3
	s_lshl_b64 s[16:17], s[24:25], 2
	s_delay_alu instid0(VALU_DEP_1) | instskip(SKIP_1) | instid1(VALU_DEP_2)
	v_mul_hi_u32 v4, v3, v2
	v_lshlrev_b32_e32 v2, 1, v1
	v_dual_mov_b32 v3, v1 :: v_dual_add_nc_u32 v4, v3, v4
.LBB13_3:                               ; =>This Inner Loop Header: Depth=1
	s_delay_alu instid0(VALU_DEP_1) | instskip(SKIP_1) | instid1(VALU_DEP_2)
	v_sub_nc_u32_e32 v5, 0, v3
	v_ashrrev_i32_e32 v6, 31, v3
	v_max_i32_e32 v5, v3, v5
	s_delay_alu instid0(VALU_DEP_2) | instskip(NEXT) | instid1(VALU_DEP_2)
	v_xor_b32_e32 v6, s25, v6
	v_mul_hi_u32 v7, v5, v4
	s_delay_alu instid0(VALU_DEP_1) | instskip(SKIP_1) | instid1(VALU_DEP_2)
	v_mul_lo_u32 v8, v7, s35
	v_add_nc_u32_e32 v9, 1, v7
	v_sub_nc_u32_e32 v5, v5, v8
	s_delay_alu instid0(VALU_DEP_1) | instskip(SKIP_1) | instid1(VALU_DEP_4)
	v_subrev_nc_u32_e32 v8, s35, v5
	v_cmp_le_u32_e32 vcc_lo, s35, v5
	v_cndmask_b32_e32 v7, v7, v9, vcc_lo
	s_delay_alu instid0(VALU_DEP_1) | instskip(NEXT) | instid1(VALU_DEP_1)
	v_dual_cndmask_b32 v5, v5, v8 :: v_dual_add_nc_u32 v8, 1, v7
	v_cmp_le_u32_e32 vcc_lo, s35, v5
	s_delay_alu instid0(VALU_DEP_2) | instskip(NEXT) | instid1(VALU_DEP_1)
	v_cndmask_b32_e32 v5, v7, v8, vcc_lo
	v_xor_b32_e32 v5, v5, v6
	s_delay_alu instid0(VALU_DEP_1) | instskip(NEXT) | instid1(VALU_DEP_1)
	v_sub_nc_u32_e32 v11, v5, v6
	v_mad_u64_u32 v[5:6], null, s38, v11, v[3:4]
	v_ashrrev_i32_e32 v6, 31, v11
	v_mul_lo_u32 v12, v11, s7
	v_mad_u64_u32 v[7:8], null, v11, s6, 0
	v_mad_u64_u32 v[9:10], null, s39, v11, v[2:3]
	s_delay_alu instid0(VALU_DEP_4) | instskip(SKIP_3) | instid1(VALU_DEP_3)
	v_mul_lo_u32 v11, v6, s6
	v_ashrrev_i32_e32 v6, 31, v5
	v_add_nc_u32_e32 v3, s37, v3
	v_add_nc_u32_e32 v2, s40, v2
	v_lshlrev_b64 v[5:6], 2, v[5:6]
	v_ashrrev_i32_e32 v10, 31, v9
	v_add3_u32 v8, v8, v12, v11
	s_delay_alu instid0(VALU_DEP_3) | instskip(NEXT) | instid1(VALU_DEP_4)
	v_add_co_u32 v5, vcc_lo, s5, v5
	v_add_co_ci_u32_e32 v6, vcc_lo, s21, v6, vcc_lo
	s_delay_alu instid0(VALU_DEP_3)
	v_lshlrev_b64 v[7:8], 1, v[7:8]
	v_lshlrev_b64 v[9:10], 1, v[9:10]
	global_load_b32 v11, v[5:6], off
	v_add_co_u32 v5, vcc_lo, v5, s16
	v_add_co_ci_u32_e32 v6, vcc_lo, s17, v6, vcc_lo
	v_add_co_u32 v7, vcc_lo, s33, v7
	v_add_co_ci_u32_e32 v8, vcc_lo, s34, v8, vcc_lo
	global_load_b32 v12, v[5:6], off
	v_add_co_u32 v5, vcc_lo, v7, v9
	v_add_co_ci_u32_e32 v6, vcc_lo, v8, v10, vcc_lo
	global_load_b32 v7, v[5:6], off
	s_waitcnt vmcnt(2)
	v_bfe_u32 v8, v11, 16, 1
	v_cmp_o_f32_e32 vcc_lo, v11, v11
	s_delay_alu instid0(VALU_DEP_2) | instskip(SKIP_2) | instid1(VALU_DEP_2)
	v_add3_u32 v8, v11, v8, 0x7fff
	s_waitcnt vmcnt(1)
	v_bfe_u32 v9, v12, 16, 1
	v_and_b32_e32 v8, 0xffff0000, v8
	s_delay_alu instid0(VALU_DEP_2) | instskip(NEXT) | instid1(VALU_DEP_2)
	v_add3_u32 v9, v12, v9, 0x7fff
	v_cndmask_b32_e32 v8, 0x7fc00000, v8, vcc_lo
	v_cmp_o_f32_e32 vcc_lo, v12, v12
	s_waitcnt vmcnt(0)
	v_lshlrev_b32_e32 v10, 16, v7
	v_and_b32_e32 v7, 0xffff0000, v7
	v_and_b32_e32 v9, 0xffff0000, v9
	s_delay_alu instid0(VALU_DEP_3) | instskip(NEXT) | instid1(VALU_DEP_2)
	v_mul_f32_e32 v11, v8, v10
	v_dual_mul_f32 v8, v8, v7 :: v_dual_cndmask_b32 v9, 0x7fc00000, v9
	s_delay_alu instid0(VALU_DEP_2) | instskip(NEXT) | instid1(VALU_DEP_2)
	v_bfe_u32 v12, v11, 16, 1
	v_cmp_o_f32_e64 s4, v8, v8
	s_delay_alu instid0(VALU_DEP_3) | instskip(SKIP_3) | instid1(VALU_DEP_2)
	v_mul_f32_e32 v7, v9, v7
	v_mul_f32_e32 v9, v9, v10
	v_bfe_u32 v10, v8, 16, 1
	v_add3_u32 v12, v11, v12, 0x7fff
	v_add3_u32 v10, v8, v10, 0x7fff
	s_delay_alu instid0(VALU_DEP_2) | instskip(SKIP_1) | instid1(VALU_DEP_3)
	v_and_b32_e32 v12, 0xffff0000, v12
	v_cmp_o_f32_e32 vcc_lo, v11, v11
	v_and_b32_e32 v10, 0xffff0000, v10
	v_bfe_u32 v13, v7, 16, 1
	s_delay_alu instid0(VALU_DEP_4) | instskip(NEXT) | instid1(VALU_DEP_3)
	v_cndmask_b32_e32 v12, 0x7fc00000, v12, vcc_lo
	v_cndmask_b32_e64 v10, 0x7fc00000, v10, s4
	s_delay_alu instid0(VALU_DEP_3) | instskip(SKIP_1) | instid1(VALU_DEP_2)
	v_add3_u32 v13, v7, v13, 0x7fff
	v_cmp_o_f32_e64 s4, v7, v7
	v_and_b32_e32 v8, 0xffff0000, v13
	v_bfe_u32 v14, v9, 16, 1
	v_cmp_o_f32_e32 vcc_lo, v9, v9
	s_delay_alu instid0(VALU_DEP_3) | instskip(NEXT) | instid1(VALU_DEP_3)
	v_cndmask_b32_e64 v7, 0x7fc00000, v8, s4
	v_add3_u32 v14, v9, v14, 0x7fff
	s_delay_alu instid0(VALU_DEP_1) | instskip(NEXT) | instid1(VALU_DEP_1)
	v_and_b32_e32 v11, 0xffff0000, v14
	v_cndmask_b32_e32 v8, 0x7fc00000, v11, vcc_lo
	s_delay_alu instid0(VALU_DEP_1) | instskip(NEXT) | instid1(VALU_DEP_1)
	v_add_f32_e32 v8, v10, v8
	v_bfe_u32 v10, v8, 16, 1
	v_cmp_o_f32_e32 vcc_lo, v8, v8
	s_delay_alu instid0(VALU_DEP_2) | instskip(NEXT) | instid1(VALU_DEP_1)
	v_add3_u32 v10, v8, v10, 0x7fff
	v_lshrrev_b32_e32 v10, 16, v10
	s_delay_alu instid0(VALU_DEP_1) | instskip(NEXT) | instid1(VALU_DEP_1)
	v_dual_sub_f32 v7, v12, v7 :: v_dual_cndmask_b32 v8, 0x7fc0, v10
	v_bfe_u32 v9, v7, 16, 1
	v_cmp_o_f32_e64 s4, v7, v7
	v_cmp_le_i32_e32 vcc_lo, s18, v3
	s_delay_alu instid0(VALU_DEP_3) | instskip(SKIP_1) | instid1(VALU_DEP_1)
	v_add3_u32 v9, v7, v9, 0x7fff
	s_or_b32 s36, vcc_lo, s36
	v_lshrrev_b32_e32 v9, 16, v9
	s_delay_alu instid0(VALU_DEP_1) | instskip(NEXT) | instid1(VALU_DEP_1)
	v_cndmask_b32_e64 v7, 0x7fc0, v9, s4
	v_perm_b32 v7, v8, v7, 0x5040100
	global_store_b32 v[5:6], v7, off
	s_and_not1_b32 exec_lo, exec_lo, s36
	s_cbranch_execnz .LBB13_3
.LBB13_4:
	s_or_b32 exec_lo, exec_lo, s19
	s_load_b128 s[16:19], s[2:3], 0x68
	s_waitcnt lgkmcnt(0)
	s_ashr_i32 s5, s19, 31
	s_mov_b32 s4, s19
	s_delay_alu instid0(SALU_CYCLE_1) | instskip(SKIP_1) | instid1(SALU_CYCLE_1)
	s_or_b64 s[34:35], s[28:29], s[4:5]
	s_mov_b32 s34, 0
	s_cmp_lg_u64 s[34:35], 0
	s_cbranch_scc0 .LBB13_14
; %bb.5:
	s_add_u32 s36, s4, s5
	s_mov_b32 s6, s5
	s_mov_b32 s7, s5
	s_addc_u32 s37, s5, s5
	s_delay_alu instid0(SALU_CYCLE_1) | instskip(NEXT) | instid1(SALU_CYCLE_1)
	s_xor_b64 s[36:37], s[36:37], s[6:7]
	v_cvt_f32_u32_e32 v2, s36
	v_cvt_f32_u32_e32 v3, s37
	s_sub_u32 s25, 0, s36
	s_subb_u32 s33, 0, s37
	s_delay_alu instid0(VALU_DEP_1) | instskip(NEXT) | instid1(VALU_DEP_1)
	v_fmamk_f32 v2, v3, 0x4f800000, v2
	v_rcp_f32_e32 v2, v2
	s_waitcnt_depctr 0xfff
	v_mul_f32_e32 v2, 0x5f7ffffc, v2
	s_delay_alu instid0(VALU_DEP_1) | instskip(NEXT) | instid1(VALU_DEP_1)
	v_mul_f32_e32 v3, 0x2f800000, v2
	v_trunc_f32_e32 v3, v3
	s_delay_alu instid0(VALU_DEP_1) | instskip(SKIP_1) | instid1(VALU_DEP_2)
	v_fmamk_f32 v2, v3, 0xcf800000, v2
	v_cvt_u32_f32_e32 v3, v3
	v_cvt_u32_f32_e32 v2, v2
	s_delay_alu instid0(VALU_DEP_2) | instskip(NEXT) | instid1(VALU_DEP_2)
	v_readfirstlane_b32 s19, v3
	v_readfirstlane_b32 s21, v2
	s_delay_alu instid0(VALU_DEP_2) | instskip(NEXT) | instid1(VALU_DEP_1)
	s_mul_i32 s35, s25, s19
	s_mul_hi_u32 s39, s25, s21
	s_mul_i32 s38, s33, s21
	s_add_i32 s35, s39, s35
	s_mul_i32 s40, s25, s21
	s_add_i32 s35, s35, s38
	s_mul_hi_u32 s39, s21, s40
	s_mul_hi_u32 s41, s19, s40
	s_mul_i32 s38, s19, s40
	s_mul_hi_u32 s40, s21, s35
	s_mul_i32 s21, s21, s35
	s_mul_hi_u32 s42, s19, s35
	s_add_u32 s21, s39, s21
	s_addc_u32 s39, 0, s40
	s_add_u32 s21, s21, s38
	s_mul_i32 s35, s19, s35
	s_addc_u32 s21, s39, s41
	s_addc_u32 s38, s42, 0
	s_add_u32 s21, s21, s35
	s_addc_u32 s35, 0, s38
	v_add_co_u32 v2, s21, v2, s21
	s_delay_alu instid0(VALU_DEP_1) | instskip(SKIP_1) | instid1(VALU_DEP_1)
	s_cmp_lg_u32 s21, 0
	s_addc_u32 s19, s19, s35
	v_readfirstlane_b32 s21, v2
	s_mul_i32 s35, s25, s19
	s_delay_alu instid0(VALU_DEP_1)
	s_mul_hi_u32 s38, s25, s21
	s_mul_i32 s33, s33, s21
	s_add_i32 s35, s38, s35
	s_mul_i32 s25, s25, s21
	s_add_i32 s35, s35, s33
	s_mul_hi_u32 s38, s19, s25
	s_mul_i32 s39, s19, s25
	s_mul_hi_u32 s25, s21, s25
	s_mul_hi_u32 s40, s21, s35
	s_mul_i32 s21, s21, s35
	s_mul_hi_u32 s33, s19, s35
	s_add_u32 s21, s25, s21
	s_addc_u32 s25, 0, s40
	s_add_u32 s21, s21, s39
	s_mul_i32 s35, s19, s35
	s_addc_u32 s21, s25, s38
	s_addc_u32 s25, s33, 0
	s_add_u32 s21, s21, s35
	s_addc_u32 s25, 0, s25
	v_add_co_u32 v2, s21, v2, s21
	s_delay_alu instid0(VALU_DEP_1) | instskip(SKIP_2) | instid1(VALU_DEP_1)
	s_cmp_lg_u32 s21, 0
	s_addc_u32 s19, s19, s25
	s_ashr_i32 s38, s29, 31
	v_readfirstlane_b32 s21, v2
	s_add_u32 s40, s28, s38
	s_mov_b32 s39, s38
	s_addc_u32 s41, s29, s38
	s_delay_alu instid0(SALU_CYCLE_1) | instskip(NEXT) | instid1(SALU_CYCLE_1)
	s_xor_b64 s[40:41], s[40:41], s[38:39]
	s_mul_i32 s33, s40, s19
	s_mul_hi_u32 s35, s40, s21
	s_mul_hi_u32 s25, s40, s19
	;; [unrolled: 1-line block ×3, first 2 shown]
	s_mul_i32 s21, s41, s21
	s_add_u32 s33, s35, s33
	s_addc_u32 s25, 0, s25
	s_mul_hi_u32 s42, s41, s19
	s_add_u32 s21, s33, s21
	s_mul_i32 s19, s41, s19
	s_addc_u32 s21, s25, s43
	s_addc_u32 s25, s42, 0
	s_add_u32 s19, s21, s19
	s_addc_u32 s21, 0, s25
	s_mul_hi_u32 s25, s36, s19
	s_mul_i32 s35, s36, s21
	s_mul_i32 s42, s36, s19
	s_add_i32 s25, s25, s35
	v_sub_co_u32 v2, s35, s40, s42
	s_mul_i32 s33, s37, s19
	s_delay_alu instid0(SALU_CYCLE_1) | instskip(NEXT) | instid1(VALU_DEP_1)
	s_add_i32 s25, s25, s33
	v_sub_co_u32 v3, s40, v2, s36
	s_sub_i32 s33, s41, s25
	s_cmp_lg_u32 s35, 0
	s_subb_u32 s33, s33, s37
	s_cmp_lg_u32 s40, 0
	v_readfirstlane_b32 s40, v3
	s_subb_u32 s33, s33, 0
	s_delay_alu instid0(SALU_CYCLE_1) | instskip(SKIP_1) | instid1(VALU_DEP_1)
	s_cmp_ge_u32 s33, s37
	s_cselect_b32 s42, -1, 0
	s_cmp_ge_u32 s40, s36
	s_cselect_b32 s40, -1, 0
	s_cmp_eq_u32 s33, s37
	s_cselect_b32 s33, s40, s42
	s_add_u32 s40, s19, 1
	s_addc_u32 s42, s21, 0
	s_add_u32 s43, s19, 2
	s_addc_u32 s44, s21, 0
	s_cmp_lg_u32 s33, 0
	s_cselect_b32 s33, s43, s40
	s_cselect_b32 s40, s44, s42
	s_cmp_lg_u32 s35, 0
	v_readfirstlane_b32 s35, v2
	s_subb_u32 s25, s41, s25
	s_delay_alu instid0(SALU_CYCLE_1) | instskip(SKIP_1) | instid1(VALU_DEP_1)
	s_cmp_ge_u32 s25, s37
	s_cselect_b32 s41, -1, 0
	s_cmp_ge_u32 s35, s36
	s_cselect_b32 s35, -1, 0
	s_cmp_eq_u32 s25, s37
	s_cselect_b32 s25, s35, s41
	s_delay_alu instid0(SALU_CYCLE_1) | instskip(SKIP_3) | instid1(SALU_CYCLE_1)
	s_cmp_lg_u32 s25, 0
	s_cselect_b32 s37, s40, s21
	s_cselect_b32 s36, s33, s19
	s_xor_b64 s[6:7], s[38:39], s[6:7]
	s_xor_b64 s[36:37], s[36:37], s[6:7]
	s_delay_alu instid0(SALU_CYCLE_1)
	s_sub_u32 s6, s36, s6
	s_subb_u32 s7, s37, s7
	s_and_not1_b32 vcc_lo, exec_lo, s34
	s_cbranch_vccnz .LBB13_7
.LBB13_6:
	v_cvt_f32_u32_e32 v2, s4
	s_sub_i32 s7, 0, s4
	s_delay_alu instid0(VALU_DEP_1) | instskip(SKIP_2) | instid1(VALU_DEP_1)
	v_rcp_iflag_f32_e32 v2, v2
	s_waitcnt_depctr 0xfff
	v_mul_f32_e32 v2, 0x4f7ffffe, v2
	v_cvt_u32_f32_e32 v2, v2
	s_delay_alu instid0(VALU_DEP_1) | instskip(NEXT) | instid1(VALU_DEP_1)
	v_readfirstlane_b32 s6, v2
	s_mul_i32 s7, s7, s6
	s_delay_alu instid0(SALU_CYCLE_1) | instskip(NEXT) | instid1(SALU_CYCLE_1)
	s_mul_hi_u32 s7, s6, s7
	s_add_i32 s6, s6, s7
	s_delay_alu instid0(SALU_CYCLE_1) | instskip(NEXT) | instid1(SALU_CYCLE_1)
	s_mul_hi_u32 s6, s28, s6
	s_mul_i32 s7, s6, s4
	s_add_i32 s19, s6, 1
	s_sub_i32 s7, s28, s7
	s_delay_alu instid0(SALU_CYCLE_1)
	s_sub_i32 s21, s7, s4
	s_cmp_ge_u32 s7, s4
	s_cselect_b32 s6, s19, s6
	s_cselect_b32 s7, s21, s7
	s_add_i32 s19, s6, 1
	s_cmp_ge_u32 s7, s4
	s_mov_b32 s7, 0
	s_cselect_b32 s6, s19, s6
.LBB13_7:
	s_delay_alu instid0(SALU_CYCLE_1)
	s_mul_i32 s5, s6, s5
	s_mul_hi_u32 s19, s6, s4
	s_mul_hi_u32 s33, s6, s16
	s_add_i32 s5, s19, s5
	s_mul_i32 s19, s7, s4
	s_mul_i32 s4, s6, s4
	s_add_i32 s19, s5, s19
	s_sub_u32 s5, s28, s4
	s_subb_u32 s21, s29, s19
	s_mul_i32 s36, s7, s16
	s_mul_i32 s34, s6, s16
	s_mul_hi_u32 s7, s5, s17
	s_mul_i32 s21, s21, s17
	s_mul_i32 s28, s5, s17
	s_mov_b32 s37, exec_lo
	v_cmpx_gt_i32_e64 s24, v1
	s_cbranch_execz .LBB13_10
; %bb.8:
	s_load_b64 s[0:1], s[0:1], 0x4
	s_load_b32 s4, s[2:3], 0x8c
	s_lshl_b64 s[38:39], s[30:31], 2
	s_ashr_i32 s25, s24, 31
	s_ashr_i32 s29, s16, 31
	;; [unrolled: 1-line block ×4, first 2 shown]
	v_lshlrev_b32_e32 v9, 2, v1
	s_mul_i32 s9, s9, s20
	s_mul_hi_u32 s31, s8, s20
	v_bfe_u32 v2, v0, 10, 10
	s_mul_i32 s8, s8, s20
	v_bfe_u32 v3, v0, 20, 10
	s_mul_i32 s29, s6, s29
	s_mul_i32 s35, s5, s35
	v_mov_b32_e32 v11, v1
	s_waitcnt lgkmcnt(0)
	s_lshr_b32 s0, s0, 16
	s_and_b32 s30, s4, 0xffff
	s_mul_i32 s0, s0, s1
	s_add_u32 s4, s26, s38
	v_mul_lo_u32 v5, s0, v1
	s_addc_u32 s27, s27, s39
	s_add_i32 s9, s31, s9
	s_lshl_b32 s26, s30, 2
	s_lshl_b64 s[8:9], s[8:9], 1
	s_lshl_b64 s[38:39], s[24:25], 2
	v_add_co_u32 v0, s0, s4, v9
	s_add_u32 s4, s12, s8
	v_add_co_ci_u32_e64 v4, null, s27, 0, s0
	v_mad_u32_u24 v2, v2, s1, v5
	s_addc_u32 s12, s13, s9
	s_add_i32 s0, s33, s29
	s_add_i32 s1, s7, s35
	s_add_i32 s35, s0, s36
	s_add_i32 s29, s1, s21
	s_lshl_b64 s[0:1], s[34:35], 2
	s_lshl_b64 s[8:9], s[28:29], 2
	v_add_lshl_u32 v5, v2, v3, 1
	s_add_u32 s8, s0, s8
	s_addc_u32 s9, s1, s9
	s_lshl_b64 s[0:1], s[18:19], 2
	v_lshlrev_b32_e32 v2, 3, v1
	s_add_u32 s0, s22, s0
	s_addc_u32 s1, s23, s1
	s_add_u32 s0, s0, s8
	s_addc_u32 s1, s1, s9
	v_add_co_u32 v2, s0, s0, v2
	v_add_co_u32 v7, vcc_lo, v0, s38
	v_add_co_ci_u32_e64 v3, null, s1, 0, s0
	v_add_co_ci_u32_e32 v8, vcc_lo, s39, v4, vcc_lo
	v_add_co_u32 v9, s0, s4, v9
	v_add_co_u32 v2, vcc_lo, v2, 4
	v_add_nc_u32_e32 v6, 0x800, v5
	v_add_co_ci_u32_e64 v10, null, s12, 0, s0
	v_add_co_ci_u32_e32 v3, vcc_lo, 0, v3, vcc_lo
	s_mov_b32 s12, 0
	s_lshl_b32 s13, s30, 3
	s_mov_b64 s[8:9], 0
.LBB13_9:                               ; =>This Inner Loop Header: Depth=1
	s_delay_alu instid0(SALU_CYCLE_1)
	v_add_co_u32 v12, vcc_lo, v0, s8
	v_add_co_ci_u32_e32 v13, vcc_lo, s9, v4, vcc_lo
	v_add_co_u32 v14, vcc_lo, v7, s8
	v_add_co_ci_u32_e32 v15, vcc_lo, s9, v8, vcc_lo
	;; [unrolled: 2-line block ×3, first 2 shown]
	s_clause 0x1
	global_load_b32 v12, v[12:13], off
	global_load_b32 v13, v[14:15], off
	;; [unrolled: 1-line block ×3, first 2 shown]
	v_add_nc_u32_e32 v11, s30, v11
	s_add_u32 s8, s8, s26
	s_addc_u32 s9, s9, 0
	s_waitcnt vmcnt(2)
	v_bfe_u32 v15, v12, 16, 1
	s_waitcnt vmcnt(1)
	v_bfe_u32 v18, v13, 16, 1
	v_cmp_o_f32_e64 s0, v12, v12
	s_waitcnt vmcnt(0)
	v_lshlrev_b32_e32 v19, 16, v14
	v_cmp_o_f32_e32 vcc_lo, v13, v13
	v_add3_u32 v15, v12, v15, 0x7fff
	v_add3_u32 v18, v13, v18, 0x7fff
	s_delay_alu instid0(VALU_DEP_2) | instskip(NEXT) | instid1(VALU_DEP_2)
	v_and_b32_e32 v15, 0xffff0000, v15
	v_and_b32_e32 v18, 0xffff0000, v18
	s_delay_alu instid0(VALU_DEP_2) | instskip(SKIP_1) | instid1(VALU_DEP_3)
	v_cndmask_b32_e64 v12, 0x7fc00000, v15, s0
	v_and_b32_e32 v14, 0xffff0000, v14
	v_cndmask_b32_e32 v13, 0x7fc00000, v18, vcc_lo
	s_delay_alu instid0(VALU_DEP_3) | instskip(NEXT) | instid1(VALU_DEP_3)
	v_mul_f32_e32 v15, v12, v19
	v_mul_f32_e32 v12, v12, v14
	s_delay_alu instid0(VALU_DEP_3) | instskip(SKIP_1) | instid1(VALU_DEP_4)
	v_mul_f32_e32 v14, v13, v14
	v_mul_f32_e32 v13, v13, v19
	v_bfe_u32 v18, v15, 16, 1
	s_delay_alu instid0(VALU_DEP_4) | instskip(SKIP_1) | instid1(VALU_DEP_4)
	v_bfe_u32 v19, v12, 16, 1
	v_cmp_o_f32_e32 vcc_lo, v15, v15
	v_bfe_u32 v21, v13, 16, 1
	v_cmp_o_f32_e64 s0, v13, v13
	v_add3_u32 v18, v15, v18, 0x7fff
	v_add3_u32 v19, v12, v19, 0x7fff
	v_cmp_o_f32_e64 s4, v12, v12
	v_add3_u32 v21, v13, v21, 0x7fff
	s_delay_alu instid0(VALU_DEP_4) | instskip(NEXT) | instid1(VALU_DEP_4)
	v_and_b32_e32 v18, 0xffff0000, v18
	v_and_b32_e32 v19, 0xffff0000, v19
	v_bfe_u32 v20, v14, 16, 1
	v_cmp_o_f32_e64 s1, v14, v14
	v_and_b32_e32 v21, 0xffff0000, v21
	v_cndmask_b32_e32 v13, 0x7fc00000, v18, vcc_lo
	v_cndmask_b32_e64 v12, 0x7fc00000, v19, s4
	v_add3_u32 v20, v14, v20, 0x7fff
	s_delay_alu instid0(VALU_DEP_4) | instskip(NEXT) | instid1(VALU_DEP_2)
	v_cndmask_b32_e64 v15, 0x7fc00000, v21, s0
	v_and_b32_e32 v20, 0xffff0000, v20
	s_delay_alu instid0(VALU_DEP_2) | instskip(NEXT) | instid1(VALU_DEP_2)
	v_add_f32_e32 v12, v12, v15
	v_cndmask_b32_e64 v14, 0x7fc00000, v20, s1
	s_delay_alu instid0(VALU_DEP_2) | instskip(SKIP_1) | instid1(VALU_DEP_3)
	v_bfe_u32 v15, v12, 16, 1
	v_cmp_o_f32_e32 vcc_lo, v12, v12
	v_sub_f32_e32 v13, v13, v14
	s_delay_alu instid0(VALU_DEP_3) | instskip(NEXT) | instid1(VALU_DEP_2)
	v_add3_u32 v15, v12, v15, 0x7fff
	v_bfe_u32 v14, v13, 16, 1
	v_cmp_o_f32_e64 s0, v13, v13
	s_delay_alu instid0(VALU_DEP_3) | instskip(NEXT) | instid1(VALU_DEP_3)
	v_lshrrev_b32_e32 v15, 16, v15
	v_add3_u32 v14, v13, v14, 0x7fff
	s_delay_alu instid0(VALU_DEP_2) | instskip(SKIP_1) | instid1(VALU_DEP_3)
	v_cndmask_b32_e32 v15, 0x7fc0, v15, vcc_lo
	v_cmp_le_i32_e32 vcc_lo, s24, v11
	v_lshrrev_b32_e32 v14, 16, v14
	s_or_b32 s12, vcc_lo, s12
	s_delay_alu instid0(VALU_DEP_1)
	v_cndmask_b32_e64 v14, 0x7fc0, v14, s0
	ds_store_b16 v6, v14
	ds_store_b16 v5, v15
	ds_load_b32 v12, v6
	ds_load_b32 v13, v5
	v_perm_b32 v14, v15, v14, 0x5040100
	global_store_b32 v[16:17], v14, off
	s_waitcnt lgkmcnt(0)
	global_store_b64 v[2:3], v[12:13], off offset:-4
	v_add_co_u32 v2, s0, v2, s13
	s_delay_alu instid0(VALU_DEP_1)
	v_add_co_ci_u32_e64 v3, s0, 0, v3, s0
	s_and_not1_b32 exec_lo, exec_lo, s12
	s_cbranch_execnz .LBB13_9
.LBB13_10:
	s_or_b32 exec_lo, exec_lo, s37
	s_delay_alu instid0(SALU_CYCLE_1)
	s_mov_b32 s0, exec_lo
	v_cmpx_gt_i32_e64 s18, v1
	s_cbranch_execz .LBB13_13
; %bb.11:
	s_mul_i32 s1, s20, s11
	s_mul_hi_u32 s4, s20, s10
	s_mul_i32 s0, s20, s10
	s_add_i32 s1, s4, s1
	s_delay_alu instid0(SALU_CYCLE_1) | instskip(NEXT) | instid1(SALU_CYCLE_1)
	s_lshl_b64 s[8:9], s[0:1], 1
	s_add_u32 s1, s14, s8
	s_addc_u32 s4, s15, s9
	s_ashr_i32 s0, s16, 31
	s_delay_alu instid0(SALU_CYCLE_1) | instskip(SKIP_2) | instid1(SALU_CYCLE_1)
	s_mul_i32 s0, s6, s0
	s_load_b32 s6, s[2:3], 0x8c
	s_add_i32 s0, s33, s0
	s_add_i32 s35, s0, s36
	s_delay_alu instid0(SALU_CYCLE_1) | instskip(NEXT) | instid1(SALU_CYCLE_1)
	s_lshl_b64 s[2:3], s[34:35], 2
	s_add_u32 s0, s22, s2
	s_addc_u32 s8, s23, s3
	s_ashr_i32 s2, s17, 31
	s_delay_alu instid0(SALU_CYCLE_1) | instskip(NEXT) | instid1(SALU_CYCLE_1)
	s_mul_i32 s5, s5, s2
	s_add_i32 s2, s7, s5
	s_delay_alu instid0(SALU_CYCLE_1) | instskip(NEXT) | instid1(SALU_CYCLE_1)
	s_add_i32 s29, s2, s21
	s_lshl_b64 s[2:3], s[28:29], 2
	s_delay_alu instid0(SALU_CYCLE_1)
	s_add_u32 s2, s0, s2
	s_addc_u32 s3, s8, s3
	s_waitcnt lgkmcnt(0)
	s_and_b32 s5, s6, 0xffff
	s_mov_b32 s6, 0
	.p2align	6
.LBB13_12:                              ; =>This Inner Loop Header: Depth=1
	v_ashrrev_i32_e32 v2, 31, v1
	s_delay_alu instid0(VALU_DEP_1) | instskip(NEXT) | instid1(VALU_DEP_1)
	v_lshlrev_b64 v[3:4], 1, v[1:2]
	v_add_co_u32 v3, vcc_lo, s1, v3
	s_delay_alu instid0(VALU_DEP_2) | instskip(SKIP_3) | instid1(VALU_DEP_1)
	v_add_co_ci_u32_e32 v4, vcc_lo, s4, v4, vcc_lo
	global_load_b32 v0, v[3:4], off
	v_lshlrev_b64 v[2:3], 2, v[1:2]
	v_add_nc_u32_e32 v1, s5, v1
	v_cmp_le_i32_e32 vcc_lo, s18, v1
	s_delay_alu instid0(VALU_DEP_3) | instskip(NEXT) | instid1(VALU_DEP_1)
	v_add_co_u32 v2, s0, s2, v2
	v_add_co_ci_u32_e64 v3, s0, s3, v3, s0
	s_or_b32 s6, vcc_lo, s6
	s_waitcnt vmcnt(0)
	global_store_b32 v[2:3], v0, off
	s_and_not1_b32 exec_lo, exec_lo, s6
	s_cbranch_execnz .LBB13_12
.LBB13_13:
	s_nop 0
	s_sendmsg sendmsg(MSG_DEALLOC_VGPRS)
	s_endpgm
.LBB13_14:
                                        ; implicit-def: $sgpr6_sgpr7
	s_branch .LBB13_6
	.section	.rodata,"a",@progbits
	.p2align	6, 0x0
	.amdhsa_kernel _ZN4vllm38concat_and_cache_mla_rope_fused_kernelIN3c108BFloat16EfLb0EffLNS_18Fp8KVCacheDataTypeE0EEEvPKlPT_S7_PKS6_PKT0_illlliPT3_S5_iiiiPKf
		.amdhsa_group_segment_fixed_size 4096
		.amdhsa_private_segment_fixed_size 0
		.amdhsa_kernarg_size 384
		.amdhsa_user_sgpr_count 15
		.amdhsa_user_sgpr_dispatch_ptr 1
		.amdhsa_user_sgpr_queue_ptr 0
		.amdhsa_user_sgpr_kernarg_segment_ptr 1
		.amdhsa_user_sgpr_dispatch_id 0
		.amdhsa_user_sgpr_private_segment_size 0
		.amdhsa_wavefront_size32 1
		.amdhsa_uses_dynamic_stack 0
		.amdhsa_enable_private_segment 0
		.amdhsa_system_sgpr_workgroup_id_x 1
		.amdhsa_system_sgpr_workgroup_id_y 0
		.amdhsa_system_sgpr_workgroup_id_z 0
		.amdhsa_system_sgpr_workgroup_info 0
		.amdhsa_system_vgpr_workitem_id 2
		.amdhsa_next_free_vgpr 22
		.amdhsa_next_free_sgpr 45
		.amdhsa_reserve_vcc 1
		.amdhsa_float_round_mode_32 0
		.amdhsa_float_round_mode_16_64 0
		.amdhsa_float_denorm_mode_32 3
		.amdhsa_float_denorm_mode_16_64 3
		.amdhsa_dx10_clamp 1
		.amdhsa_ieee_mode 1
		.amdhsa_fp16_overflow 0
		.amdhsa_workgroup_processor_mode 1
		.amdhsa_memory_ordered 1
		.amdhsa_forward_progress 0
		.amdhsa_shared_vgpr_count 0
		.amdhsa_exception_fp_ieee_invalid_op 0
		.amdhsa_exception_fp_denorm_src 0
		.amdhsa_exception_fp_ieee_div_zero 0
		.amdhsa_exception_fp_ieee_overflow 0
		.amdhsa_exception_fp_ieee_underflow 0
		.amdhsa_exception_fp_ieee_inexact 0
		.amdhsa_exception_int_div_zero 0
	.end_amdhsa_kernel
	.section	.text._ZN4vllm38concat_and_cache_mla_rope_fused_kernelIN3c108BFloat16EfLb0EffLNS_18Fp8KVCacheDataTypeE0EEEvPKlPT_S7_PKS6_PKT0_illlliPT3_S5_iiiiPKf,"axG",@progbits,_ZN4vllm38concat_and_cache_mla_rope_fused_kernelIN3c108BFloat16EfLb0EffLNS_18Fp8KVCacheDataTypeE0EEEvPKlPT_S7_PKS6_PKT0_illlliPT3_S5_iiiiPKf,comdat
.Lfunc_end13:
	.size	_ZN4vllm38concat_and_cache_mla_rope_fused_kernelIN3c108BFloat16EfLb0EffLNS_18Fp8KVCacheDataTypeE0EEEvPKlPT_S7_PKS6_PKT0_illlliPT3_S5_iiiiPKf, .Lfunc_end13-_ZN4vllm38concat_and_cache_mla_rope_fused_kernelIN3c108BFloat16EfLb0EffLNS_18Fp8KVCacheDataTypeE0EEEvPKlPT_S7_PKS6_PKT0_illlliPT3_S5_iiiiPKf
                                        ; -- End function
	.section	.AMDGPU.csdata,"",@progbits
; Kernel info:
; codeLenInByte = 3212
; NumSgprs: 47
; NumVgprs: 22
; ScratchSize: 0
; MemoryBound: 0
; FloatMode: 240
; IeeeMode: 1
; LDSByteSize: 4096 bytes/workgroup (compile time only)
; SGPRBlocks: 5
; VGPRBlocks: 2
; NumSGPRsForWavesPerEU: 47
; NumVGPRsForWavesPerEU: 22
; Occupancy: 16
; WaveLimiterHint : 1
; COMPUTE_PGM_RSRC2:SCRATCH_EN: 0
; COMPUTE_PGM_RSRC2:USER_SGPR: 15
; COMPUTE_PGM_RSRC2:TRAP_HANDLER: 0
; COMPUTE_PGM_RSRC2:TGID_X_EN: 1
; COMPUTE_PGM_RSRC2:TGID_Y_EN: 0
; COMPUTE_PGM_RSRC2:TGID_Z_EN: 0
; COMPUTE_PGM_RSRC2:TIDIG_COMP_CNT: 2
	.section	.text._ZN4vllm38concat_and_cache_mla_rope_fused_kernelIN3c108BFloat16ENS1_4HalfELb1EffLNS_18Fp8KVCacheDataTypeE0EEEvPKlPT_S8_PKS7_PKT0_illlliPT3_S6_iiiiPKf,"axG",@progbits,_ZN4vllm38concat_and_cache_mla_rope_fused_kernelIN3c108BFloat16ENS1_4HalfELb1EffLNS_18Fp8KVCacheDataTypeE0EEEvPKlPT_S8_PKS7_PKT0_illlliPT3_S6_iiiiPKf,comdat
	.protected	_ZN4vllm38concat_and_cache_mla_rope_fused_kernelIN3c108BFloat16ENS1_4HalfELb1EffLNS_18Fp8KVCacheDataTypeE0EEEvPKlPT_S8_PKS7_PKT0_illlliPT3_S6_iiiiPKf ; -- Begin function _ZN4vllm38concat_and_cache_mla_rope_fused_kernelIN3c108BFloat16ENS1_4HalfELb1EffLNS_18Fp8KVCacheDataTypeE0EEEvPKlPT_S8_PKS7_PKT0_illlliPT3_S6_iiiiPKf
	.globl	_ZN4vllm38concat_and_cache_mla_rope_fused_kernelIN3c108BFloat16ENS1_4HalfELb1EffLNS_18Fp8KVCacheDataTypeE0EEEvPKlPT_S8_PKS7_PKT0_illlliPT3_S6_iiiiPKf
	.p2align	8
	.type	_ZN4vllm38concat_and_cache_mla_rope_fused_kernelIN3c108BFloat16ENS1_4HalfELb1EffLNS_18Fp8KVCacheDataTypeE0EEEvPKlPT_S8_PKS7_PKT0_illlliPT3_S6_iiiiPKf,@function
_ZN4vllm38concat_and_cache_mla_rope_fused_kernelIN3c108BFloat16ENS1_4HalfELb1EffLNS_18Fp8KVCacheDataTypeE0EEEvPKlPT_S8_PKS7_PKT0_illlliPT3_S6_iiiiPKf: ; @_ZN4vllm38concat_and_cache_mla_rope_fused_kernelIN3c108BFloat16ENS1_4HalfELb1EffLNS_18Fp8KVCacheDataTypeE0EEEvPKlPT_S8_PKS7_PKT0_illlliPT3_S6_iiiiPKf
; %bb.0:
	s_load_b64 s[6:7], s[2:3], 0x60
	s_mov_b32 s20, s15
	s_mov_b32 s21, 0
	s_delay_alu instid0(SALU_CYCLE_1)
	s_lshl_b64 s[4:5], s[20:21], 3
	s_waitcnt lgkmcnt(0)
	s_add_u32 s6, s6, s4
	s_addc_u32 s7, s7, s5
	s_load_b64 s[30:31], s[6:7], 0x0
	s_waitcnt lgkmcnt(0)
	v_cmp_lt_i64_e64 s6, s[30:31], 0
	s_delay_alu instid0(VALU_DEP_1)
	s_and_b32 vcc_lo, exec_lo, s6
	s_cbranch_vccnz .LBB14_13
; %bb.1:
	s_clause 0x2
	s_load_b32 s18, s[2:3], 0x28
	s_load_b64 s[6:7], s[2:3], 0x0
	s_load_b128 s[12:15], s[2:3], 0x10
	v_and_b32_e32 v1, 0x3ff, v0
	s_waitcnt lgkmcnt(0)
	s_ashr_i32 s19, s18, 31
	s_add_u32 s4, s6, s4
	s_addc_u32 s5, s7, s5
	s_load_b64 s[16:17], s[4:5], 0x0
	s_clause 0x3
	s_load_b64 s[26:27], s[2:3], 0x20
	s_load_b32 s25, s[2:3], 0x50
	s_load_b64 s[22:23], s[2:3], 0x58
	s_load_b256 s[4:11], s[2:3], 0x30
	s_waitcnt lgkmcnt(0)
	s_mul_i32 s19, s16, s19
	s_mul_hi_u32 s21, s16, s18
	s_mul_i32 s17, s17, s18
	s_add_i32 s19, s21, s19
	s_mul_i32 s16, s16, s18
	s_add_i32 s17, s19, s17
	s_mov_b32 s19, exec_lo
	s_lshl_b64 s[28:29], s[16:17], 1
	s_delay_alu instid0(SALU_CYCLE_1) | instskip(SKIP_2) | instid1(SALU_CYCLE_1)
	s_add_u32 s21, s26, s28
	s_addc_u32 s33, s27, s29
	s_lshr_b32 s16, s18, 31
	s_add_i32 s18, s18, s16
	s_delay_alu instid0(SALU_CYCLE_1) | instskip(NEXT) | instid1(SALU_CYCLE_1)
	s_ashr_i32 s24, s18, 1
	s_mul_i32 s18, s24, s25
	s_delay_alu instid0(SALU_CYCLE_1)
	v_cmpx_gt_i32_e64 s18, v1
	s_cbranch_execz .LBB14_4
; %bb.2:
	s_clause 0x1
	s_load_b64 s[16:17], s[2:3], 0x8
	s_load_b32 s37, s[2:3], 0x8c
	s_mul_i32 s5, s20, s5
	s_mul_hi_u32 s25, s20, s4
	s_mul_i32 s4, s20, s4
	s_add_i32 s5, s25, s5
	s_ashr_i32 s25, s24, 31
	s_lshl_b64 s[4:5], s[4:5], 1
	s_mov_b32 s38, 0
	s_waitcnt lgkmcnt(0)
	s_add_u32 s34, s16, s4
	s_addc_u32 s35, s17, s5
	s_abs_i32 s36, s24
	s_and_b32 s37, s37, 0xffff
	v_cvt_f32_u32_e32 v2, s36
	s_sub_i32 s4, 0, s36
	s_sub_i32 s39, 0, s24
	s_lshl_b64 s[16:17], s[24:25], 1
	s_delay_alu instid0(VALU_DEP_1) | instskip(SKIP_2) | instid1(VALU_DEP_1)
	v_rcp_iflag_f32_e32 v2, v2
	s_waitcnt_depctr 0xfff
	v_mul_f32_e32 v2, 0x4f7ffffe, v2
	v_cvt_u32_f32_e32 v2, v2
	s_delay_alu instid0(VALU_DEP_1) | instskip(NEXT) | instid1(VALU_DEP_1)
	v_mul_lo_u32 v3, s4, v2
	v_mul_hi_u32 v3, v2, v3
	s_delay_alu instid0(VALU_DEP_1)
	v_dual_mov_b32 v2, v1 :: v_dual_add_nc_u32 v3, v2, v3
.LBB14_3:                               ; =>This Inner Loop Header: Depth=1
	s_delay_alu instid0(VALU_DEP_1) | instskip(SKIP_1) | instid1(VALU_DEP_2)
	v_sub_nc_u32_e32 v4, 0, v2
	v_ashrrev_i32_e32 v5, 31, v2
	v_max_i32_e32 v4, v2, v4
	s_delay_alu instid0(VALU_DEP_2) | instskip(NEXT) | instid1(VALU_DEP_2)
	v_xor_b32_e32 v5, s25, v5
	v_mul_hi_u32 v6, v4, v3
	s_delay_alu instid0(VALU_DEP_1) | instskip(SKIP_1) | instid1(VALU_DEP_2)
	v_mul_lo_u32 v7, v6, s36
	v_add_nc_u32_e32 v8, 1, v6
	v_sub_nc_u32_e32 v4, v4, v7
	s_delay_alu instid0(VALU_DEP_1) | instskip(SKIP_1) | instid1(VALU_DEP_4)
	v_subrev_nc_u32_e32 v7, s36, v4
	v_cmp_le_u32_e32 vcc_lo, s36, v4
	v_cndmask_b32_e32 v6, v6, v8, vcc_lo
	s_delay_alu instid0(VALU_DEP_1) | instskip(NEXT) | instid1(VALU_DEP_1)
	v_dual_cndmask_b32 v4, v4, v7 :: v_dual_add_nc_u32 v7, 1, v6
	v_cmp_le_u32_e32 vcc_lo, s36, v4
	s_delay_alu instid0(VALU_DEP_2) | instskip(NEXT) | instid1(VALU_DEP_1)
	v_cndmask_b32_e32 v4, v6, v7, vcc_lo
	v_xor_b32_e32 v4, v4, v5
	s_delay_alu instid0(VALU_DEP_1) | instskip(NEXT) | instid1(VALU_DEP_1)
	v_sub_nc_u32_e32 v8, v4, v5
	v_mad_u64_u32 v[4:5], null, s39, v8, v[2:3]
	v_ashrrev_i32_e32 v9, 31, v8
	v_mul_lo_u32 v10, v8, s7
	v_mad_u64_u32 v[6:7], null, v8, s6, 0
	v_add_nc_u32_e32 v2, s37, v2
	s_delay_alu instid0(VALU_DEP_4) | instskip(SKIP_1) | instid1(VALU_DEP_1)
	v_mul_lo_u32 v8, v9, s6
	v_ashrrev_i32_e32 v5, 31, v4
	v_lshlrev_b64 v[4:5], 1, v[4:5]
	s_delay_alu instid0(VALU_DEP_3) | instskip(NEXT) | instid1(VALU_DEP_2)
	v_add3_u32 v7, v7, v10, v8
	v_add_co_u32 v8, vcc_lo, s21, v4
	s_delay_alu instid0(VALU_DEP_3) | instskip(NEXT) | instid1(VALU_DEP_3)
	v_add_co_ci_u32_e32 v9, vcc_lo, s33, v5, vcc_lo
	v_lshlrev_b64 v[6:7], 1, v[6:7]
	global_load_u16 v10, v[8:9], off
	v_add_co_u32 v8, vcc_lo, v8, s16
	v_add_co_ci_u32_e32 v9, vcc_lo, s17, v9, vcc_lo
	v_add_co_u32 v6, vcc_lo, s34, v6
	v_add_co_ci_u32_e32 v7, vcc_lo, s35, v7, vcc_lo
	global_load_u16 v8, v[8:9], off
	v_add_co_u32 v4, vcc_lo, v6, v4
	v_add_co_ci_u32_e32 v5, vcc_lo, v7, v5, vcc_lo
	s_delay_alu instid0(VALU_DEP_2) | instskip(NEXT) | instid1(VALU_DEP_2)
	v_add_co_u32 v6, vcc_lo, v4, s16
	v_add_co_ci_u32_e32 v7, vcc_lo, s17, v5, vcc_lo
	s_clause 0x1
	global_load_u16 v9, v[4:5], off
	global_load_u16 v11, v[6:7], off
	s_waitcnt vmcnt(3)
	v_cvt_f32_f16_e32 v12, v10
	v_cmp_o_f16_e32 vcc_lo, v10, v10
	s_delay_alu instid0(VALU_DEP_2) | instskip(SKIP_2) | instid1(VALU_DEP_2)
	v_bfe_u32 v14, v12, 16, 1
	s_waitcnt vmcnt(2)
	v_cvt_f32_f16_e32 v13, v8
	v_add3_u32 v12, v12, v14, 0x7fff
	s_delay_alu instid0(VALU_DEP_2) | instskip(NEXT) | instid1(VALU_DEP_2)
	v_bfe_u32 v14, v13, 16, 1
	v_and_b32_e32 v12, 0xffff0000, v12
	s_delay_alu instid0(VALU_DEP_2)
	v_add3_u32 v13, v13, v14, 0x7fff
	s_waitcnt vmcnt(1)
	v_lshlrev_b32_e32 v9, 16, v9
	s_waitcnt vmcnt(0)
	v_dual_cndmask_b32 v10, 0x7fc00000, v12 :: v_dual_lshlrev_b32 v11, 16, v11
	v_cmp_o_f16_e32 vcc_lo, v8, v8
	v_and_b32_e32 v12, 0xffff0000, v13
	s_delay_alu instid0(VALU_DEP_3) | instskip(NEXT) | instid1(VALU_DEP_2)
	v_mul_f32_e32 v8, v10, v9
	v_cndmask_b32_e32 v12, 0x7fc00000, v12, vcc_lo
	s_delay_alu instid0(VALU_DEP_2) | instskip(SKIP_1) | instid1(VALU_DEP_3)
	v_bfe_u32 v13, v8, 16, 1
	v_cmp_o_f32_e64 s4, v8, v8
	v_mul_f32_e32 v9, v12, v9
	s_delay_alu instid0(VALU_DEP_3) | instskip(SKIP_2) | instid1(VALU_DEP_4)
	v_add3_u32 v13, v8, v13, 0x7fff
	v_mul_f32_e32 v10, v10, v11
	v_mul_f32_e32 v11, v12, v11
	v_bfe_u32 v15, v9, 16, 1
	s_delay_alu instid0(VALU_DEP_4) | instskip(NEXT) | instid1(VALU_DEP_4)
	v_and_b32_e32 v13, 0xffff0000, v13
	v_bfe_u32 v12, v10, 16, 1
	s_delay_alu instid0(VALU_DEP_4) | instskip(NEXT) | instid1(VALU_DEP_4)
	v_bfe_u32 v14, v11, 16, 1
	v_add3_u32 v15, v9, v15, 0x7fff
	v_cmp_o_f32_e32 vcc_lo, v10, v10
	s_delay_alu instid0(VALU_DEP_4) | instskip(NEXT) | instid1(VALU_DEP_4)
	v_add3_u32 v12, v10, v12, 0x7fff
	v_add3_u32 v14, v11, v14, 0x7fff
	v_cndmask_b32_e64 v10, 0x7fc00000, v13, s4
	v_and_b32_e32 v13, 0xffff0000, v15
	v_cmp_o_f32_e64 s4, v11, v11
	v_and_b32_e32 v12, 0xffff0000, v12
	s_delay_alu instid0(VALU_DEP_1) | instskip(SKIP_4) | instid1(VALU_DEP_3)
	v_cndmask_b32_e32 v12, 0x7fc00000, v12, vcc_lo
	v_cmp_o_f32_e32 vcc_lo, v9, v9
	v_cndmask_b32_e32 v9, 0x7fc00000, v13, vcc_lo
	v_and_b32_e32 v8, 0xffff0000, v14
	v_cmp_le_i32_e32 vcc_lo, s18, v2
	v_add_f32_e32 v9, v12, v9
	s_delay_alu instid0(VALU_DEP_3) | instskip(SKIP_1) | instid1(VALU_DEP_2)
	v_cndmask_b32_e64 v8, 0x7fc00000, v8, s4
	s_or_b32 s38, vcc_lo, s38
	v_bfe_u32 v11, v9, 16, 1
	s_delay_alu instid0(VALU_DEP_2) | instskip(SKIP_1) | instid1(VALU_DEP_3)
	v_sub_f32_e32 v8, v10, v8
	v_cmp_o_f32_e64 s4, v9, v9
	v_add3_u32 v11, v9, v11, 0x7fff
	s_delay_alu instid0(VALU_DEP_3) | instskip(SKIP_1) | instid1(VALU_DEP_3)
	v_bfe_u32 v10, v8, 16, 1
	v_cmp_o_f32_e64 s5, v8, v8
	v_lshrrev_b32_e32 v11, 16, v11
	s_delay_alu instid0(VALU_DEP_3) | instskip(NEXT) | instid1(VALU_DEP_2)
	v_add3_u32 v10, v8, v10, 0x7fff
	v_cndmask_b32_e64 v9, 0x7fc0, v11, s4
	s_delay_alu instid0(VALU_DEP_2) | instskip(NEXT) | instid1(VALU_DEP_1)
	v_lshrrev_b32_e32 v10, 16, v10
	v_cndmask_b32_e64 v8, 0x7fc0, v10, s5
	s_clause 0x1
	global_store_b16 v[4:5], v8, off
	global_store_b16 v[6:7], v9, off
	s_and_not1_b32 exec_lo, exec_lo, s38
	s_cbranch_execnz .LBB14_3
.LBB14_4:
	s_or_b32 exec_lo, exec_lo, s19
	s_load_b128 s[16:19], s[2:3], 0x68
	s_waitcnt lgkmcnt(0)
	s_ashr_i32 s5, s19, 31
	s_mov_b32 s4, s19
	s_delay_alu instid0(SALU_CYCLE_1) | instskip(SKIP_1) | instid1(SALU_CYCLE_1)
	s_or_b64 s[34:35], s[30:31], s[4:5]
	s_mov_b32 s34, 0
	s_cmp_lg_u64 s[34:35], 0
	s_cbranch_scc0 .LBB14_14
; %bb.5:
	s_add_u32 s36, s4, s5
	s_mov_b32 s6, s5
	s_mov_b32 s7, s5
	s_addc_u32 s37, s5, s5
	s_delay_alu instid0(SALU_CYCLE_1) | instskip(NEXT) | instid1(SALU_CYCLE_1)
	s_xor_b64 s[36:37], s[36:37], s[6:7]
	v_cvt_f32_u32_e32 v2, s36
	v_cvt_f32_u32_e32 v3, s37
	s_sub_u32 s35, 0, s36
	s_subb_u32 s38, 0, s37
	s_delay_alu instid0(VALU_DEP_1) | instskip(NEXT) | instid1(VALU_DEP_1)
	v_fmamk_f32 v2, v3, 0x4f800000, v2
	v_rcp_f32_e32 v2, v2
	s_waitcnt_depctr 0xfff
	v_mul_f32_e32 v2, 0x5f7ffffc, v2
	s_delay_alu instid0(VALU_DEP_1) | instskip(NEXT) | instid1(VALU_DEP_1)
	v_mul_f32_e32 v3, 0x2f800000, v2
	v_trunc_f32_e32 v3, v3
	s_delay_alu instid0(VALU_DEP_1) | instskip(SKIP_1) | instid1(VALU_DEP_2)
	v_fmamk_f32 v2, v3, 0xcf800000, v2
	v_cvt_u32_f32_e32 v3, v3
	v_cvt_u32_f32_e32 v2, v2
	s_delay_alu instid0(VALU_DEP_2) | instskip(NEXT) | instid1(VALU_DEP_2)
	v_readfirstlane_b32 s19, v3
	v_readfirstlane_b32 s25, v2
	s_delay_alu instid0(VALU_DEP_2) | instskip(NEXT) | instid1(VALU_DEP_1)
	s_mul_i32 s39, s35, s19
	s_mul_hi_u32 s41, s35, s25
	s_mul_i32 s40, s38, s25
	s_add_i32 s39, s41, s39
	s_mul_i32 s42, s35, s25
	s_add_i32 s39, s39, s40
	s_mul_hi_u32 s41, s25, s42
	s_mul_hi_u32 s43, s19, s42
	s_mul_i32 s40, s19, s42
	s_mul_hi_u32 s42, s25, s39
	s_mul_i32 s25, s25, s39
	s_mul_hi_u32 s44, s19, s39
	s_add_u32 s25, s41, s25
	s_addc_u32 s41, 0, s42
	s_add_u32 s25, s25, s40
	s_mul_i32 s39, s19, s39
	s_addc_u32 s25, s41, s43
	s_addc_u32 s40, s44, 0
	s_add_u32 s25, s25, s39
	s_addc_u32 s39, 0, s40
	v_add_co_u32 v2, s25, v2, s25
	s_delay_alu instid0(VALU_DEP_1) | instskip(SKIP_1) | instid1(VALU_DEP_1)
	s_cmp_lg_u32 s25, 0
	s_addc_u32 s19, s19, s39
	v_readfirstlane_b32 s25, v2
	s_mul_i32 s39, s35, s19
	s_delay_alu instid0(VALU_DEP_1)
	s_mul_hi_u32 s40, s35, s25
	s_mul_i32 s38, s38, s25
	s_add_i32 s39, s40, s39
	s_mul_i32 s35, s35, s25
	s_add_i32 s39, s39, s38
	s_mul_hi_u32 s40, s19, s35
	s_mul_i32 s41, s19, s35
	s_mul_hi_u32 s35, s25, s35
	s_mul_hi_u32 s42, s25, s39
	s_mul_i32 s25, s25, s39
	s_mul_hi_u32 s38, s19, s39
	s_add_u32 s25, s35, s25
	s_addc_u32 s35, 0, s42
	s_add_u32 s25, s25, s41
	s_mul_i32 s39, s19, s39
	s_addc_u32 s25, s35, s40
	s_addc_u32 s35, s38, 0
	s_add_u32 s25, s25, s39
	s_addc_u32 s35, 0, s35
	v_add_co_u32 v2, s25, v2, s25
	s_delay_alu instid0(VALU_DEP_1) | instskip(SKIP_2) | instid1(VALU_DEP_1)
	s_cmp_lg_u32 s25, 0
	s_addc_u32 s19, s19, s35
	s_ashr_i32 s38, s31, 31
	v_readfirstlane_b32 s25, v2
	s_add_u32 s40, s30, s38
	s_mov_b32 s39, s38
	s_addc_u32 s41, s31, s38
	s_delay_alu instid0(SALU_CYCLE_1) | instskip(NEXT) | instid1(SALU_CYCLE_1)
	s_xor_b64 s[40:41], s[40:41], s[38:39]
	s_mul_i32 s42, s40, s19
	s_mul_hi_u32 s43, s40, s25
	s_mul_hi_u32 s35, s40, s19
	;; [unrolled: 1-line block ×3, first 2 shown]
	s_mul_i32 s25, s41, s25
	s_add_u32 s42, s43, s42
	s_addc_u32 s35, 0, s35
	s_mul_hi_u32 s44, s41, s19
	s_add_u32 s25, s42, s25
	s_mul_i32 s19, s41, s19
	s_addc_u32 s25, s35, s45
	s_addc_u32 s35, s44, 0
	s_add_u32 s19, s25, s19
	s_addc_u32 s25, 0, s35
	s_mul_i32 s44, s36, s19
	s_mul_hi_u32 s35, s36, s19
	s_mul_i32 s43, s36, s25
	v_sub_co_u32 v2, s40, s40, s44
	s_mul_i32 s42, s37, s19
	s_add_i32 s35, s35, s43
	s_delay_alu instid0(SALU_CYCLE_1) | instskip(NEXT) | instid1(VALU_DEP_1)
	s_add_i32 s35, s35, s42
	v_sub_co_u32 v3, s43, v2, s36
	s_sub_i32 s42, s41, s35
	s_cmp_lg_u32 s40, 0
	s_subb_u32 s42, s42, s37
	s_cmp_lg_u32 s43, 0
	v_readfirstlane_b32 s43, v3
	s_subb_u32 s42, s42, 0
	s_delay_alu instid0(SALU_CYCLE_1) | instskip(SKIP_1) | instid1(VALU_DEP_1)
	s_cmp_ge_u32 s42, s37
	s_cselect_b32 s44, -1, 0
	s_cmp_ge_u32 s43, s36
	s_cselect_b32 s43, -1, 0
	s_cmp_eq_u32 s42, s37
	s_cselect_b32 s42, s43, s44
	s_add_u32 s43, s19, 1
	s_addc_u32 s44, s25, 0
	s_add_u32 s45, s19, 2
	s_addc_u32 s46, s25, 0
	s_cmp_lg_u32 s42, 0
	s_cselect_b32 s42, s45, s43
	s_cselect_b32 s43, s46, s44
	s_cmp_lg_u32 s40, 0
	v_readfirstlane_b32 s40, v2
	s_subb_u32 s35, s41, s35
	s_delay_alu instid0(SALU_CYCLE_1) | instskip(SKIP_1) | instid1(VALU_DEP_1)
	s_cmp_ge_u32 s35, s37
	s_cselect_b32 s41, -1, 0
	s_cmp_ge_u32 s40, s36
	s_cselect_b32 s36, -1, 0
	s_cmp_eq_u32 s35, s37
	s_cselect_b32 s35, s36, s41
	s_delay_alu instid0(SALU_CYCLE_1) | instskip(SKIP_3) | instid1(SALU_CYCLE_1)
	s_cmp_lg_u32 s35, 0
	s_cselect_b32 s37, s43, s25
	s_cselect_b32 s36, s42, s19
	s_xor_b64 s[6:7], s[38:39], s[6:7]
	s_xor_b64 s[36:37], s[36:37], s[6:7]
	s_delay_alu instid0(SALU_CYCLE_1)
	s_sub_u32 s6, s36, s6
	s_subb_u32 s7, s37, s7
	s_and_not1_b32 vcc_lo, exec_lo, s34
	s_cbranch_vccnz .LBB14_7
.LBB14_6:
	v_cvt_f32_u32_e32 v2, s4
	s_sub_i32 s7, 0, s4
	s_delay_alu instid0(VALU_DEP_1) | instskip(SKIP_2) | instid1(VALU_DEP_1)
	v_rcp_iflag_f32_e32 v2, v2
	s_waitcnt_depctr 0xfff
	v_mul_f32_e32 v2, 0x4f7ffffe, v2
	v_cvt_u32_f32_e32 v2, v2
	s_delay_alu instid0(VALU_DEP_1) | instskip(NEXT) | instid1(VALU_DEP_1)
	v_readfirstlane_b32 s6, v2
	s_mul_i32 s7, s7, s6
	s_delay_alu instid0(SALU_CYCLE_1) | instskip(NEXT) | instid1(SALU_CYCLE_1)
	s_mul_hi_u32 s7, s6, s7
	s_add_i32 s6, s6, s7
	s_delay_alu instid0(SALU_CYCLE_1) | instskip(NEXT) | instid1(SALU_CYCLE_1)
	s_mul_hi_u32 s6, s30, s6
	s_mul_i32 s7, s6, s4
	s_add_i32 s19, s6, 1
	s_sub_i32 s7, s30, s7
	s_delay_alu instid0(SALU_CYCLE_1)
	s_sub_i32 s25, s7, s4
	s_cmp_ge_u32 s7, s4
	s_cselect_b32 s6, s19, s6
	s_cselect_b32 s7, s25, s7
	s_add_i32 s19, s6, 1
	s_cmp_ge_u32 s7, s4
	s_mov_b32 s7, 0
	s_cselect_b32 s6, s19, s6
.LBB14_7:
	s_delay_alu instid0(SALU_CYCLE_1)
	s_mul_i32 s5, s6, s5
	s_mul_hi_u32 s19, s6, s4
	s_mul_hi_u32 s37, s6, s16
	s_add_i32 s5, s19, s5
	s_mul_i32 s19, s7, s4
	s_mul_i32 s4, s6, s4
	s_add_i32 s19, s5, s19
	s_sub_u32 s5, s30, s4
	s_subb_u32 s36, s31, s19
	s_mul_i32 s38, s7, s16
	s_mul_i32 s34, s6, s16
	s_mul_hi_u32 s7, s5, s17
	s_mul_i32 s36, s36, s17
	s_mul_i32 s30, s5, s17
	s_mov_b32 s39, exec_lo
	v_cmpx_gt_i32_e64 s24, v1
	s_cbranch_execz .LBB14_10
; %bb.8:
	s_load_b64 s[0:1], s[0:1], 0x4
	s_load_b32 s4, s[2:3], 0x8c
	s_mul_i32 s9, s20, s9
	s_mul_hi_u32 s19, s20, s8
	s_mul_i32 s8, s20, s8
	s_add_i32 s9, s19, s9
	s_ashr_i32 s25, s24, 31
	s_lshl_b64 s[8:9], s[8:9], 1
	v_bfe_u32 v2, v0, 10, 10
	v_bfe_u32 v0, v0, 20, 10
	v_dual_mov_b32 v6, v1 :: v_dual_lshlrev_b32 v5, 1, v1
	s_waitcnt lgkmcnt(0)
	s_lshr_b32 s0, s0, 16
	s_add_u32 s40, s12, s8
	s_mul_i32 s0, s0, s1
	s_addc_u32 s41, s13, s9
	s_and_b32 s42, s4, 0xffff
	s_lshl_b64 s[44:45], s[24:25], 1
	s_ashr_i32 s31, s16, 31
	s_ashr_i32 s35, s17, 31
	;; [unrolled: 1-line block ×3, first 2 shown]
	v_mul_lo_u32 v3, s0, v1
	s_lshl_b32 s43, s42, 1
	s_add_u32 s28, s28, s44
	s_addc_u32 s29, s29, s45
	s_add_u32 s26, s26, s28
	s_addc_u32 s27, s27, s29
	s_add_u32 s8, s8, s44
	s_mul_i32 s0, s6, s31
	s_mul_i32 s4, s5, s35
	s_addc_u32 s9, s9, s45
	s_add_u32 s12, s12, s8
	v_mad_u32_u24 v2, v2, s1, v3
	s_addc_u32 s13, s13, s9
	s_add_i32 s0, s37, s0
	s_add_i32 s1, s7, s4
	;; [unrolled: 1-line block ×4, first 2 shown]
	s_lshl_b64 s[0:1], s[34:35], 2
	s_lshl_b64 s[28:29], s[30:31], 2
	;; [unrolled: 1-line block ×3, first 2 shown]
	s_add_u32 s4, s0, s28
	s_addc_u32 s25, s1, s29
	s_lshl_b64 s[0:1], s[18:19], 2
	v_add_lshl_u32 v0, v2, v0, 1
	v_lshlrev_b32_e32 v2, 2, v1
	s_add_u32 s0, s4, s0
	s_addc_u32 s1, s25, s1
	s_add_u32 s0, s22, s0
	s_addc_u32 s1, s23, s1
	v_add_co_u32 v2, s0, s0, v2
	v_add_nc_u32_e32 v4, 0x800, v0
	v_add_co_ci_u32_e64 v3, null, s1, 0, s0
	s_mov_b32 s19, 0
	s_lshl_b32 s25, s42, 2
.LBB14_9:                               ; =>This Inner Loop Header: Depth=1
	v_add_co_u32 v7, s0, s21, v5
	s_delay_alu instid0(VALU_DEP_1) | instskip(SKIP_1) | instid1(VALU_DEP_1)
	v_add_co_ci_u32_e64 v8, null, s33, 0, s0
	v_add_co_u32 v9, s0, s26, v5
	v_add_co_ci_u32_e64 v10, null, s27, 0, s0
	v_add_co_u32 v11, s0, s12, v5
	s_delay_alu instid0(VALU_DEP_1) | instskip(SKIP_1) | instid1(VALU_DEP_1)
	v_add_co_ci_u32_e64 v12, null, s13, 0, s0
	v_add_co_u32 v13, s0, s40, v5
	v_add_co_ci_u32_e64 v14, null, s41, 0, s0
	global_load_u16 v7, v[7:8], off
	global_load_u16 v8, v[9:10], off
	;; [unrolled: 1-line block ×4, first 2 shown]
	v_add_nc_u32_e32 v6, s42, v6
	s_add_u32 s21, s21, s43
	s_addc_u32 s33, s33, 0
	s_add_u32 s26, s26, s43
	s_addc_u32 s27, s27, 0
	;; [unrolled: 2-line block ×4, first 2 shown]
	s_waitcnt vmcnt(3)
	v_cvt_f32_f16_e32 v15, v7
	s_waitcnt vmcnt(2)
	v_cvt_f32_f16_e32 v16, v8
	v_cmp_o_f16_e32 vcc_lo, v8, v8
	v_cmp_o_f16_e64 s0, v7, v7
	v_bfe_u32 v17, v15, 16, 1
	s_delay_alu instid0(VALU_DEP_4) | instskip(NEXT) | instid1(VALU_DEP_2)
	v_bfe_u32 v18, v16, 16, 1
	v_add3_u32 v15, v15, v17, 0x7fff
	s_delay_alu instid0(VALU_DEP_2) | instskip(NEXT) | instid1(VALU_DEP_1)
	v_add3_u32 v16, v16, v18, 0x7fff
	v_and_b32_e32 v16, 0xffff0000, v16
	s_waitcnt vmcnt(1)
	s_delay_alu instid0(VALU_DEP_1) | instskip(NEXT) | instid1(VALU_DEP_1)
	v_dual_cndmask_b32 v8, 0x7fc00000, v16 :: v_dual_lshlrev_b32 v9, 16, v9
	v_dual_mul_f32 v16, v8, v9 :: v_dual_and_b32 v15, 0xffff0000, v15
	s_delay_alu instid0(VALU_DEP_1) | instskip(SKIP_2) | instid1(VALU_DEP_3)
	v_cndmask_b32_e64 v7, 0x7fc00000, v15, s0
	s_waitcnt vmcnt(0)
	v_lshlrev_b32_e32 v10, 16, v10
	v_cmp_o_f32_e32 vcc_lo, v16, v16
	s_delay_alu instid0(VALU_DEP_2) | instskip(SKIP_1) | instid1(VALU_DEP_2)
	v_mul_f32_e32 v15, v7, v10
	v_mul_f32_e32 v7, v7, v9
	v_bfe_u32 v9, v15, 16, 1
	s_delay_alu instid0(VALU_DEP_2) | instskip(SKIP_2) | instid1(VALU_DEP_4)
	v_bfe_u32 v17, v7, 16, 1
	v_cmp_o_f32_e64 s4, v15, v15
	v_cmp_o_f32_e64 s1, v7, v7
	v_add3_u32 v9, v15, v9, 0x7fff
	v_mul_f32_e32 v8, v8, v10
	v_bfe_u32 v10, v16, 16, 1
	v_add3_u32 v17, v7, v17, 0x7fff
	s_delay_alu instid0(VALU_DEP_4) | instskip(NEXT) | instid1(VALU_DEP_4)
	v_and_b32_e32 v9, 0xffff0000, v9
	v_bfe_u32 v18, v8, 16, 1
	s_delay_alu instid0(VALU_DEP_4) | instskip(NEXT) | instid1(VALU_DEP_4)
	v_add3_u32 v10, v16, v10, 0x7fff
	v_and_b32_e32 v16, 0xffff0000, v17
	v_cmp_o_f32_e64 s0, v8, v8
	v_cndmask_b32_e64 v7, 0x7fc00000, v9, s4
	v_add3_u32 v18, v8, v18, 0x7fff
	v_and_b32_e32 v10, 0xffff0000, v10
	s_delay_alu instid0(VALU_DEP_1) | instskip(SKIP_1) | instid1(VALU_DEP_4)
	v_cndmask_b32_e32 v8, 0x7fc00000, v10, vcc_lo
	v_cndmask_b32_e64 v10, 0x7fc00000, v16, s1
	v_and_b32_e32 v17, 0xffff0000, v18
	s_delay_alu instid0(VALU_DEP_3) | instskip(NEXT) | instid1(VALU_DEP_2)
	v_sub_f32_e32 v7, v7, v8
	v_cndmask_b32_e64 v9, 0x7fc00000, v17, s0
	s_delay_alu instid0(VALU_DEP_2) | instskip(NEXT) | instid1(VALU_DEP_2)
	v_cmp_o_f32_e64 s0, v7, v7
	v_add_f32_e32 v8, v10, v9
	v_bfe_u32 v9, v7, 16, 1
	s_delay_alu instid0(VALU_DEP_2) | instskip(NEXT) | instid1(VALU_DEP_2)
	v_bfe_u32 v10, v8, 16, 1
	v_add3_u32 v9, v7, v9, 0x7fff
	v_cmp_o_f32_e32 vcc_lo, v8, v8
	s_delay_alu instid0(VALU_DEP_3) | instskip(NEXT) | instid1(VALU_DEP_3)
	v_add3_u32 v10, v8, v10, 0x7fff
	v_lshrrev_b32_e32 v9, 16, v9
	s_delay_alu instid0(VALU_DEP_2) | instskip(NEXT) | instid1(VALU_DEP_2)
	v_lshrrev_b32_e32 v10, 16, v10
	v_cndmask_b32_e64 v9, 0x7fc0, v9, s0
	s_delay_alu instid0(VALU_DEP_2)
	v_cndmask_b32_e32 v10, 0x7fc0, v10, vcc_lo
	ds_store_b16 v4, v9
	ds_load_b32 v15, v4
	v_add_co_u32 v7, vcc_lo, v2, s8
	ds_store_b16 v0, v10
	ds_load_b32 v16, v0
	v_add_co_ci_u32_e32 v8, vcc_lo, s9, v3, vcc_lo
	v_cmp_le_i32_e32 vcc_lo, s24, v6
	s_or_b32 s19, vcc_lo, s19
	s_waitcnt lgkmcnt(2)
	global_store_b32 v[2:3], v15, off
	v_add_co_u32 v2, s0, v2, s25
	s_delay_alu instid0(VALU_DEP_1)
	v_add_co_ci_u32_e64 v3, s0, 0, v3, s0
	global_store_b16 v[13:14], v9, off
	global_store_b16 v[11:12], v10, off
	s_waitcnt lgkmcnt(0)
	global_store_b32 v[7:8], v16, off
	s_and_not1_b32 exec_lo, exec_lo, s19
	s_cbranch_execnz .LBB14_9
.LBB14_10:
	s_or_b32 exec_lo, exec_lo, s39
	s_delay_alu instid0(SALU_CYCLE_1)
	s_mov_b32 s0, exec_lo
	v_cmpx_gt_i32_e64 s18, v1
	s_cbranch_execz .LBB14_13
; %bb.11:
	s_mul_i32 s1, s20, s11
	s_mul_hi_u32 s4, s20, s10
	s_mul_i32 s0, s20, s10
	s_add_i32 s1, s4, s1
	s_delay_alu instid0(SALU_CYCLE_1) | instskip(NEXT) | instid1(SALU_CYCLE_1)
	s_lshl_b64 s[8:9], s[0:1], 1
	s_add_u32 s1, s14, s8
	s_addc_u32 s4, s15, s9
	s_ashr_i32 s0, s16, 31
	s_delay_alu instid0(SALU_CYCLE_1) | instskip(SKIP_2) | instid1(SALU_CYCLE_1)
	s_mul_i32 s0, s6, s0
	s_load_b32 s6, s[2:3], 0x8c
	s_add_i32 s0, s37, s0
	s_add_i32 s35, s0, s38
	s_delay_alu instid0(SALU_CYCLE_1) | instskip(NEXT) | instid1(SALU_CYCLE_1)
	s_lshl_b64 s[2:3], s[34:35], 2
	s_add_u32 s0, s22, s2
	s_addc_u32 s8, s23, s3
	s_ashr_i32 s2, s17, 31
	s_delay_alu instid0(SALU_CYCLE_1) | instskip(NEXT) | instid1(SALU_CYCLE_1)
	s_mul_i32 s5, s5, s2
	s_add_i32 s2, s7, s5
	s_delay_alu instid0(SALU_CYCLE_1) | instskip(NEXT) | instid1(SALU_CYCLE_1)
	s_add_i32 s31, s2, s36
	s_lshl_b64 s[2:3], s[30:31], 2
	s_delay_alu instid0(SALU_CYCLE_1)
	s_add_u32 s2, s0, s2
	s_addc_u32 s3, s8, s3
	s_waitcnt lgkmcnt(0)
	s_and_b32 s5, s6, 0xffff
	s_mov_b32 s6, 0
	.p2align	6
.LBB14_12:                              ; =>This Inner Loop Header: Depth=1
	v_ashrrev_i32_e32 v2, 31, v1
	s_delay_alu instid0(VALU_DEP_1) | instskip(NEXT) | instid1(VALU_DEP_1)
	v_lshlrev_b64 v[3:4], 1, v[1:2]
	v_add_co_u32 v3, vcc_lo, s1, v3
	s_delay_alu instid0(VALU_DEP_2) | instskip(SKIP_3) | instid1(VALU_DEP_1)
	v_add_co_ci_u32_e32 v4, vcc_lo, s4, v4, vcc_lo
	global_load_b32 v0, v[3:4], off
	v_lshlrev_b64 v[2:3], 2, v[1:2]
	v_add_nc_u32_e32 v1, s5, v1
	v_cmp_le_i32_e32 vcc_lo, s18, v1
	s_delay_alu instid0(VALU_DEP_3) | instskip(NEXT) | instid1(VALU_DEP_1)
	v_add_co_u32 v2, s0, s2, v2
	v_add_co_ci_u32_e64 v3, s0, s3, v3, s0
	s_or_b32 s6, vcc_lo, s6
	s_waitcnt vmcnt(0)
	global_store_b32 v[2:3], v0, off
	s_and_not1_b32 exec_lo, exec_lo, s6
	s_cbranch_execnz .LBB14_12
.LBB14_13:
	s_nop 0
	s_sendmsg sendmsg(MSG_DEALLOC_VGPRS)
	s_endpgm
.LBB14_14:
                                        ; implicit-def: $sgpr6_sgpr7
	s_branch .LBB14_6
	.section	.rodata,"a",@progbits
	.p2align	6, 0x0
	.amdhsa_kernel _ZN4vllm38concat_and_cache_mla_rope_fused_kernelIN3c108BFloat16ENS1_4HalfELb1EffLNS_18Fp8KVCacheDataTypeE0EEEvPKlPT_S8_PKS7_PKT0_illlliPT3_S6_iiiiPKf
		.amdhsa_group_segment_fixed_size 4096
		.amdhsa_private_segment_fixed_size 0
		.amdhsa_kernarg_size 384
		.amdhsa_user_sgpr_count 15
		.amdhsa_user_sgpr_dispatch_ptr 1
		.amdhsa_user_sgpr_queue_ptr 0
		.amdhsa_user_sgpr_kernarg_segment_ptr 1
		.amdhsa_user_sgpr_dispatch_id 0
		.amdhsa_user_sgpr_private_segment_size 0
		.amdhsa_wavefront_size32 1
		.amdhsa_uses_dynamic_stack 0
		.amdhsa_enable_private_segment 0
		.amdhsa_system_sgpr_workgroup_id_x 1
		.amdhsa_system_sgpr_workgroup_id_y 0
		.amdhsa_system_sgpr_workgroup_id_z 0
		.amdhsa_system_sgpr_workgroup_info 0
		.amdhsa_system_vgpr_workitem_id 2
		.amdhsa_next_free_vgpr 19
		.amdhsa_next_free_sgpr 47
		.amdhsa_reserve_vcc 1
		.amdhsa_float_round_mode_32 0
		.amdhsa_float_round_mode_16_64 0
		.amdhsa_float_denorm_mode_32 3
		.amdhsa_float_denorm_mode_16_64 3
		.amdhsa_dx10_clamp 1
		.amdhsa_ieee_mode 1
		.amdhsa_fp16_overflow 0
		.amdhsa_workgroup_processor_mode 1
		.amdhsa_memory_ordered 1
		.amdhsa_forward_progress 0
		.amdhsa_shared_vgpr_count 0
		.amdhsa_exception_fp_ieee_invalid_op 0
		.amdhsa_exception_fp_denorm_src 0
		.amdhsa_exception_fp_ieee_div_zero 0
		.amdhsa_exception_fp_ieee_overflow 0
		.amdhsa_exception_fp_ieee_underflow 0
		.amdhsa_exception_fp_ieee_inexact 0
		.amdhsa_exception_int_div_zero 0
	.end_amdhsa_kernel
	.section	.text._ZN4vllm38concat_and_cache_mla_rope_fused_kernelIN3c108BFloat16ENS1_4HalfELb1EffLNS_18Fp8KVCacheDataTypeE0EEEvPKlPT_S8_PKS7_PKT0_illlliPT3_S6_iiiiPKf,"axG",@progbits,_ZN4vllm38concat_and_cache_mla_rope_fused_kernelIN3c108BFloat16ENS1_4HalfELb1EffLNS_18Fp8KVCacheDataTypeE0EEEvPKlPT_S8_PKS7_PKT0_illlliPT3_S6_iiiiPKf,comdat
.Lfunc_end14:
	.size	_ZN4vllm38concat_and_cache_mla_rope_fused_kernelIN3c108BFloat16ENS1_4HalfELb1EffLNS_18Fp8KVCacheDataTypeE0EEEvPKlPT_S8_PKS7_PKT0_illlliPT3_S6_iiiiPKf, .Lfunc_end14-_ZN4vllm38concat_and_cache_mla_rope_fused_kernelIN3c108BFloat16ENS1_4HalfELb1EffLNS_18Fp8KVCacheDataTypeE0EEEvPKlPT_S8_PKS7_PKT0_illlliPT3_S6_iiiiPKf
                                        ; -- End function
	.section	.AMDGPU.csdata,"",@progbits
; Kernel info:
; codeLenInByte = 3292
; NumSgprs: 49
; NumVgprs: 19
; ScratchSize: 0
; MemoryBound: 0
; FloatMode: 240
; IeeeMode: 1
; LDSByteSize: 4096 bytes/workgroup (compile time only)
; SGPRBlocks: 6
; VGPRBlocks: 2
; NumSGPRsForWavesPerEU: 49
; NumVGPRsForWavesPerEU: 19
; Occupancy: 16
; WaveLimiterHint : 1
; COMPUTE_PGM_RSRC2:SCRATCH_EN: 0
; COMPUTE_PGM_RSRC2:USER_SGPR: 15
; COMPUTE_PGM_RSRC2:TRAP_HANDLER: 0
; COMPUTE_PGM_RSRC2:TGID_X_EN: 1
; COMPUTE_PGM_RSRC2:TGID_Y_EN: 0
; COMPUTE_PGM_RSRC2:TGID_Z_EN: 0
; COMPUTE_PGM_RSRC2:TIDIG_COMP_CNT: 2
	.section	.text._ZN4vllm38concat_and_cache_mla_rope_fused_kernelIN3c108BFloat16ENS1_4HalfELb0EffLNS_18Fp8KVCacheDataTypeE0EEEvPKlPT_S8_PKS7_PKT0_illlliPT3_S6_iiiiPKf,"axG",@progbits,_ZN4vllm38concat_and_cache_mla_rope_fused_kernelIN3c108BFloat16ENS1_4HalfELb0EffLNS_18Fp8KVCacheDataTypeE0EEEvPKlPT_S8_PKS7_PKT0_illlliPT3_S6_iiiiPKf,comdat
	.protected	_ZN4vllm38concat_and_cache_mla_rope_fused_kernelIN3c108BFloat16ENS1_4HalfELb0EffLNS_18Fp8KVCacheDataTypeE0EEEvPKlPT_S8_PKS7_PKT0_illlliPT3_S6_iiiiPKf ; -- Begin function _ZN4vllm38concat_and_cache_mla_rope_fused_kernelIN3c108BFloat16ENS1_4HalfELb0EffLNS_18Fp8KVCacheDataTypeE0EEEvPKlPT_S8_PKS7_PKT0_illlliPT3_S6_iiiiPKf
	.globl	_ZN4vllm38concat_and_cache_mla_rope_fused_kernelIN3c108BFloat16ENS1_4HalfELb0EffLNS_18Fp8KVCacheDataTypeE0EEEvPKlPT_S8_PKS7_PKT0_illlliPT3_S6_iiiiPKf
	.p2align	8
	.type	_ZN4vllm38concat_and_cache_mla_rope_fused_kernelIN3c108BFloat16ENS1_4HalfELb0EffLNS_18Fp8KVCacheDataTypeE0EEEvPKlPT_S8_PKS7_PKT0_illlliPT3_S6_iiiiPKf,@function
_ZN4vllm38concat_and_cache_mla_rope_fused_kernelIN3c108BFloat16ENS1_4HalfELb0EffLNS_18Fp8KVCacheDataTypeE0EEEvPKlPT_S8_PKS7_PKT0_illlliPT3_S6_iiiiPKf: ; @_ZN4vllm38concat_and_cache_mla_rope_fused_kernelIN3c108BFloat16ENS1_4HalfELb0EffLNS_18Fp8KVCacheDataTypeE0EEEvPKlPT_S8_PKS7_PKT0_illlliPT3_S6_iiiiPKf
; %bb.0:
	s_load_b64 s[6:7], s[2:3], 0x60
	s_mov_b32 s16, s15
	s_mov_b32 s17, 0
	s_delay_alu instid0(SALU_CYCLE_1)
	s_lshl_b64 s[4:5], s[16:17], 3
	s_waitcnt lgkmcnt(0)
	s_add_u32 s6, s6, s4
	s_addc_u32 s7, s7, s5
	s_load_b64 s[24:25], s[6:7], 0x0
	s_waitcnt lgkmcnt(0)
	v_cmp_lt_i64_e64 s6, s[24:25], 0
	s_delay_alu instid0(VALU_DEP_1)
	s_and_b32 vcc_lo, exec_lo, s6
	s_cbranch_vccnz .LBB15_13
; %bb.1:
	s_clause 0x3
	s_load_b32 s21, s[2:3], 0x28
	s_load_b64 s[6:7], s[2:3], 0x0
	s_load_b128 s[12:15], s[2:3], 0x10
	s_load_b32 s17, s[2:3], 0x50
	v_and_b32_e32 v1, 0x3ff, v0
	s_mov_b32 s30, exec_lo
	s_delay_alu instid0(VALU_DEP_1)
	v_lshlrev_b32_e32 v4, 1, v1
	s_waitcnt lgkmcnt(0)
	s_ashr_i32 s28, s21, 31
	s_add_u32 s4, s6, s4
	s_addc_u32 s5, s7, s5
	s_lshr_b32 s20, s21, 31
	s_load_b64 s[26:27], s[4:5], 0x0
	s_clause 0x2
	s_load_b64 s[22:23], s[2:3], 0x20
	s_load_b64 s[18:19], s[2:3], 0x58
	s_load_b256 s[4:11], s[2:3], 0x30
	s_add_i32 s20, s21, s20
	s_delay_alu instid0(SALU_CYCLE_1) | instskip(NEXT) | instid1(SALU_CYCLE_1)
	s_ashr_i32 s20, s20, 1
	s_mul_i32 s17, s20, s17
	s_waitcnt lgkmcnt(0)
	s_mul_i32 s28, s26, s28
	s_mul_hi_u32 s29, s26, s21
	s_mul_i32 s27, s27, s21
	s_add_i32 s28, s29, s28
	s_mul_i32 s26, s26, s21
	s_add_i32 s27, s28, s27
	v_cmpx_gt_i32_e64 s17, v1
	s_cbranch_execz .LBB15_4
; %bb.2:
	s_load_b64 s[28:29], s[2:3], 0x8
	s_lshl_b64 s[34:35], s[26:27], 1
	s_mul_i32 s21, s16, s5
	s_mul_hi_u32 s33, s16, s4
	s_add_u32 s5, s22, s34
	s_mul_i32 s36, s16, s4
	s_load_b32 s4, s[2:3], 0x8c
	s_addc_u32 s31, s23, s35
	s_add_i32 s37, s33, s21
	s_ashr_i32 s21, s20, 31
	s_lshl_b64 s[34:35], s[36:37], 1
	s_mov_b32 s36, 0
	s_waitcnt lgkmcnt(0)
	s_add_u32 s33, s28, s34
	s_addc_u32 s34, s29, s35
	s_abs_i32 s35, s20
	s_sub_i32 s38, 0, s20
	v_cvt_f32_u32_e32 v2, s35
	s_sub_i32 s28, 0, s35
	s_and_b32 s37, s4, 0xffff
	s_lshl_b32 s4, s20, 1
	s_lshl_b32 s40, s37, 1
	v_rcp_iflag_f32_e32 v2, v2
	s_sub_i32 s39, 0, s4
	s_waitcnt_depctr 0xfff
	v_mul_f32_e32 v2, 0x4f7ffffe, v2
	s_delay_alu instid0(VALU_DEP_1) | instskip(NEXT) | instid1(VALU_DEP_1)
	v_cvt_u32_f32_e32 v3, v2
	v_mul_lo_u32 v2, s28, v3
	s_lshl_b64 s[28:29], s[20:21], 1
	s_delay_alu instid0(VALU_DEP_1) | instskip(NEXT) | instid1(VALU_DEP_1)
	v_mul_hi_u32 v5, v3, v2
	v_dual_mov_b32 v2, v4 :: v_dual_add_nc_u32 v5, v3, v5
	v_mov_b32_e32 v3, v1
.LBB15_3:                               ; =>This Inner Loop Header: Depth=1
	s_delay_alu instid0(VALU_DEP_1) | instskip(SKIP_1) | instid1(VALU_DEP_2)
	v_sub_nc_u32_e32 v6, 0, v3
	v_ashrrev_i32_e32 v7, 31, v3
	v_max_i32_e32 v6, v3, v6
	s_delay_alu instid0(VALU_DEP_2) | instskip(NEXT) | instid1(VALU_DEP_2)
	v_xor_b32_e32 v7, s21, v7
	v_mul_hi_u32 v8, v6, v5
	s_delay_alu instid0(VALU_DEP_1) | instskip(SKIP_1) | instid1(VALU_DEP_2)
	v_mul_lo_u32 v9, v8, s35
	v_add_nc_u32_e32 v10, 1, v8
	v_sub_nc_u32_e32 v6, v6, v9
	s_delay_alu instid0(VALU_DEP_1) | instskip(SKIP_1) | instid1(VALU_DEP_4)
	v_subrev_nc_u32_e32 v9, s35, v6
	v_cmp_le_u32_e32 vcc_lo, s35, v6
	v_cndmask_b32_e32 v8, v8, v10, vcc_lo
	s_delay_alu instid0(VALU_DEP_1) | instskip(NEXT) | instid1(VALU_DEP_1)
	v_dual_cndmask_b32 v6, v6, v9 :: v_dual_add_nc_u32 v9, 1, v8
	v_cmp_le_u32_e32 vcc_lo, s35, v6
	s_delay_alu instid0(VALU_DEP_2) | instskip(NEXT) | instid1(VALU_DEP_1)
	v_cndmask_b32_e32 v6, v8, v9, vcc_lo
	v_xor_b32_e32 v6, v6, v7
	s_delay_alu instid0(VALU_DEP_1) | instskip(NEXT) | instid1(VALU_DEP_1)
	v_sub_nc_u32_e32 v12, v6, v7
	v_mad_u64_u32 v[6:7], null, s38, v12, v[3:4]
	v_ashrrev_i32_e32 v7, 31, v12
	v_mul_lo_u32 v13, v12, s7
	v_mad_u64_u32 v[8:9], null, v12, s6, 0
	v_mad_u64_u32 v[10:11], null, s39, v12, v[2:3]
	s_delay_alu instid0(VALU_DEP_4) | instskip(SKIP_3) | instid1(VALU_DEP_3)
	v_mul_lo_u32 v12, v7, s6
	v_ashrrev_i32_e32 v7, 31, v6
	v_add_nc_u32_e32 v3, s37, v3
	v_add_nc_u32_e32 v2, s40, v2
	v_lshlrev_b64 v[6:7], 1, v[6:7]
	v_ashrrev_i32_e32 v11, 31, v10
	v_add3_u32 v9, v9, v13, v12
	s_delay_alu instid0(VALU_DEP_3) | instskip(NEXT) | instid1(VALU_DEP_4)
	v_add_co_u32 v6, vcc_lo, s5, v6
	v_add_co_ci_u32_e32 v7, vcc_lo, s31, v7, vcc_lo
	s_delay_alu instid0(VALU_DEP_3)
	v_lshlrev_b64 v[8:9], 1, v[8:9]
	v_lshlrev_b64 v[10:11], 1, v[10:11]
	global_load_u16 v12, v[6:7], off
	v_add_co_u32 v6, vcc_lo, v6, s28
	v_add_co_ci_u32_e32 v7, vcc_lo, s29, v7, vcc_lo
	v_add_co_u32 v8, vcc_lo, s33, v8
	v_add_co_ci_u32_e32 v9, vcc_lo, s34, v9, vcc_lo
	global_load_u16 v13, v[6:7], off
	v_add_co_u32 v6, vcc_lo, v8, v10
	v_add_co_ci_u32_e32 v7, vcc_lo, v9, v11, vcc_lo
	global_load_b32 v8, v[6:7], off
	s_waitcnt vmcnt(2)
	v_cvt_f32_f16_e32 v9, v12
	v_cmp_o_f16_e32 vcc_lo, v12, v12
	s_delay_alu instid0(VALU_DEP_2) | instskip(SKIP_2) | instid1(VALU_DEP_2)
	v_bfe_u32 v11, v9, 16, 1
	s_waitcnt vmcnt(1)
	v_cvt_f32_f16_e32 v10, v13
	v_add3_u32 v9, v9, v11, 0x7fff
	s_delay_alu instid0(VALU_DEP_2) | instskip(NEXT) | instid1(VALU_DEP_2)
	v_bfe_u32 v11, v10, 16, 1
	v_and_b32_e32 v9, 0xffff0000, v9
	s_waitcnt vmcnt(0)
	v_lshlrev_b32_e32 v14, 16, v8
	v_and_b32_e32 v8, 0xffff0000, v8
	v_add3_u32 v10, v10, v11, 0x7fff
	v_cndmask_b32_e32 v9, 0x7fc00000, v9, vcc_lo
	v_cmp_o_f16_e32 vcc_lo, v13, v13
	s_delay_alu instid0(VALU_DEP_3) | instskip(NEXT) | instid1(VALU_DEP_3)
	v_and_b32_e32 v10, 0xffff0000, v10
	v_mul_f32_e32 v11, v9, v14
	s_delay_alu instid0(VALU_DEP_2) | instskip(NEXT) | instid1(VALU_DEP_2)
	v_dual_mul_f32 v9, v9, v8 :: v_dual_cndmask_b32 v10, 0x7fc00000, v10
	v_bfe_u32 v12, v11, 16, 1
	s_delay_alu instid0(VALU_DEP_2) | instskip(SKIP_2) | instid1(VALU_DEP_4)
	v_bfe_u32 v13, v9, 16, 1
	v_cmp_o_f32_e32 vcc_lo, v11, v11
	v_cmp_o_f32_e64 s4, v9, v9
	v_add3_u32 v12, v11, v12, 0x7fff
	s_delay_alu instid0(VALU_DEP_4) | instskip(SKIP_2) | instid1(VALU_DEP_4)
	v_add3_u32 v13, v9, v13, 0x7fff
	v_mul_f32_e32 v8, v10, v8
	v_mul_f32_e32 v10, v10, v14
	v_and_b32_e32 v12, 0xffff0000, v12
	s_delay_alu instid0(VALU_DEP_4) | instskip(NEXT) | instid1(VALU_DEP_4)
	v_and_b32_e32 v13, 0xffff0000, v13
	v_bfe_u32 v14, v8, 16, 1
	s_delay_alu instid0(VALU_DEP_4) | instskip(NEXT) | instid1(VALU_DEP_4)
	v_bfe_u32 v15, v10, 16, 1
	v_cndmask_b32_e32 v12, 0x7fc00000, v12, vcc_lo
	s_delay_alu instid0(VALU_DEP_4) | instskip(NEXT) | instid1(VALU_DEP_4)
	v_cndmask_b32_e64 v13, 0x7fc00000, v13, s4
	v_add3_u32 v14, v8, v14, 0x7fff
	s_delay_alu instid0(VALU_DEP_4) | instskip(SKIP_1) | instid1(VALU_DEP_3)
	v_add3_u32 v15, v10, v15, 0x7fff
	v_cmp_o_f32_e64 s4, v8, v8
	v_and_b32_e32 v9, 0xffff0000, v14
	s_delay_alu instid0(VALU_DEP_3) | instskip(SKIP_1) | instid1(VALU_DEP_3)
	v_and_b32_e32 v11, 0xffff0000, v15
	v_cmp_o_f32_e32 vcc_lo, v10, v10
	v_cndmask_b32_e64 v8, 0x7fc00000, v9, s4
	s_delay_alu instid0(VALU_DEP_1) | instskip(NEXT) | instid1(VALU_DEP_1)
	v_dual_cndmask_b32 v9, 0x7fc00000, v11 :: v_dual_sub_f32 v8, v12, v8
	v_add_f32_e32 v9, v13, v9
	s_delay_alu instid0(VALU_DEP_2) | instskip(SKIP_1) | instid1(VALU_DEP_3)
	v_bfe_u32 v10, v8, 16, 1
	v_cmp_o_f32_e64 s4, v8, v8
	v_bfe_u32 v11, v9, 16, 1
	v_cmp_o_f32_e32 vcc_lo, v9, v9
	s_delay_alu instid0(VALU_DEP_4) | instskip(NEXT) | instid1(VALU_DEP_3)
	v_add3_u32 v10, v8, v10, 0x7fff
	v_add3_u32 v11, v9, v11, 0x7fff
	s_delay_alu instid0(VALU_DEP_2) | instskip(NEXT) | instid1(VALU_DEP_2)
	v_lshrrev_b32_e32 v10, 16, v10
	v_lshrrev_b32_e32 v11, 16, v11
	s_delay_alu instid0(VALU_DEP_2) | instskip(NEXT) | instid1(VALU_DEP_2)
	v_cndmask_b32_e64 v8, 0x7fc0, v10, s4
	v_cndmask_b32_e32 v9, 0x7fc0, v11, vcc_lo
	v_cmp_le_i32_e32 vcc_lo, s17, v3
	s_delay_alu instid0(VALU_DEP_2)
	v_perm_b32 v8, v9, v8, 0x5040100
	s_or_b32 s36, vcc_lo, s36
	global_store_b32 v[6:7], v8, off
	s_and_not1_b32 exec_lo, exec_lo, s36
	s_cbranch_execnz .LBB15_3
.LBB15_4:
	s_or_b32 exec_lo, exec_lo, s30
	s_load_b128 s[4:7], s[2:3], 0x68
	s_waitcnt lgkmcnt(0)
	s_ashr_i32 s31, s7, 31
	s_mov_b32 s30, s7
	s_delay_alu instid0(SALU_CYCLE_1) | instskip(SKIP_1) | instid1(SALU_CYCLE_1)
	s_or_b64 s[34:35], s[24:25], s[30:31]
	s_mov_b32 s34, 0
	s_cmp_lg_u64 s[34:35], 0
	s_cbranch_scc0 .LBB15_14
; %bb.5:
	s_add_u32 s36, s30, s31
	s_mov_b32 s28, s31
	s_mov_b32 s29, s31
	s_addc_u32 s37, s31, s31
	s_delay_alu instid0(SALU_CYCLE_1) | instskip(NEXT) | instid1(SALU_CYCLE_1)
	s_xor_b64 s[36:37], s[36:37], s[28:29]
	v_cvt_f32_u32_e32 v2, s36
	v_cvt_f32_u32_e32 v3, s37
	s_sub_u32 s21, 0, s36
	s_subb_u32 s33, 0, s37
	s_delay_alu instid0(VALU_DEP_1) | instskip(NEXT) | instid1(VALU_DEP_1)
	v_fmamk_f32 v2, v3, 0x4f800000, v2
	v_rcp_f32_e32 v2, v2
	s_waitcnt_depctr 0xfff
	v_mul_f32_e32 v2, 0x5f7ffffc, v2
	s_delay_alu instid0(VALU_DEP_1) | instskip(NEXT) | instid1(VALU_DEP_1)
	v_mul_f32_e32 v3, 0x2f800000, v2
	v_trunc_f32_e32 v3, v3
	s_delay_alu instid0(VALU_DEP_1) | instskip(SKIP_1) | instid1(VALU_DEP_2)
	v_fmamk_f32 v2, v3, 0xcf800000, v2
	v_cvt_u32_f32_e32 v3, v3
	v_cvt_u32_f32_e32 v2, v2
	s_delay_alu instid0(VALU_DEP_2) | instskip(NEXT) | instid1(VALU_DEP_2)
	v_readfirstlane_b32 s7, v3
	v_readfirstlane_b32 s17, v2
	s_delay_alu instid0(VALU_DEP_2) | instskip(NEXT) | instid1(VALU_DEP_1)
	s_mul_i32 s35, s21, s7
	s_mul_hi_u32 s39, s21, s17
	s_mul_i32 s38, s33, s17
	s_add_i32 s35, s39, s35
	s_mul_i32 s40, s21, s17
	s_add_i32 s35, s35, s38
	s_mul_hi_u32 s39, s17, s40
	s_mul_hi_u32 s41, s7, s40
	s_mul_i32 s38, s7, s40
	s_mul_hi_u32 s40, s17, s35
	s_mul_i32 s17, s17, s35
	s_mul_hi_u32 s42, s7, s35
	s_add_u32 s17, s39, s17
	s_addc_u32 s39, 0, s40
	s_add_u32 s17, s17, s38
	s_mul_i32 s35, s7, s35
	s_addc_u32 s17, s39, s41
	s_addc_u32 s38, s42, 0
	s_add_u32 s17, s17, s35
	s_addc_u32 s35, 0, s38
	v_add_co_u32 v2, s17, v2, s17
	s_delay_alu instid0(VALU_DEP_1) | instskip(SKIP_1) | instid1(VALU_DEP_1)
	s_cmp_lg_u32 s17, 0
	s_addc_u32 s7, s7, s35
	v_readfirstlane_b32 s17, v2
	s_mul_i32 s35, s21, s7
	s_delay_alu instid0(VALU_DEP_1)
	s_mul_hi_u32 s38, s21, s17
	s_mul_i32 s33, s33, s17
	s_add_i32 s35, s38, s35
	s_mul_i32 s21, s21, s17
	s_add_i32 s35, s35, s33
	s_mul_hi_u32 s38, s7, s21
	s_mul_i32 s39, s7, s21
	s_mul_hi_u32 s21, s17, s21
	s_mul_hi_u32 s40, s17, s35
	s_mul_i32 s17, s17, s35
	s_mul_hi_u32 s33, s7, s35
	s_add_u32 s17, s21, s17
	s_addc_u32 s21, 0, s40
	s_add_u32 s17, s17, s39
	s_mul_i32 s35, s7, s35
	s_addc_u32 s17, s21, s38
	s_addc_u32 s21, s33, 0
	s_add_u32 s17, s17, s35
	s_addc_u32 s21, 0, s21
	v_add_co_u32 v2, s17, v2, s17
	s_delay_alu instid0(VALU_DEP_1) | instskip(SKIP_2) | instid1(VALU_DEP_1)
	s_cmp_lg_u32 s17, 0
	s_addc_u32 s7, s7, s21
	s_ashr_i32 s38, s25, 31
	v_readfirstlane_b32 s17, v2
	s_add_u32 s40, s24, s38
	s_mov_b32 s39, s38
	s_addc_u32 s41, s25, s38
	s_delay_alu instid0(SALU_CYCLE_1) | instskip(NEXT) | instid1(SALU_CYCLE_1)
	s_xor_b64 s[40:41], s[40:41], s[38:39]
	s_mul_i32 s33, s40, s7
	s_mul_hi_u32 s35, s40, s17
	s_mul_hi_u32 s21, s40, s7
	;; [unrolled: 1-line block ×3, first 2 shown]
	s_mul_i32 s17, s41, s17
	s_add_u32 s33, s35, s33
	s_addc_u32 s21, 0, s21
	s_mul_hi_u32 s42, s41, s7
	s_add_u32 s17, s33, s17
	s_mul_i32 s7, s41, s7
	s_addc_u32 s17, s21, s43
	s_addc_u32 s21, s42, 0
	s_add_u32 s7, s17, s7
	s_addc_u32 s17, 0, s21
	s_mul_hi_u32 s21, s36, s7
	s_mul_i32 s35, s36, s17
	s_mul_i32 s42, s36, s7
	s_add_i32 s21, s21, s35
	v_sub_co_u32 v2, s35, s40, s42
	s_mul_i32 s33, s37, s7
	s_delay_alu instid0(SALU_CYCLE_1) | instskip(NEXT) | instid1(VALU_DEP_1)
	s_add_i32 s21, s21, s33
	v_sub_co_u32 v3, s40, v2, s36
	s_sub_i32 s33, s41, s21
	s_cmp_lg_u32 s35, 0
	s_subb_u32 s33, s33, s37
	s_cmp_lg_u32 s40, 0
	v_readfirstlane_b32 s40, v3
	s_subb_u32 s33, s33, 0
	s_delay_alu instid0(SALU_CYCLE_1) | instskip(SKIP_1) | instid1(VALU_DEP_1)
	s_cmp_ge_u32 s33, s37
	s_cselect_b32 s42, -1, 0
	s_cmp_ge_u32 s40, s36
	s_cselect_b32 s40, -1, 0
	s_cmp_eq_u32 s33, s37
	s_cselect_b32 s33, s40, s42
	s_add_u32 s40, s7, 1
	s_addc_u32 s42, s17, 0
	s_add_u32 s43, s7, 2
	s_addc_u32 s44, s17, 0
	s_cmp_lg_u32 s33, 0
	s_cselect_b32 s33, s43, s40
	s_cselect_b32 s40, s44, s42
	s_cmp_lg_u32 s35, 0
	v_readfirstlane_b32 s35, v2
	s_subb_u32 s21, s41, s21
	s_delay_alu instid0(SALU_CYCLE_1) | instskip(SKIP_1) | instid1(VALU_DEP_1)
	s_cmp_ge_u32 s21, s37
	s_cselect_b32 s41, -1, 0
	s_cmp_ge_u32 s35, s36
	s_cselect_b32 s35, -1, 0
	s_cmp_eq_u32 s21, s37
	s_cselect_b32 s21, s35, s41
	s_delay_alu instid0(SALU_CYCLE_1) | instskip(SKIP_3) | instid1(SALU_CYCLE_1)
	s_cmp_lg_u32 s21, 0
	s_cselect_b32 s37, s40, s17
	s_cselect_b32 s36, s33, s7
	s_xor_b64 s[28:29], s[38:39], s[28:29]
	s_xor_b64 s[36:37], s[36:37], s[28:29]
	s_delay_alu instid0(SALU_CYCLE_1)
	s_sub_u32 s28, s36, s28
	s_subb_u32 s29, s37, s29
	s_and_not1_b32 vcc_lo, exec_lo, s34
	s_cbranch_vccnz .LBB15_7
.LBB15_6:
	v_cvt_f32_u32_e32 v2, s30
	s_sub_i32 s17, 0, s30
	s_mov_b32 s29, 0
	s_delay_alu instid0(VALU_DEP_1) | instskip(SKIP_2) | instid1(VALU_DEP_1)
	v_rcp_iflag_f32_e32 v2, v2
	s_waitcnt_depctr 0xfff
	v_mul_f32_e32 v2, 0x4f7ffffe, v2
	v_cvt_u32_f32_e32 v2, v2
	s_delay_alu instid0(VALU_DEP_1) | instskip(NEXT) | instid1(VALU_DEP_1)
	v_readfirstlane_b32 s7, v2
	s_mul_i32 s17, s17, s7
	s_delay_alu instid0(SALU_CYCLE_1) | instskip(NEXT) | instid1(SALU_CYCLE_1)
	s_mul_hi_u32 s17, s7, s17
	s_add_i32 s7, s7, s17
	s_delay_alu instid0(SALU_CYCLE_1) | instskip(NEXT) | instid1(SALU_CYCLE_1)
	s_mul_hi_u32 s7, s24, s7
	s_mul_i32 s17, s7, s30
	s_add_i32 s21, s7, 1
	s_sub_i32 s17, s24, s17
	s_delay_alu instid0(SALU_CYCLE_1)
	s_sub_i32 s28, s17, s30
	s_cmp_ge_u32 s17, s30
	s_cselect_b32 s7, s21, s7
	s_cselect_b32 s17, s28, s17
	s_add_i32 s21, s7, 1
	s_cmp_ge_u32 s17, s30
	s_cselect_b32 s28, s21, s7
.LBB15_7:
	s_delay_alu instid0(SALU_CYCLE_1)
	s_mul_i32 s7, s28, s31
	s_mul_hi_u32 s17, s28, s30
	s_mul_i32 s21, s28, s30
	s_add_i32 s7, s17, s7
	s_mul_i32 s17, s29, s30
	s_mul_hi_u32 s34, s28, s4
	s_add_i32 s7, s7, s17
	s_sub_u32 s17, s24, s21
	s_subb_u32 s33, s25, s7
	s_mul_i32 s35, s29, s4
	s_mul_i32 s30, s28, s4
	s_mul_hi_u32 s29, s17, s5
	s_mul_i32 s33, s33, s5
	s_mul_i32 s24, s17, s5
	s_mov_b32 s36, exec_lo
	v_cmpx_gt_i32_e64 s20, v1
	s_cbranch_execz .LBB15_10
; %bb.8:
	s_load_b64 s[38:39], s[0:1], 0x4
	s_load_b32 s0, s[2:3], 0x8c
	s_ashr_i32 s1, s4, 31
	s_lshl_b64 s[26:27], s[26:27], 1
	s_mul_hi_u32 s37, s8, s16
	s_mul_i32 s40, s8, s16
	s_ashr_i32 s21, s20, 31
	s_ashr_i32 s25, s5, 31
	;; [unrolled: 1-line block ×3, first 2 shown]
	s_mul_i32 s42, s28, s1
	s_mul_i32 s31, s9, s16
	v_bfe_u32 v5, v0, 10, 10
	s_mul_i32 s25, s17, s25
	v_bfe_u32 v0, v0, 20, 10
	v_lshlrev_b32_e32 v6, 2, v1
	s_waitcnt lgkmcnt(0)
	s_lshr_b32 s8, s38, 16
	s_and_b32 s1, s0, 0xffff
	s_add_u32 s0, s22, s26
	s_mul_i32 s26, s8, s39
	s_addc_u32 s23, s23, s27
	s_add_i32 s41, s37, s31
	v_mul_lo_u32 v7, s26, v1
	s_lshl_b64 s[26:27], s[40:41], 1
	v_add_co_u32 v2, s0, s0, v4
	s_lshl_b32 s22, s1, 1
	s_lshl_b64 s[8:9], s[20:21], 1
	v_add_co_ci_u32_e64 v3, null, s23, 0, s0
	s_add_u32 s0, s12, s26
	s_addc_u32 s13, s13, s27
	s_add_i32 s12, s34, s42
	s_add_i32 s21, s29, s25
	;; [unrolled: 1-line block ×4, first 2 shown]
	v_mad_u32_u24 v4, v5, s39, v7
	s_lshl_b64 s[26:27], s[30:31], 2
	s_lshl_b64 s[38:39], s[24:25], 2
	s_lshl_b32 s12, s1, 2
	s_add_u32 s21, s26, s38
	s_addc_u32 s23, s27, s39
	s_lshl_b64 s[26:27], s[6:7], 2
	v_add_lshl_u32 v0, v4, v0, 1
	v_lshlrev_b32_e32 v4, 3, v1
	s_add_u32 s7, s18, s26
	s_addc_u32 s25, s19, s27
	s_add_u32 s7, s7, s21
	s_addc_u32 s21, s25, s23
	v_add_co_u32 v7, s7, s7, v4
	s_delay_alu instid0(VALU_DEP_1) | instskip(SKIP_1) | instid1(VALU_DEP_3)
	v_add_co_ci_u32_e64 v9, null, s21, 0, s7
	v_add_co_u32 v4, s0, s0, v6
	v_add_co_u32 v6, vcc_lo, v7, 4
	v_add_nc_u32_e32 v8, 0x800, v0
	v_add_co_ci_u32_e64 v5, null, s13, 0, s0
	v_add_co_ci_u32_e32 v7, vcc_lo, 0, v9, vcc_lo
	v_mov_b32_e32 v9, v1
	s_mov_b32 s7, 0
	s_lshl_b32 s13, s1, 3
.LBB15_9:                               ; =>This Inner Loop Header: Depth=1
	v_add_co_u32 v10, vcc_lo, v2, s8
	v_add_co_ci_u32_e32 v11, vcc_lo, s9, v3, vcc_lo
	s_clause 0x1
	global_load_u16 v12, v[2:3], off
	global_load_u16 v10, v[10:11], off
	global_load_b32 v11, v[4:5], off
	s_waitcnt vmcnt(2)
	v_cvt_f32_f16_e32 v13, v12
	s_waitcnt vmcnt(1)
	v_cvt_f32_f16_e32 v16, v10
	s_waitcnt vmcnt(0)
	v_and_b32_e32 v14, 0xffff0000, v11
	v_cmp_o_f16_e32 vcc_lo, v12, v12
	v_bfe_u32 v15, v13, 16, 1
	s_delay_alu instid0(VALU_DEP_1) | instskip(SKIP_1) | instid1(VALU_DEP_2)
	v_add3_u32 v13, v13, v15, 0x7fff
	v_bfe_u32 v15, v16, 16, 1
	v_and_b32_e32 v13, 0xffff0000, v13
	v_lshlrev_b32_e32 v11, 16, v11
	s_delay_alu instid0(VALU_DEP_3) | instskip(NEXT) | instid1(VALU_DEP_3)
	v_add3_u32 v15, v16, v15, 0x7fff
	v_cndmask_b32_e32 v12, 0x7fc00000, v13, vcc_lo
	v_add_nc_u32_e32 v9, s1, v9
	s_delay_alu instid0(VALU_DEP_3) | instskip(SKIP_1) | instid1(VALU_DEP_4)
	v_and_b32_e32 v13, 0xffff0000, v15
	v_cmp_o_f16_e32 vcc_lo, v10, v10
	v_mul_f32_e32 v10, v12, v11
	s_delay_alu instid0(VALU_DEP_3) | instskip(NEXT) | instid1(VALU_DEP_2)
	v_dual_mul_f32 v12, v12, v14 :: v_dual_cndmask_b32 v13, 0x7fc00000, v13
	v_bfe_u32 v15, v10, 16, 1
	v_cmp_o_f32_e32 vcc_lo, v10, v10
	s_delay_alu instid0(VALU_DEP_3) | instskip(NEXT) | instid1(VALU_DEP_3)
	v_cmp_o_f32_e64 s0, v12, v12
	v_add3_u32 v15, v10, v15, 0x7fff
	s_delay_alu instid0(VALU_DEP_1) | instskip(NEXT) | instid1(VALU_DEP_1)
	v_dual_mul_f32 v14, v13, v14 :: v_dual_and_b32 v15, 0xffff0000, v15
	v_bfe_u32 v16, v14, 16, 1
	s_delay_alu instid0(VALU_DEP_2) | instskip(NEXT) | instid1(VALU_DEP_2)
	v_cndmask_b32_e32 v15, 0x7fc00000, v15, vcc_lo
	v_add3_u32 v16, v14, v16, 0x7fff
	v_mul_f32_e32 v11, v13, v11
	v_bfe_u32 v13, v12, 16, 1
	s_delay_alu instid0(VALU_DEP_3) | instskip(NEXT) | instid1(VALU_DEP_3)
	v_and_b32_e32 v10, 0xffff0000, v16
	v_bfe_u32 v17, v11, 16, 1
	s_delay_alu instid0(VALU_DEP_3) | instskip(SKIP_1) | instid1(VALU_DEP_3)
	v_add3_u32 v13, v12, v13, 0x7fff
	v_cmp_o_f32_e32 vcc_lo, v11, v11
	v_add3_u32 v17, v11, v17, 0x7fff
	s_delay_alu instid0(VALU_DEP_3) | instskip(NEXT) | instid1(VALU_DEP_1)
	v_and_b32_e32 v13, 0xffff0000, v13
	v_cndmask_b32_e64 v13, 0x7fc00000, v13, s0
	v_cmp_o_f32_e64 s0, v14, v14
	s_delay_alu instid0(VALU_DEP_4) | instskip(NEXT) | instid1(VALU_DEP_2)
	v_and_b32_e32 v12, 0xffff0000, v17
	v_cndmask_b32_e64 v10, 0x7fc00000, v10, s0
	s_delay_alu instid0(VALU_DEP_1) | instskip(NEXT) | instid1(VALU_DEP_1)
	v_dual_cndmask_b32 v11, 0x7fc00000, v12 :: v_dual_sub_f32 v10, v15, v10
	v_add_f32_e32 v11, v13, v11
	s_delay_alu instid0(VALU_DEP_2) | instskip(NEXT) | instid1(VALU_DEP_2)
	v_bfe_u32 v12, v10, 16, 1
	v_bfe_u32 v13, v11, 16, 1
	v_cmp_o_f32_e64 s0, v10, v10
	v_cmp_o_f32_e32 vcc_lo, v11, v11
	s_delay_alu instid0(VALU_DEP_4) | instskip(NEXT) | instid1(VALU_DEP_4)
	v_add3_u32 v12, v10, v12, 0x7fff
	v_add3_u32 v13, v11, v13, 0x7fff
	s_delay_alu instid0(VALU_DEP_2) | instskip(NEXT) | instid1(VALU_DEP_2)
	v_lshrrev_b32_e32 v12, 16, v12
	v_lshrrev_b32_e32 v13, 16, v13
	s_delay_alu instid0(VALU_DEP_2) | instskip(NEXT) | instid1(VALU_DEP_2)
	v_cndmask_b32_e64 v12, 0x7fc0, v12, s0
	v_cndmask_b32_e32 v13, 0x7fc0, v13, vcc_lo
	ds_store_b16 v8, v12
	ds_store_b16 v0, v13
	ds_load_b32 v10, v8
	ds_load_b32 v11, v0
	v_perm_b32 v12, v13, v12, 0x5040100
	v_add_co_u32 v2, vcc_lo, v2, s22
	v_add_co_ci_u32_e32 v3, vcc_lo, 0, v3, vcc_lo
	global_store_b32 v[4:5], v12, off
	v_add_co_u32 v4, s0, v4, s12
	s_delay_alu instid0(VALU_DEP_1)
	v_add_co_ci_u32_e64 v5, s0, 0, v5, s0
	v_cmp_le_i32_e32 vcc_lo, s20, v9
	s_or_b32 s7, vcc_lo, s7
	s_waitcnt lgkmcnt(0)
	global_store_b64 v[6:7], v[10:11], off offset:-4
	v_add_co_u32 v6, s0, v6, s13
	s_delay_alu instid0(VALU_DEP_1)
	v_add_co_ci_u32_e64 v7, s0, 0, v7, s0
	s_and_not1_b32 exec_lo, exec_lo, s7
	s_cbranch_execnz .LBB15_9
.LBB15_10:
	s_or_b32 exec_lo, exec_lo, s36
	s_delay_alu instid0(SALU_CYCLE_1)
	s_mov_b32 s0, exec_lo
	v_cmpx_gt_i32_e64 s6, v1
	s_cbranch_execz .LBB15_13
; %bb.11:
	s_mul_i32 s1, s16, s11
	s_mul_hi_u32 s7, s16, s10
	s_mul_i32 s0, s16, s10
	s_add_i32 s1, s7, s1
	s_delay_alu instid0(SALU_CYCLE_1) | instskip(NEXT) | instid1(SALU_CYCLE_1)
	s_lshl_b64 s[8:9], s[0:1], 1
	s_add_u32 s1, s14, s8
	s_addc_u32 s7, s15, s9
	s_ashr_i32 s0, s4, 31
	s_load_b32 s4, s[2:3], 0x8c
	s_mul_i32 s0, s28, s0
	s_delay_alu instid0(SALU_CYCLE_1) | instskip(NEXT) | instid1(SALU_CYCLE_1)
	s_add_i32 s0, s34, s0
	s_add_i32 s31, s0, s35
	s_delay_alu instid0(SALU_CYCLE_1) | instskip(NEXT) | instid1(SALU_CYCLE_1)
	s_lshl_b64 s[2:3], s[30:31], 2
	s_add_u32 s0, s18, s2
	s_addc_u32 s8, s19, s3
	s_ashr_i32 s2, s5, 31
	s_mov_b32 s5, 0
	s_mul_i32 s17, s17, s2
	s_delay_alu instid0(SALU_CYCLE_1) | instskip(NEXT) | instid1(SALU_CYCLE_1)
	s_add_i32 s2, s29, s17
	s_add_i32 s25, s2, s33
	s_delay_alu instid0(SALU_CYCLE_1) | instskip(NEXT) | instid1(SALU_CYCLE_1)
	s_lshl_b64 s[2:3], s[24:25], 2
	s_add_u32 s2, s0, s2
	s_addc_u32 s3, s8, s3
	s_waitcnt lgkmcnt(0)
	s_and_b32 s4, s4, 0xffff
	.p2align	6
.LBB15_12:                              ; =>This Inner Loop Header: Depth=1
	v_ashrrev_i32_e32 v2, 31, v1
	s_delay_alu instid0(VALU_DEP_1) | instskip(NEXT) | instid1(VALU_DEP_1)
	v_lshlrev_b64 v[3:4], 1, v[1:2]
	v_add_co_u32 v3, vcc_lo, s1, v3
	s_delay_alu instid0(VALU_DEP_2) | instskip(SKIP_3) | instid1(VALU_DEP_1)
	v_add_co_ci_u32_e32 v4, vcc_lo, s7, v4, vcc_lo
	global_load_b32 v0, v[3:4], off
	v_lshlrev_b64 v[2:3], 2, v[1:2]
	v_add_nc_u32_e32 v1, s4, v1
	v_cmp_le_i32_e32 vcc_lo, s6, v1
	s_delay_alu instid0(VALU_DEP_3) | instskip(NEXT) | instid1(VALU_DEP_1)
	v_add_co_u32 v2, s0, s2, v2
	v_add_co_ci_u32_e64 v3, s0, s3, v3, s0
	s_or_b32 s5, vcc_lo, s5
	s_waitcnt vmcnt(0)
	global_store_b32 v[2:3], v0, off
	s_and_not1_b32 exec_lo, exec_lo, s5
	s_cbranch_execnz .LBB15_12
.LBB15_13:
	s_nop 0
	s_sendmsg sendmsg(MSG_DEALLOC_VGPRS)
	s_endpgm
.LBB15_14:
                                        ; implicit-def: $sgpr28_sgpr29
	s_branch .LBB15_6
	.section	.rodata,"a",@progbits
	.p2align	6, 0x0
	.amdhsa_kernel _ZN4vllm38concat_and_cache_mla_rope_fused_kernelIN3c108BFloat16ENS1_4HalfELb0EffLNS_18Fp8KVCacheDataTypeE0EEEvPKlPT_S8_PKS7_PKT0_illlliPT3_S6_iiiiPKf
		.amdhsa_group_segment_fixed_size 4096
		.amdhsa_private_segment_fixed_size 0
		.amdhsa_kernarg_size 384
		.amdhsa_user_sgpr_count 15
		.amdhsa_user_sgpr_dispatch_ptr 1
		.amdhsa_user_sgpr_queue_ptr 0
		.amdhsa_user_sgpr_kernarg_segment_ptr 1
		.amdhsa_user_sgpr_dispatch_id 0
		.amdhsa_user_sgpr_private_segment_size 0
		.amdhsa_wavefront_size32 1
		.amdhsa_uses_dynamic_stack 0
		.amdhsa_enable_private_segment 0
		.amdhsa_system_sgpr_workgroup_id_x 1
		.amdhsa_system_sgpr_workgroup_id_y 0
		.amdhsa_system_sgpr_workgroup_id_z 0
		.amdhsa_system_sgpr_workgroup_info 0
		.amdhsa_system_vgpr_workitem_id 2
		.amdhsa_next_free_vgpr 18
		.amdhsa_next_free_sgpr 45
		.amdhsa_reserve_vcc 1
		.amdhsa_float_round_mode_32 0
		.amdhsa_float_round_mode_16_64 0
		.amdhsa_float_denorm_mode_32 3
		.amdhsa_float_denorm_mode_16_64 3
		.amdhsa_dx10_clamp 1
		.amdhsa_ieee_mode 1
		.amdhsa_fp16_overflow 0
		.amdhsa_workgroup_processor_mode 1
		.amdhsa_memory_ordered 1
		.amdhsa_forward_progress 0
		.amdhsa_shared_vgpr_count 0
		.amdhsa_exception_fp_ieee_invalid_op 0
		.amdhsa_exception_fp_denorm_src 0
		.amdhsa_exception_fp_ieee_div_zero 0
		.amdhsa_exception_fp_ieee_overflow 0
		.amdhsa_exception_fp_ieee_underflow 0
		.amdhsa_exception_fp_ieee_inexact 0
		.amdhsa_exception_int_div_zero 0
	.end_amdhsa_kernel
	.section	.text._ZN4vllm38concat_and_cache_mla_rope_fused_kernelIN3c108BFloat16ENS1_4HalfELb0EffLNS_18Fp8KVCacheDataTypeE0EEEvPKlPT_S8_PKS7_PKT0_illlliPT3_S6_iiiiPKf,"axG",@progbits,_ZN4vllm38concat_and_cache_mla_rope_fused_kernelIN3c108BFloat16ENS1_4HalfELb0EffLNS_18Fp8KVCacheDataTypeE0EEEvPKlPT_S8_PKS7_PKT0_illlliPT3_S6_iiiiPKf,comdat
.Lfunc_end15:
	.size	_ZN4vllm38concat_and_cache_mla_rope_fused_kernelIN3c108BFloat16ENS1_4HalfELb0EffLNS_18Fp8KVCacheDataTypeE0EEEvPKlPT_S8_PKS7_PKT0_illlliPT3_S6_iiiiPKf, .Lfunc_end15-_ZN4vllm38concat_and_cache_mla_rope_fused_kernelIN3c108BFloat16ENS1_4HalfELb0EffLNS_18Fp8KVCacheDataTypeE0EEEvPKlPT_S8_PKS7_PKT0_illlliPT3_S6_iiiiPKf
                                        ; -- End function
	.section	.AMDGPU.csdata,"",@progbits
; Kernel info:
; codeLenInByte = 3224
; NumSgprs: 47
; NumVgprs: 18
; ScratchSize: 0
; MemoryBound: 0
; FloatMode: 240
; IeeeMode: 1
; LDSByteSize: 4096 bytes/workgroup (compile time only)
; SGPRBlocks: 5
; VGPRBlocks: 2
; NumSGPRsForWavesPerEU: 47
; NumVGPRsForWavesPerEU: 18
; Occupancy: 16
; WaveLimiterHint : 1
; COMPUTE_PGM_RSRC2:SCRATCH_EN: 0
; COMPUTE_PGM_RSRC2:USER_SGPR: 15
; COMPUTE_PGM_RSRC2:TRAP_HANDLER: 0
; COMPUTE_PGM_RSRC2:TGID_X_EN: 1
; COMPUTE_PGM_RSRC2:TGID_Y_EN: 0
; COMPUTE_PGM_RSRC2:TGID_Z_EN: 0
; COMPUTE_PGM_RSRC2:TIDIG_COMP_CNT: 2
	.section	.text._ZN4vllm38concat_and_cache_mla_rope_fused_kernelIN3c108BFloat16ES2_Lb1EffLNS_18Fp8KVCacheDataTypeE0EEEvPKlPT_S7_PKS6_PKT0_illlliPT3_S5_iiiiPKf,"axG",@progbits,_ZN4vllm38concat_and_cache_mla_rope_fused_kernelIN3c108BFloat16ES2_Lb1EffLNS_18Fp8KVCacheDataTypeE0EEEvPKlPT_S7_PKS6_PKT0_illlliPT3_S5_iiiiPKf,comdat
	.protected	_ZN4vllm38concat_and_cache_mla_rope_fused_kernelIN3c108BFloat16ES2_Lb1EffLNS_18Fp8KVCacheDataTypeE0EEEvPKlPT_S7_PKS6_PKT0_illlliPT3_S5_iiiiPKf ; -- Begin function _ZN4vllm38concat_and_cache_mla_rope_fused_kernelIN3c108BFloat16ES2_Lb1EffLNS_18Fp8KVCacheDataTypeE0EEEvPKlPT_S7_PKS6_PKT0_illlliPT3_S5_iiiiPKf
	.globl	_ZN4vllm38concat_and_cache_mla_rope_fused_kernelIN3c108BFloat16ES2_Lb1EffLNS_18Fp8KVCacheDataTypeE0EEEvPKlPT_S7_PKS6_PKT0_illlliPT3_S5_iiiiPKf
	.p2align	8
	.type	_ZN4vllm38concat_and_cache_mla_rope_fused_kernelIN3c108BFloat16ES2_Lb1EffLNS_18Fp8KVCacheDataTypeE0EEEvPKlPT_S7_PKS6_PKT0_illlliPT3_S5_iiiiPKf,@function
_ZN4vllm38concat_and_cache_mla_rope_fused_kernelIN3c108BFloat16ES2_Lb1EffLNS_18Fp8KVCacheDataTypeE0EEEvPKlPT_S7_PKS6_PKT0_illlliPT3_S5_iiiiPKf: ; @_ZN4vllm38concat_and_cache_mla_rope_fused_kernelIN3c108BFloat16ES2_Lb1EffLNS_18Fp8KVCacheDataTypeE0EEEvPKlPT_S7_PKS6_PKT0_illlliPT3_S5_iiiiPKf
; %bb.0:
	s_load_b64 s[6:7], s[2:3], 0x60
	s_mov_b32 s20, s15
	s_mov_b32 s21, 0
	s_delay_alu instid0(SALU_CYCLE_1)
	s_lshl_b64 s[4:5], s[20:21], 3
	s_waitcnt lgkmcnt(0)
	s_add_u32 s6, s6, s4
	s_addc_u32 s7, s7, s5
	s_load_b64 s[30:31], s[6:7], 0x0
	s_waitcnt lgkmcnt(0)
	v_cmp_lt_i64_e64 s6, s[30:31], 0
	s_delay_alu instid0(VALU_DEP_1)
	s_and_b32 vcc_lo, exec_lo, s6
	s_cbranch_vccnz .LBB16_13
; %bb.1:
	s_clause 0x2
	s_load_b32 s18, s[2:3], 0x28
	s_load_b64 s[6:7], s[2:3], 0x0
	s_load_b128 s[12:15], s[2:3], 0x10
	v_and_b32_e32 v1, 0x3ff, v0
	s_waitcnt lgkmcnt(0)
	s_ashr_i32 s19, s18, 31
	s_add_u32 s4, s6, s4
	s_addc_u32 s5, s7, s5
	s_load_b64 s[16:17], s[4:5], 0x0
	s_clause 0x3
	s_load_b64 s[26:27], s[2:3], 0x20
	s_load_b32 s25, s[2:3], 0x50
	s_load_b64 s[22:23], s[2:3], 0x58
	s_load_b256 s[4:11], s[2:3], 0x30
	s_waitcnt lgkmcnt(0)
	s_mul_i32 s19, s16, s19
	s_mul_hi_u32 s21, s16, s18
	s_mul_i32 s17, s17, s18
	s_add_i32 s19, s21, s19
	s_mul_i32 s16, s16, s18
	s_add_i32 s17, s19, s17
	s_mov_b32 s19, exec_lo
	s_lshl_b64 s[28:29], s[16:17], 1
	s_delay_alu instid0(SALU_CYCLE_1) | instskip(SKIP_2) | instid1(SALU_CYCLE_1)
	s_add_u32 s21, s26, s28
	s_addc_u32 s33, s27, s29
	s_lshr_b32 s16, s18, 31
	s_add_i32 s18, s18, s16
	s_delay_alu instid0(SALU_CYCLE_1) | instskip(NEXT) | instid1(SALU_CYCLE_1)
	s_ashr_i32 s24, s18, 1
	s_mul_i32 s18, s24, s25
	s_delay_alu instid0(SALU_CYCLE_1)
	v_cmpx_gt_i32_e64 s18, v1
	s_cbranch_execz .LBB16_4
; %bb.2:
	s_clause 0x1
	s_load_b64 s[16:17], s[2:3], 0x8
	s_load_b32 s37, s[2:3], 0x8c
	s_mul_i32 s5, s20, s5
	s_mul_hi_u32 s25, s20, s4
	s_mul_i32 s4, s20, s4
	s_add_i32 s5, s25, s5
	s_ashr_i32 s25, s24, 31
	s_lshl_b64 s[4:5], s[4:5], 1
	s_mov_b32 s38, 0
	s_waitcnt lgkmcnt(0)
	s_add_u32 s34, s16, s4
	s_addc_u32 s35, s17, s5
	s_abs_i32 s36, s24
	s_and_b32 s37, s37, 0xffff
	v_cvt_f32_u32_e32 v2, s36
	s_sub_i32 s4, 0, s36
	s_sub_i32 s39, 0, s24
	s_lshl_b64 s[16:17], s[24:25], 1
	s_delay_alu instid0(VALU_DEP_1) | instskip(SKIP_2) | instid1(VALU_DEP_1)
	v_rcp_iflag_f32_e32 v2, v2
	s_waitcnt_depctr 0xfff
	v_mul_f32_e32 v2, 0x4f7ffffe, v2
	v_cvt_u32_f32_e32 v2, v2
	s_delay_alu instid0(VALU_DEP_1) | instskip(NEXT) | instid1(VALU_DEP_1)
	v_mul_lo_u32 v3, s4, v2
	v_mul_hi_u32 v3, v2, v3
	s_delay_alu instid0(VALU_DEP_1)
	v_dual_mov_b32 v2, v1 :: v_dual_add_nc_u32 v3, v2, v3
.LBB16_3:                               ; =>This Inner Loop Header: Depth=1
	s_delay_alu instid0(VALU_DEP_1) | instskip(SKIP_1) | instid1(VALU_DEP_2)
	v_sub_nc_u32_e32 v4, 0, v2
	v_ashrrev_i32_e32 v5, 31, v2
	v_max_i32_e32 v4, v2, v4
	s_delay_alu instid0(VALU_DEP_2) | instskip(NEXT) | instid1(VALU_DEP_2)
	v_xor_b32_e32 v5, s25, v5
	v_mul_hi_u32 v6, v4, v3
	s_delay_alu instid0(VALU_DEP_1) | instskip(SKIP_1) | instid1(VALU_DEP_2)
	v_mul_lo_u32 v7, v6, s36
	v_add_nc_u32_e32 v8, 1, v6
	v_sub_nc_u32_e32 v4, v4, v7
	s_delay_alu instid0(VALU_DEP_1) | instskip(SKIP_1) | instid1(VALU_DEP_4)
	v_subrev_nc_u32_e32 v7, s36, v4
	v_cmp_le_u32_e32 vcc_lo, s36, v4
	v_cndmask_b32_e32 v6, v6, v8, vcc_lo
	s_delay_alu instid0(VALU_DEP_1) | instskip(NEXT) | instid1(VALU_DEP_1)
	v_dual_cndmask_b32 v4, v4, v7 :: v_dual_add_nc_u32 v7, 1, v6
	v_cmp_le_u32_e32 vcc_lo, s36, v4
	s_delay_alu instid0(VALU_DEP_2) | instskip(NEXT) | instid1(VALU_DEP_1)
	v_cndmask_b32_e32 v4, v6, v7, vcc_lo
	v_xor_b32_e32 v4, v4, v5
	s_delay_alu instid0(VALU_DEP_1) | instskip(NEXT) | instid1(VALU_DEP_1)
	v_sub_nc_u32_e32 v8, v4, v5
	v_mad_u64_u32 v[4:5], null, s39, v8, v[2:3]
	v_ashrrev_i32_e32 v9, 31, v8
	v_mul_lo_u32 v10, v8, s7
	v_mad_u64_u32 v[6:7], null, v8, s6, 0
	v_add_nc_u32_e32 v2, s37, v2
	s_delay_alu instid0(VALU_DEP_4) | instskip(SKIP_1) | instid1(VALU_DEP_1)
	v_mul_lo_u32 v8, v9, s6
	v_ashrrev_i32_e32 v5, 31, v4
	v_lshlrev_b64 v[4:5], 1, v[4:5]
	s_delay_alu instid0(VALU_DEP_3) | instskip(NEXT) | instid1(VALU_DEP_2)
	v_add3_u32 v7, v7, v10, v8
	v_add_co_u32 v8, vcc_lo, s21, v4
	s_delay_alu instid0(VALU_DEP_2) | instskip(NEXT) | instid1(VALU_DEP_4)
	v_lshlrev_b64 v[6:7], 1, v[6:7]
	v_add_co_ci_u32_e32 v9, vcc_lo, s33, v5, vcc_lo
	s_delay_alu instid0(VALU_DEP_3) | instskip(NEXT) | instid1(VALU_DEP_2)
	v_add_co_u32 v10, vcc_lo, v8, s16
	v_add_co_ci_u32_e32 v11, vcc_lo, s17, v9, vcc_lo
	s_delay_alu instid0(VALU_DEP_4)
	v_add_co_u32 v6, vcc_lo, s34, v6
	v_add_co_ci_u32_e32 v7, vcc_lo, s35, v7, vcc_lo
	global_load_u16 v8, v[8:9], off
	v_add_co_u32 v4, vcc_lo, v6, v4
	v_add_co_ci_u32_e32 v5, vcc_lo, v7, v5, vcc_lo
	global_load_u16 v9, v[10:11], off
	v_add_co_u32 v6, vcc_lo, v4, s16
	v_add_co_ci_u32_e32 v7, vcc_lo, s17, v5, vcc_lo
	s_clause 0x1
	global_load_u16 v10, v[4:5], off
	global_load_u16 v11, v[6:7], off
	s_waitcnt vmcnt(3)
	v_lshlrev_b32_e32 v8, 16, v8
	s_waitcnt vmcnt(2)
	v_lshlrev_b32_e32 v9, 16, v9
	;; [unrolled: 2-line block ×3, first 2 shown]
	s_waitcnt vmcnt(0)
	s_delay_alu instid0(VALU_DEP_1) | instskip(SKIP_1) | instid1(VALU_DEP_2)
	v_dual_mul_f32 v12, v8, v10 :: v_dual_lshlrev_b32 v11, 16, v11
	v_mul_f32_e32 v10, v9, v10
	v_mul_f32_e32 v9, v9, v11
	v_mul_f32_e32 v8, v8, v11
	s_delay_alu instid0(VALU_DEP_4) | instskip(NEXT) | instid1(VALU_DEP_4)
	v_bfe_u32 v13, v12, 16, 1
	v_bfe_u32 v11, v10, 16, 1
	s_delay_alu instid0(VALU_DEP_4) | instskip(NEXT) | instid1(VALU_DEP_4)
	v_bfe_u32 v14, v9, 16, 1
	v_bfe_u32 v15, v8, 16, 1
	v_cmp_o_f32_e64 s4, v12, v12
	v_add3_u32 v13, v12, v13, 0x7fff
	v_add3_u32 v11, v10, v11, 0x7fff
	;; [unrolled: 1-line block ×4, first 2 shown]
	s_delay_alu instid0(VALU_DEP_4) | instskip(NEXT) | instid1(VALU_DEP_4)
	v_and_b32_e32 v13, 0xffff0000, v13
	v_and_b32_e32 v11, 0xffff0000, v11
	v_cmp_o_f32_e32 vcc_lo, v10, v10
	v_and_b32_e32 v10, 0xffff0000, v14
	s_delay_alu instid0(VALU_DEP_4) | instskip(SKIP_3) | instid1(VALU_DEP_3)
	v_cndmask_b32_e64 v12, 0x7fc00000, v13, s4
	v_cmp_o_f32_e64 s4, v9, v9
	v_cndmask_b32_e32 v11, 0x7fc00000, v11, vcc_lo
	v_cmp_o_f32_e32 vcc_lo, v8, v8
	v_cndmask_b32_e64 v8, 0x7fc00000, v10, s4
	s_delay_alu instid0(VALU_DEP_1) | instskip(NEXT) | instid1(VALU_DEP_1)
	v_dual_sub_f32 v8, v12, v8 :: v_dual_and_b32 v13, 0xffff0000, v15
	v_cndmask_b32_e32 v9, 0x7fc00000, v13, vcc_lo
	v_cmp_le_i32_e32 vcc_lo, s18, v2
	s_delay_alu instid0(VALU_DEP_3) | instskip(NEXT) | instid1(VALU_DEP_3)
	v_bfe_u32 v10, v8, 16, 1
	v_add_f32_e32 v9, v11, v9
	v_cmp_o_f32_e64 s5, v8, v8
	s_or_b32 s38, vcc_lo, s38
	s_delay_alu instid0(VALU_DEP_3) | instskip(NEXT) | instid1(VALU_DEP_3)
	v_add3_u32 v10, v8, v10, 0x7fff
	v_bfe_u32 v11, v9, 16, 1
	v_cmp_o_f32_e64 s4, v9, v9
	s_delay_alu instid0(VALU_DEP_3) | instskip(NEXT) | instid1(VALU_DEP_3)
	v_lshrrev_b32_e32 v10, 16, v10
	v_add3_u32 v11, v9, v11, 0x7fff
	s_delay_alu instid0(VALU_DEP_2) | instskip(NEXT) | instid1(VALU_DEP_2)
	v_cndmask_b32_e64 v8, 0x7fc0, v10, s5
	v_lshrrev_b32_e32 v11, 16, v11
	s_delay_alu instid0(VALU_DEP_1)
	v_cndmask_b32_e64 v9, 0x7fc0, v11, s4
	s_clause 0x1
	global_store_b16 v[4:5], v8, off
	global_store_b16 v[6:7], v9, off
	s_and_not1_b32 exec_lo, exec_lo, s38
	s_cbranch_execnz .LBB16_3
.LBB16_4:
	s_or_b32 exec_lo, exec_lo, s19
	s_load_b128 s[16:19], s[2:3], 0x68
	s_waitcnt lgkmcnt(0)
	s_ashr_i32 s5, s19, 31
	s_mov_b32 s4, s19
	s_delay_alu instid0(SALU_CYCLE_1) | instskip(SKIP_1) | instid1(SALU_CYCLE_1)
	s_or_b64 s[34:35], s[30:31], s[4:5]
	s_mov_b32 s34, 0
	s_cmp_lg_u64 s[34:35], 0
	s_cbranch_scc0 .LBB16_14
; %bb.5:
	s_add_u32 s36, s4, s5
	s_mov_b32 s6, s5
	s_mov_b32 s7, s5
	s_addc_u32 s37, s5, s5
	s_delay_alu instid0(SALU_CYCLE_1) | instskip(NEXT) | instid1(SALU_CYCLE_1)
	s_xor_b64 s[36:37], s[36:37], s[6:7]
	v_cvt_f32_u32_e32 v2, s36
	v_cvt_f32_u32_e32 v3, s37
	s_sub_u32 s35, 0, s36
	s_subb_u32 s38, 0, s37
	s_delay_alu instid0(VALU_DEP_1) | instskip(NEXT) | instid1(VALU_DEP_1)
	v_fmamk_f32 v2, v3, 0x4f800000, v2
	v_rcp_f32_e32 v2, v2
	s_waitcnt_depctr 0xfff
	v_mul_f32_e32 v2, 0x5f7ffffc, v2
	s_delay_alu instid0(VALU_DEP_1) | instskip(NEXT) | instid1(VALU_DEP_1)
	v_mul_f32_e32 v3, 0x2f800000, v2
	v_trunc_f32_e32 v3, v3
	s_delay_alu instid0(VALU_DEP_1) | instskip(SKIP_1) | instid1(VALU_DEP_2)
	v_fmamk_f32 v2, v3, 0xcf800000, v2
	v_cvt_u32_f32_e32 v3, v3
	v_cvt_u32_f32_e32 v2, v2
	s_delay_alu instid0(VALU_DEP_2) | instskip(NEXT) | instid1(VALU_DEP_2)
	v_readfirstlane_b32 s19, v3
	v_readfirstlane_b32 s25, v2
	s_delay_alu instid0(VALU_DEP_2) | instskip(NEXT) | instid1(VALU_DEP_1)
	s_mul_i32 s39, s35, s19
	s_mul_hi_u32 s41, s35, s25
	s_mul_i32 s40, s38, s25
	s_add_i32 s39, s41, s39
	s_mul_i32 s42, s35, s25
	s_add_i32 s39, s39, s40
	s_mul_hi_u32 s41, s25, s42
	s_mul_hi_u32 s43, s19, s42
	s_mul_i32 s40, s19, s42
	s_mul_hi_u32 s42, s25, s39
	s_mul_i32 s25, s25, s39
	s_mul_hi_u32 s44, s19, s39
	s_add_u32 s25, s41, s25
	s_addc_u32 s41, 0, s42
	s_add_u32 s25, s25, s40
	s_mul_i32 s39, s19, s39
	s_addc_u32 s25, s41, s43
	s_addc_u32 s40, s44, 0
	s_add_u32 s25, s25, s39
	s_addc_u32 s39, 0, s40
	v_add_co_u32 v2, s25, v2, s25
	s_delay_alu instid0(VALU_DEP_1) | instskip(SKIP_1) | instid1(VALU_DEP_1)
	s_cmp_lg_u32 s25, 0
	s_addc_u32 s19, s19, s39
	v_readfirstlane_b32 s25, v2
	s_mul_i32 s39, s35, s19
	s_delay_alu instid0(VALU_DEP_1)
	s_mul_hi_u32 s40, s35, s25
	s_mul_i32 s38, s38, s25
	s_add_i32 s39, s40, s39
	s_mul_i32 s35, s35, s25
	s_add_i32 s39, s39, s38
	s_mul_hi_u32 s40, s19, s35
	s_mul_i32 s41, s19, s35
	s_mul_hi_u32 s35, s25, s35
	s_mul_hi_u32 s42, s25, s39
	s_mul_i32 s25, s25, s39
	s_mul_hi_u32 s38, s19, s39
	s_add_u32 s25, s35, s25
	s_addc_u32 s35, 0, s42
	s_add_u32 s25, s25, s41
	s_mul_i32 s39, s19, s39
	s_addc_u32 s25, s35, s40
	s_addc_u32 s35, s38, 0
	s_add_u32 s25, s25, s39
	s_addc_u32 s35, 0, s35
	v_add_co_u32 v2, s25, v2, s25
	s_delay_alu instid0(VALU_DEP_1) | instskip(SKIP_2) | instid1(VALU_DEP_1)
	s_cmp_lg_u32 s25, 0
	s_addc_u32 s19, s19, s35
	s_ashr_i32 s38, s31, 31
	v_readfirstlane_b32 s25, v2
	s_add_u32 s40, s30, s38
	s_mov_b32 s39, s38
	s_addc_u32 s41, s31, s38
	s_delay_alu instid0(SALU_CYCLE_1) | instskip(NEXT) | instid1(SALU_CYCLE_1)
	s_xor_b64 s[40:41], s[40:41], s[38:39]
	s_mul_i32 s42, s40, s19
	s_mul_hi_u32 s43, s40, s25
	s_mul_hi_u32 s35, s40, s19
	;; [unrolled: 1-line block ×3, first 2 shown]
	s_mul_i32 s25, s41, s25
	s_add_u32 s42, s43, s42
	s_addc_u32 s35, 0, s35
	s_mul_hi_u32 s44, s41, s19
	s_add_u32 s25, s42, s25
	s_mul_i32 s19, s41, s19
	s_addc_u32 s25, s35, s45
	s_addc_u32 s35, s44, 0
	s_add_u32 s19, s25, s19
	s_addc_u32 s25, 0, s35
	s_mul_i32 s44, s36, s19
	s_mul_hi_u32 s35, s36, s19
	s_mul_i32 s43, s36, s25
	v_sub_co_u32 v2, s40, s40, s44
	s_mul_i32 s42, s37, s19
	s_add_i32 s35, s35, s43
	s_delay_alu instid0(SALU_CYCLE_1) | instskip(NEXT) | instid1(VALU_DEP_1)
	s_add_i32 s35, s35, s42
	v_sub_co_u32 v3, s43, v2, s36
	s_sub_i32 s42, s41, s35
	s_cmp_lg_u32 s40, 0
	s_subb_u32 s42, s42, s37
	s_cmp_lg_u32 s43, 0
	v_readfirstlane_b32 s43, v3
	s_subb_u32 s42, s42, 0
	s_delay_alu instid0(SALU_CYCLE_1) | instskip(SKIP_1) | instid1(VALU_DEP_1)
	s_cmp_ge_u32 s42, s37
	s_cselect_b32 s44, -1, 0
	s_cmp_ge_u32 s43, s36
	s_cselect_b32 s43, -1, 0
	s_cmp_eq_u32 s42, s37
	s_cselect_b32 s42, s43, s44
	s_add_u32 s43, s19, 1
	s_addc_u32 s44, s25, 0
	s_add_u32 s45, s19, 2
	s_addc_u32 s46, s25, 0
	s_cmp_lg_u32 s42, 0
	s_cselect_b32 s42, s45, s43
	s_cselect_b32 s43, s46, s44
	s_cmp_lg_u32 s40, 0
	v_readfirstlane_b32 s40, v2
	s_subb_u32 s35, s41, s35
	s_delay_alu instid0(SALU_CYCLE_1) | instskip(SKIP_1) | instid1(VALU_DEP_1)
	s_cmp_ge_u32 s35, s37
	s_cselect_b32 s41, -1, 0
	s_cmp_ge_u32 s40, s36
	s_cselect_b32 s36, -1, 0
	s_cmp_eq_u32 s35, s37
	s_cselect_b32 s35, s36, s41
	s_delay_alu instid0(SALU_CYCLE_1) | instskip(SKIP_3) | instid1(SALU_CYCLE_1)
	s_cmp_lg_u32 s35, 0
	s_cselect_b32 s37, s43, s25
	s_cselect_b32 s36, s42, s19
	s_xor_b64 s[6:7], s[38:39], s[6:7]
	s_xor_b64 s[36:37], s[36:37], s[6:7]
	s_delay_alu instid0(SALU_CYCLE_1)
	s_sub_u32 s6, s36, s6
	s_subb_u32 s7, s37, s7
	s_and_not1_b32 vcc_lo, exec_lo, s34
	s_cbranch_vccnz .LBB16_7
.LBB16_6:
	v_cvt_f32_u32_e32 v2, s4
	s_sub_i32 s7, 0, s4
	s_delay_alu instid0(VALU_DEP_1) | instskip(SKIP_2) | instid1(VALU_DEP_1)
	v_rcp_iflag_f32_e32 v2, v2
	s_waitcnt_depctr 0xfff
	v_mul_f32_e32 v2, 0x4f7ffffe, v2
	v_cvt_u32_f32_e32 v2, v2
	s_delay_alu instid0(VALU_DEP_1) | instskip(NEXT) | instid1(VALU_DEP_1)
	v_readfirstlane_b32 s6, v2
	s_mul_i32 s7, s7, s6
	s_delay_alu instid0(SALU_CYCLE_1) | instskip(NEXT) | instid1(SALU_CYCLE_1)
	s_mul_hi_u32 s7, s6, s7
	s_add_i32 s6, s6, s7
	s_delay_alu instid0(SALU_CYCLE_1) | instskip(NEXT) | instid1(SALU_CYCLE_1)
	s_mul_hi_u32 s6, s30, s6
	s_mul_i32 s7, s6, s4
	s_add_i32 s19, s6, 1
	s_sub_i32 s7, s30, s7
	s_delay_alu instid0(SALU_CYCLE_1)
	s_sub_i32 s25, s7, s4
	s_cmp_ge_u32 s7, s4
	s_cselect_b32 s6, s19, s6
	s_cselect_b32 s7, s25, s7
	s_add_i32 s19, s6, 1
	s_cmp_ge_u32 s7, s4
	s_mov_b32 s7, 0
	s_cselect_b32 s6, s19, s6
.LBB16_7:
	s_delay_alu instid0(SALU_CYCLE_1)
	s_mul_i32 s5, s6, s5
	s_mul_hi_u32 s19, s6, s4
	s_mul_hi_u32 s37, s6, s16
	s_add_i32 s5, s19, s5
	s_mul_i32 s19, s7, s4
	s_mul_i32 s4, s6, s4
	s_add_i32 s19, s5, s19
	s_sub_u32 s5, s30, s4
	s_subb_u32 s36, s31, s19
	s_mul_i32 s38, s7, s16
	s_mul_i32 s34, s6, s16
	s_mul_hi_u32 s7, s5, s17
	s_mul_i32 s36, s36, s17
	s_mul_i32 s30, s5, s17
	s_mov_b32 s39, exec_lo
	v_cmpx_gt_i32_e64 s24, v1
	s_cbranch_execz .LBB16_10
; %bb.8:
	s_load_b64 s[0:1], s[0:1], 0x4
	s_load_b32 s4, s[2:3], 0x8c
	s_mul_i32 s9, s20, s9
	s_mul_hi_u32 s19, s20, s8
	s_mul_i32 s8, s20, s8
	s_add_i32 s9, s19, s9
	s_ashr_i32 s25, s24, 31
	s_lshl_b64 s[8:9], s[8:9], 1
	v_bfe_u32 v2, v0, 10, 10
	v_bfe_u32 v0, v0, 20, 10
	v_dual_mov_b32 v6, v1 :: v_dual_lshlrev_b32 v5, 1, v1
	s_waitcnt lgkmcnt(0)
	s_lshr_b32 s0, s0, 16
	s_add_u32 s40, s12, s8
	s_mul_i32 s0, s0, s1
	s_addc_u32 s41, s13, s9
	s_and_b32 s42, s4, 0xffff
	s_lshl_b64 s[44:45], s[24:25], 1
	s_ashr_i32 s31, s16, 31
	s_ashr_i32 s35, s17, 31
	;; [unrolled: 1-line block ×3, first 2 shown]
	v_mul_lo_u32 v3, s0, v1
	s_lshl_b32 s43, s42, 1
	s_add_u32 s28, s28, s44
	s_addc_u32 s29, s29, s45
	s_add_u32 s26, s26, s28
	s_addc_u32 s27, s27, s29
	s_add_u32 s8, s8, s44
	s_mul_i32 s0, s6, s31
	s_mul_i32 s4, s5, s35
	s_addc_u32 s9, s9, s45
	s_add_u32 s12, s12, s8
	v_mad_u32_u24 v2, v2, s1, v3
	s_addc_u32 s13, s13, s9
	s_add_i32 s0, s37, s0
	s_add_i32 s1, s7, s4
	;; [unrolled: 1-line block ×4, first 2 shown]
	s_lshl_b64 s[0:1], s[34:35], 2
	s_lshl_b64 s[28:29], s[30:31], 2
	;; [unrolled: 1-line block ×3, first 2 shown]
	s_add_u32 s4, s0, s28
	s_addc_u32 s25, s1, s29
	s_lshl_b64 s[0:1], s[18:19], 2
	v_add_lshl_u32 v0, v2, v0, 1
	v_lshlrev_b32_e32 v2, 2, v1
	s_add_u32 s0, s4, s0
	s_addc_u32 s1, s25, s1
	s_add_u32 s0, s22, s0
	s_addc_u32 s1, s23, s1
	v_add_co_u32 v2, s0, s0, v2
	v_add_nc_u32_e32 v4, 0x800, v0
	v_add_co_ci_u32_e64 v3, null, s1, 0, s0
	s_mov_b32 s19, 0
	s_lshl_b32 s25, s42, 2
.LBB16_9:                               ; =>This Inner Loop Header: Depth=1
	v_add_co_u32 v7, s0, s21, v5
	s_delay_alu instid0(VALU_DEP_1) | instskip(SKIP_1) | instid1(VALU_DEP_1)
	v_add_co_ci_u32_e64 v8, null, s33, 0, s0
	v_add_co_u32 v9, s0, s40, v5
	v_add_co_ci_u32_e64 v10, null, s41, 0, s0
	v_add_co_u32 v11, s0, s12, v5
	s_delay_alu instid0(VALU_DEP_1) | instskip(SKIP_1) | instid1(VALU_DEP_1)
	v_add_co_ci_u32_e64 v12, null, s13, 0, s0
	v_add_co_u32 v13, s0, s26, v5
	v_add_co_ci_u32_e64 v14, null, s27, 0, s0
	global_load_u16 v15, v[11:12], off
	global_load_u16 v16, v[9:10], off
	;; [unrolled: 1-line block ×4, first 2 shown]
	v_add_nc_u32_e32 v6, s42, v6
	s_add_u32 s21, s21, s43
	s_addc_u32 s33, s33, 0
	s_add_u32 s26, s26, s43
	s_addc_u32 s27, s27, 0
	;; [unrolled: 2-line block ×4, first 2 shown]
	s_waitcnt vmcnt(0)
	v_lshlrev_b32_e32 v8, 16, v8
	v_lshlrev_b32_e32 v7, 16, v7
	;; [unrolled: 1-line block ×4, first 2 shown]
	s_delay_alu instid0(VALU_DEP_1) | instskip(SKIP_1) | instid1(VALU_DEP_2)
	v_dual_mul_f32 v16, v8, v13 :: v_dual_mul_f32 v15, v7, v14
	v_dual_mul_f32 v8, v8, v14 :: v_dual_mul_f32 v7, v7, v13
	v_bfe_u32 v14, v16, 16, 1
	s_delay_alu instid0(VALU_DEP_3) | instskip(NEXT) | instid1(VALU_DEP_3)
	v_bfe_u32 v13, v15, 16, 1
	v_bfe_u32 v17, v8, 16, 1
	s_delay_alu instid0(VALU_DEP_4)
	v_bfe_u32 v18, v7, 16, 1
	v_cmp_o_f32_e64 s4, v15, v15
	v_add3_u32 v14, v16, v14, 0x7fff
	v_add3_u32 v13, v15, v13, 0x7fff
	;; [unrolled: 1-line block ×4, first 2 shown]
	v_cmp_o_f32_e32 vcc_lo, v16, v16
	v_cmp_o_f32_e64 s0, v7, v7
	v_and_b32_e32 v13, 0xffff0000, v13
	v_and_b32_e32 v16, 0xffff0000, v17
	v_cmp_o_f32_e64 s1, v8, v8
	s_delay_alu instid0(VALU_DEP_3) | instskip(SKIP_1) | instid1(VALU_DEP_1)
	v_cndmask_b32_e64 v7, 0x7fc00000, v13, s4
	v_and_b32_e32 v14, 0xffff0000, v14
	v_cndmask_b32_e32 v8, 0x7fc00000, v14, vcc_lo
	s_delay_alu instid0(VALU_DEP_4) | instskip(SKIP_1) | instid1(VALU_DEP_3)
	v_cndmask_b32_e64 v14, 0x7fc00000, v16, s1
	v_and_b32_e32 v17, 0xffff0000, v18
	v_sub_f32_e32 v7, v7, v8
	s_delay_alu instid0(VALU_DEP_2) | instskip(NEXT) | instid1(VALU_DEP_2)
	v_cndmask_b32_e64 v13, 0x7fc00000, v17, s0
	v_cmp_o_f32_e64 s0, v7, v7
	s_delay_alu instid0(VALU_DEP_2) | instskip(SKIP_1) | instid1(VALU_DEP_2)
	v_add_f32_e32 v8, v14, v13
	v_bfe_u32 v13, v7, 16, 1
	v_bfe_u32 v14, v8, 16, 1
	s_delay_alu instid0(VALU_DEP_2) | instskip(SKIP_1) | instid1(VALU_DEP_3)
	v_add3_u32 v13, v7, v13, 0x7fff
	v_cmp_o_f32_e32 vcc_lo, v8, v8
	v_add3_u32 v14, v8, v14, 0x7fff
	s_delay_alu instid0(VALU_DEP_3) | instskip(NEXT) | instid1(VALU_DEP_2)
	v_lshrrev_b32_e32 v13, 16, v13
	v_lshrrev_b32_e32 v14, 16, v14
	s_delay_alu instid0(VALU_DEP_2) | instskip(NEXT) | instid1(VALU_DEP_2)
	v_cndmask_b32_e64 v13, 0x7fc0, v13, s0
	v_cndmask_b32_e32 v14, 0x7fc0, v14, vcc_lo
	ds_store_b16 v4, v13
	ds_load_b32 v15, v4
	v_add_co_u32 v7, vcc_lo, v2, s8
	ds_store_b16 v0, v14
	ds_load_b32 v16, v0
	v_add_co_ci_u32_e32 v8, vcc_lo, s9, v3, vcc_lo
	v_cmp_le_i32_e32 vcc_lo, s24, v6
	s_or_b32 s19, vcc_lo, s19
	s_waitcnt lgkmcnt(2)
	global_store_b32 v[2:3], v15, off
	v_add_co_u32 v2, s0, v2, s25
	s_delay_alu instid0(VALU_DEP_1)
	v_add_co_ci_u32_e64 v3, s0, 0, v3, s0
	global_store_b16 v[9:10], v13, off
	global_store_b16 v[11:12], v14, off
	s_waitcnt lgkmcnt(0)
	global_store_b32 v[7:8], v16, off
	s_and_not1_b32 exec_lo, exec_lo, s19
	s_cbranch_execnz .LBB16_9
.LBB16_10:
	s_or_b32 exec_lo, exec_lo, s39
	s_delay_alu instid0(SALU_CYCLE_1)
	s_mov_b32 s0, exec_lo
	v_cmpx_gt_i32_e64 s18, v1
	s_cbranch_execz .LBB16_13
; %bb.11:
	s_mul_i32 s1, s20, s11
	s_mul_hi_u32 s4, s20, s10
	s_mul_i32 s0, s20, s10
	s_add_i32 s1, s4, s1
	s_delay_alu instid0(SALU_CYCLE_1) | instskip(NEXT) | instid1(SALU_CYCLE_1)
	s_lshl_b64 s[8:9], s[0:1], 1
	s_add_u32 s1, s14, s8
	s_addc_u32 s4, s15, s9
	s_ashr_i32 s0, s16, 31
	s_delay_alu instid0(SALU_CYCLE_1) | instskip(SKIP_2) | instid1(SALU_CYCLE_1)
	s_mul_i32 s0, s6, s0
	s_load_b32 s6, s[2:3], 0x8c
	s_add_i32 s0, s37, s0
	s_add_i32 s35, s0, s38
	s_delay_alu instid0(SALU_CYCLE_1) | instskip(NEXT) | instid1(SALU_CYCLE_1)
	s_lshl_b64 s[2:3], s[34:35], 2
	s_add_u32 s0, s22, s2
	s_addc_u32 s8, s23, s3
	s_ashr_i32 s2, s17, 31
	s_delay_alu instid0(SALU_CYCLE_1) | instskip(NEXT) | instid1(SALU_CYCLE_1)
	s_mul_i32 s5, s5, s2
	s_add_i32 s2, s7, s5
	s_delay_alu instid0(SALU_CYCLE_1) | instskip(NEXT) | instid1(SALU_CYCLE_1)
	s_add_i32 s31, s2, s36
	s_lshl_b64 s[2:3], s[30:31], 2
	s_delay_alu instid0(SALU_CYCLE_1)
	s_add_u32 s2, s0, s2
	s_addc_u32 s3, s8, s3
	s_waitcnt lgkmcnt(0)
	s_and_b32 s5, s6, 0xffff
	s_mov_b32 s6, 0
	.p2align	6
.LBB16_12:                              ; =>This Inner Loop Header: Depth=1
	v_ashrrev_i32_e32 v2, 31, v1
	s_delay_alu instid0(VALU_DEP_1) | instskip(NEXT) | instid1(VALU_DEP_1)
	v_lshlrev_b64 v[3:4], 1, v[1:2]
	v_add_co_u32 v3, vcc_lo, s1, v3
	s_delay_alu instid0(VALU_DEP_2) | instskip(SKIP_3) | instid1(VALU_DEP_1)
	v_add_co_ci_u32_e32 v4, vcc_lo, s4, v4, vcc_lo
	global_load_b32 v0, v[3:4], off
	v_lshlrev_b64 v[2:3], 2, v[1:2]
	v_add_nc_u32_e32 v1, s5, v1
	v_cmp_le_i32_e32 vcc_lo, s18, v1
	s_delay_alu instid0(VALU_DEP_3) | instskip(NEXT) | instid1(VALU_DEP_1)
	v_add_co_u32 v2, s0, s2, v2
	v_add_co_ci_u32_e64 v3, s0, s3, v3, s0
	s_or_b32 s6, vcc_lo, s6
	s_waitcnt vmcnt(0)
	global_store_b32 v[2:3], v0, off
	s_and_not1_b32 exec_lo, exec_lo, s6
	s_cbranch_execnz .LBB16_12
.LBB16_13:
	s_nop 0
	s_sendmsg sendmsg(MSG_DEALLOC_VGPRS)
	s_endpgm
.LBB16_14:
                                        ; implicit-def: $sgpr6_sgpr7
	s_branch .LBB16_6
	.section	.rodata,"a",@progbits
	.p2align	6, 0x0
	.amdhsa_kernel _ZN4vllm38concat_and_cache_mla_rope_fused_kernelIN3c108BFloat16ES2_Lb1EffLNS_18Fp8KVCacheDataTypeE0EEEvPKlPT_S7_PKS6_PKT0_illlliPT3_S5_iiiiPKf
		.amdhsa_group_segment_fixed_size 4096
		.amdhsa_private_segment_fixed_size 0
		.amdhsa_kernarg_size 384
		.amdhsa_user_sgpr_count 15
		.amdhsa_user_sgpr_dispatch_ptr 1
		.amdhsa_user_sgpr_queue_ptr 0
		.amdhsa_user_sgpr_kernarg_segment_ptr 1
		.amdhsa_user_sgpr_dispatch_id 0
		.amdhsa_user_sgpr_private_segment_size 0
		.amdhsa_wavefront_size32 1
		.amdhsa_uses_dynamic_stack 0
		.amdhsa_enable_private_segment 0
		.amdhsa_system_sgpr_workgroup_id_x 1
		.amdhsa_system_sgpr_workgroup_id_y 0
		.amdhsa_system_sgpr_workgroup_id_z 0
		.amdhsa_system_sgpr_workgroup_info 0
		.amdhsa_system_vgpr_workitem_id 2
		.amdhsa_next_free_vgpr 19
		.amdhsa_next_free_sgpr 47
		.amdhsa_reserve_vcc 1
		.amdhsa_float_round_mode_32 0
		.amdhsa_float_round_mode_16_64 0
		.amdhsa_float_denorm_mode_32 3
		.amdhsa_float_denorm_mode_16_64 3
		.amdhsa_dx10_clamp 1
		.amdhsa_ieee_mode 1
		.amdhsa_fp16_overflow 0
		.amdhsa_workgroup_processor_mode 1
		.amdhsa_memory_ordered 1
		.amdhsa_forward_progress 0
		.amdhsa_shared_vgpr_count 0
		.amdhsa_exception_fp_ieee_invalid_op 0
		.amdhsa_exception_fp_denorm_src 0
		.amdhsa_exception_fp_ieee_div_zero 0
		.amdhsa_exception_fp_ieee_overflow 0
		.amdhsa_exception_fp_ieee_underflow 0
		.amdhsa_exception_fp_ieee_inexact 0
		.amdhsa_exception_int_div_zero 0
	.end_amdhsa_kernel
	.section	.text._ZN4vllm38concat_and_cache_mla_rope_fused_kernelIN3c108BFloat16ES2_Lb1EffLNS_18Fp8KVCacheDataTypeE0EEEvPKlPT_S7_PKS6_PKT0_illlliPT3_S5_iiiiPKf,"axG",@progbits,_ZN4vllm38concat_and_cache_mla_rope_fused_kernelIN3c108BFloat16ES2_Lb1EffLNS_18Fp8KVCacheDataTypeE0EEEvPKlPT_S7_PKS6_PKT0_illlliPT3_S5_iiiiPKf,comdat
.Lfunc_end16:
	.size	_ZN4vllm38concat_and_cache_mla_rope_fused_kernelIN3c108BFloat16ES2_Lb1EffLNS_18Fp8KVCacheDataTypeE0EEEvPKlPT_S7_PKS6_PKT0_illlliPT3_S5_iiiiPKf, .Lfunc_end16-_ZN4vllm38concat_and_cache_mla_rope_fused_kernelIN3c108BFloat16ES2_Lb1EffLNS_18Fp8KVCacheDataTypeE0EEEvPKlPT_S7_PKS6_PKT0_illlliPT3_S5_iiiiPKf
                                        ; -- End function
	.section	.AMDGPU.csdata,"",@progbits
; Kernel info:
; codeLenInByte = 3080
; NumSgprs: 49
; NumVgprs: 19
; ScratchSize: 0
; MemoryBound: 0
; FloatMode: 240
; IeeeMode: 1
; LDSByteSize: 4096 bytes/workgroup (compile time only)
; SGPRBlocks: 6
; VGPRBlocks: 2
; NumSGPRsForWavesPerEU: 49
; NumVGPRsForWavesPerEU: 19
; Occupancy: 16
; WaveLimiterHint : 1
; COMPUTE_PGM_RSRC2:SCRATCH_EN: 0
; COMPUTE_PGM_RSRC2:USER_SGPR: 15
; COMPUTE_PGM_RSRC2:TRAP_HANDLER: 0
; COMPUTE_PGM_RSRC2:TGID_X_EN: 1
; COMPUTE_PGM_RSRC2:TGID_Y_EN: 0
; COMPUTE_PGM_RSRC2:TGID_Z_EN: 0
; COMPUTE_PGM_RSRC2:TIDIG_COMP_CNT: 2
	.section	.text._ZN4vllm38concat_and_cache_mla_rope_fused_kernelIN3c108BFloat16ES2_Lb0EffLNS_18Fp8KVCacheDataTypeE0EEEvPKlPT_S7_PKS6_PKT0_illlliPT3_S5_iiiiPKf,"axG",@progbits,_ZN4vllm38concat_and_cache_mla_rope_fused_kernelIN3c108BFloat16ES2_Lb0EffLNS_18Fp8KVCacheDataTypeE0EEEvPKlPT_S7_PKS6_PKT0_illlliPT3_S5_iiiiPKf,comdat
	.protected	_ZN4vllm38concat_and_cache_mla_rope_fused_kernelIN3c108BFloat16ES2_Lb0EffLNS_18Fp8KVCacheDataTypeE0EEEvPKlPT_S7_PKS6_PKT0_illlliPT3_S5_iiiiPKf ; -- Begin function _ZN4vllm38concat_and_cache_mla_rope_fused_kernelIN3c108BFloat16ES2_Lb0EffLNS_18Fp8KVCacheDataTypeE0EEEvPKlPT_S7_PKS6_PKT0_illlliPT3_S5_iiiiPKf
	.globl	_ZN4vllm38concat_and_cache_mla_rope_fused_kernelIN3c108BFloat16ES2_Lb0EffLNS_18Fp8KVCacheDataTypeE0EEEvPKlPT_S7_PKS6_PKT0_illlliPT3_S5_iiiiPKf
	.p2align	8
	.type	_ZN4vllm38concat_and_cache_mla_rope_fused_kernelIN3c108BFloat16ES2_Lb0EffLNS_18Fp8KVCacheDataTypeE0EEEvPKlPT_S7_PKS6_PKT0_illlliPT3_S5_iiiiPKf,@function
_ZN4vllm38concat_and_cache_mla_rope_fused_kernelIN3c108BFloat16ES2_Lb0EffLNS_18Fp8KVCacheDataTypeE0EEEvPKlPT_S7_PKS6_PKT0_illlliPT3_S5_iiiiPKf: ; @_ZN4vllm38concat_and_cache_mla_rope_fused_kernelIN3c108BFloat16ES2_Lb0EffLNS_18Fp8KVCacheDataTypeE0EEEvPKlPT_S7_PKS6_PKT0_illlliPT3_S5_iiiiPKf
; %bb.0:
	s_load_b64 s[6:7], s[2:3], 0x60
	s_mov_b32 s20, s15
	s_mov_b32 s21, 0
	s_delay_alu instid0(SALU_CYCLE_1)
	s_lshl_b64 s[4:5], s[20:21], 3
	s_waitcnt lgkmcnt(0)
	s_add_u32 s6, s6, s4
	s_addc_u32 s7, s7, s5
	s_load_b64 s[28:29], s[6:7], 0x0
	s_waitcnt lgkmcnt(0)
	v_cmp_lt_i64_e64 s6, s[28:29], 0
	s_delay_alu instid0(VALU_DEP_1)
	s_and_b32 vcc_lo, exec_lo, s6
	s_cbranch_vccnz .LBB17_13
; %bb.1:
	s_clause 0x3
	s_load_b32 s21, s[2:3], 0x28
	s_load_b64 s[6:7], s[2:3], 0x0
	s_load_b128 s[16:19], s[2:3], 0x10
	s_load_b32 s25, s[2:3], 0x50
	v_and_b32_e32 v1, 0x3ff, v0
	s_delay_alu instid0(VALU_DEP_1)
	v_lshlrev_b32_e32 v4, 1, v1
	s_waitcnt lgkmcnt(0)
	s_ashr_i32 s30, s21, 31
	s_add_u32 s4, s6, s4
	s_addc_u32 s5, s7, s5
	s_lshr_b32 s6, s21, 31
	s_load_b64 s[4:5], s[4:5], 0x0
	s_clause 0x2
	s_load_b64 s[26:27], s[2:3], 0x20
	s_load_b64 s[22:23], s[2:3], 0x58
	s_load_b256 s[8:15], s[2:3], 0x30
	s_add_i32 s6, s21, s6
	s_delay_alu instid0(SALU_CYCLE_1) | instskip(NEXT) | instid1(SALU_CYCLE_1)
	s_ashr_i32 s24, s6, 1
	s_mul_i32 s7, s24, s25
	s_waitcnt lgkmcnt(0)
	s_mul_i32 s6, s4, s30
	s_mul_hi_u32 s25, s4, s21
	s_mul_i32 s5, s5, s21
	s_add_i32 s6, s25, s6
	s_mul_i32 s30, s4, s21
	s_add_i32 s31, s6, s5
	s_mov_b32 s21, exec_lo
	v_cmpx_gt_i32_e64 s7, v1
	s_cbranch_execz .LBB17_4
; %bb.2:
	s_load_b64 s[4:5], s[2:3], 0x8
	s_lshl_b64 s[34:35], s[30:31], 1
	s_mul_i32 s6, s20, s9
	s_mul_hi_u32 s9, s20, s8
	s_add_u32 s33, s26, s34
	s_mul_i32 s8, s20, s8
	s_addc_u32 s34, s27, s35
	s_add_i32 s9, s9, s6
	s_load_b32 s6, s[2:3], 0x8c
	s_lshl_b64 s[8:9], s[8:9], 1
	s_ashr_i32 s25, s24, 31
	s_mov_b32 s38, 0
	s_waitcnt lgkmcnt(0)
	s_add_u32 s35, s4, s8
	s_addc_u32 s36, s5, s9
	s_abs_i32 s37, s24
	s_sub_i32 s40, 0, s24
	v_cvt_f32_u32_e32 v2, s37
	s_sub_i32 s4, 0, s37
	s_lshl_b64 s[8:9], s[24:25], 1
	s_and_b32 s39, s6, 0xffff
	s_delay_alu instid0(VALU_DEP_1) | instskip(SKIP_3) | instid1(VALU_DEP_1)
	v_rcp_iflag_f32_e32 v2, v2
	s_lshl_b32 s42, s39, 1
	s_waitcnt_depctr 0xfff
	v_mul_f32_e32 v2, 0x4f7ffffe, v2
	v_cvt_u32_f32_e32 v3, v2
	s_delay_alu instid0(VALU_DEP_1) | instskip(SKIP_1) | instid1(SALU_CYCLE_1)
	v_mul_lo_u32 v2, s4, v3
	s_lshl_b32 s4, s24, 1
	s_sub_i32 s41, 0, s4
	s_delay_alu instid0(VALU_DEP_1) | instskip(NEXT) | instid1(VALU_DEP_1)
	v_mul_hi_u32 v5, v3, v2
	v_dual_mov_b32 v2, v4 :: v_dual_add_nc_u32 v5, v3, v5
	v_mov_b32_e32 v3, v1
.LBB17_3:                               ; =>This Inner Loop Header: Depth=1
	s_delay_alu instid0(VALU_DEP_1) | instskip(SKIP_1) | instid1(VALU_DEP_2)
	v_sub_nc_u32_e32 v6, 0, v3
	v_ashrrev_i32_e32 v7, 31, v3
	v_max_i32_e32 v6, v3, v6
	s_delay_alu instid0(VALU_DEP_2) | instskip(NEXT) | instid1(VALU_DEP_2)
	v_xor_b32_e32 v7, s25, v7
	v_mul_hi_u32 v8, v6, v5
	s_delay_alu instid0(VALU_DEP_1) | instskip(SKIP_1) | instid1(VALU_DEP_2)
	v_mul_lo_u32 v9, v8, s37
	v_add_nc_u32_e32 v10, 1, v8
	v_sub_nc_u32_e32 v6, v6, v9
	s_delay_alu instid0(VALU_DEP_1) | instskip(SKIP_1) | instid1(VALU_DEP_4)
	v_subrev_nc_u32_e32 v9, s37, v6
	v_cmp_le_u32_e32 vcc_lo, s37, v6
	v_cndmask_b32_e32 v8, v8, v10, vcc_lo
	s_delay_alu instid0(VALU_DEP_1) | instskip(NEXT) | instid1(VALU_DEP_1)
	v_dual_cndmask_b32 v6, v6, v9 :: v_dual_add_nc_u32 v9, 1, v8
	v_cmp_le_u32_e32 vcc_lo, s37, v6
	s_delay_alu instid0(VALU_DEP_2) | instskip(NEXT) | instid1(VALU_DEP_1)
	v_cndmask_b32_e32 v6, v8, v9, vcc_lo
	v_xor_b32_e32 v6, v6, v7
	s_delay_alu instid0(VALU_DEP_1) | instskip(NEXT) | instid1(VALU_DEP_1)
	v_sub_nc_u32_e32 v12, v6, v7
	v_mad_u64_u32 v[6:7], null, s40, v12, v[3:4]
	v_ashrrev_i32_e32 v7, 31, v12
	v_mul_lo_u32 v13, v12, s11
	v_mad_u64_u32 v[8:9], null, v12, s10, 0
	v_mad_u64_u32 v[10:11], null, s41, v12, v[2:3]
	s_delay_alu instid0(VALU_DEP_4) | instskip(SKIP_3) | instid1(VALU_DEP_3)
	v_mul_lo_u32 v12, v7, s10
	v_ashrrev_i32_e32 v7, 31, v6
	v_add_nc_u32_e32 v3, s39, v3
	v_add_nc_u32_e32 v2, s42, v2
	v_lshlrev_b64 v[6:7], 1, v[6:7]
	v_ashrrev_i32_e32 v11, 31, v10
	v_add3_u32 v9, v9, v13, v12
	s_delay_alu instid0(VALU_DEP_3) | instskip(NEXT) | instid1(VALU_DEP_2)
	v_add_co_u32 v6, vcc_lo, s33, v6
	v_lshlrev_b64 v[8:9], 1, v[8:9]
	v_add_co_ci_u32_e32 v7, vcc_lo, s34, v7, vcc_lo
	s_delay_alu instid0(VALU_DEP_3) | instskip(SKIP_1) | instid1(VALU_DEP_3)
	v_add_co_u32 v12, vcc_lo, v6, s8
	v_lshlrev_b64 v[10:11], 1, v[10:11]
	v_add_co_ci_u32_e32 v13, vcc_lo, s9, v7, vcc_lo
	v_add_co_u32 v8, vcc_lo, s35, v8
	v_add_co_ci_u32_e32 v9, vcc_lo, s36, v9, vcc_lo
	global_load_u16 v14, v[6:7], off
	v_add_co_u32 v6, vcc_lo, v8, v10
	v_add_co_ci_u32_e32 v7, vcc_lo, v9, v11, vcc_lo
	global_load_u16 v8, v[12:13], off
	global_load_b32 v9, v[6:7], off
	s_waitcnt vmcnt(2)
	v_lshlrev_b32_e32 v10, 16, v14
	s_waitcnt vmcnt(1)
	v_lshlrev_b32_e32 v8, 16, v8
	s_waitcnt vmcnt(0)
	v_and_b32_e32 v11, 0xffff0000, v9
	s_delay_alu instid0(VALU_DEP_1) | instskip(NEXT) | instid1(VALU_DEP_1)
	v_dual_mul_f32 v12, v8, v11 :: v_dual_lshlrev_b32 v9, 16, v9
	v_dual_mul_f32 v8, v9, v8 :: v_dual_mul_f32 v11, v10, v11
	s_delay_alu instid0(VALU_DEP_2) | instskip(NEXT) | instid1(VALU_DEP_2)
	v_cmp_o_f32_e32 vcc_lo, v12, v12
	v_bfe_u32 v15, v8, 16, 1
	s_delay_alu instid0(VALU_DEP_3) | instskip(SKIP_1) | instid1(VALU_DEP_3)
	v_bfe_u32 v13, v11, 16, 1
	v_cmp_o_f32_e64 s6, v11, v11
	v_add3_u32 v15, v8, v15, 0x7fff
	v_mul_f32_e32 v10, v10, v9
	v_bfe_u32 v9, v12, 16, 1
	v_add3_u32 v13, v11, v13, 0x7fff
	s_delay_alu instid0(VALU_DEP_4) | instskip(NEXT) | instid1(VALU_DEP_4)
	v_and_b32_e32 v15, 0xffff0000, v15
	v_bfe_u32 v14, v10, 16, 1
	s_delay_alu instid0(VALU_DEP_4) | instskip(SKIP_1) | instid1(VALU_DEP_3)
	v_add3_u32 v9, v12, v9, 0x7fff
	v_cmp_o_f32_e64 s5, v10, v10
	v_add3_u32 v14, v10, v14, 0x7fff
	s_delay_alu instid0(VALU_DEP_3) | instskip(SKIP_1) | instid1(VALU_DEP_3)
	v_and_b32_e32 v9, 0xffff0000, v9
	v_cmp_o_f32_e64 s4, v8, v8
	v_and_b32_e32 v14, 0xffff0000, v14
	s_delay_alu instid0(VALU_DEP_3) | instskip(NEXT) | instid1(VALU_DEP_3)
	v_cndmask_b32_e32 v9, 0x7fc00000, v9, vcc_lo
	v_cndmask_b32_e64 v11, 0x7fc00000, v15, s4
	v_and_b32_e32 v13, 0xffff0000, v13
	s_delay_alu instid0(VALU_DEP_4) | instskip(NEXT) | instid1(VALU_DEP_2)
	v_cndmask_b32_e64 v10, 0x7fc00000, v14, s5
	v_cndmask_b32_e64 v8, 0x7fc00000, v13, s6
	s_delay_alu instid0(VALU_DEP_1) | instskip(NEXT) | instid1(VALU_DEP_1)
	v_dual_sub_f32 v9, v10, v9 :: v_dual_add_f32 v8, v11, v8
	v_bfe_u32 v10, v9, 16, 1
	v_cmp_o_f32_e64 s4, v9, v9
	s_delay_alu instid0(VALU_DEP_3) | instskip(SKIP_1) | instid1(VALU_DEP_4)
	v_bfe_u32 v11, v8, 16, 1
	v_cmp_o_f32_e32 vcc_lo, v8, v8
	v_add3_u32 v10, v9, v10, 0x7fff
	s_delay_alu instid0(VALU_DEP_3) | instskip(NEXT) | instid1(VALU_DEP_2)
	v_add3_u32 v11, v8, v11, 0x7fff
	v_lshrrev_b32_e32 v10, 16, v10
	s_delay_alu instid0(VALU_DEP_2) | instskip(NEXT) | instid1(VALU_DEP_2)
	v_lshrrev_b32_e32 v11, 16, v11
	v_cndmask_b32_e64 v8, 0x7fc0, v10, s4
	s_delay_alu instid0(VALU_DEP_2) | instskip(SKIP_1) | instid1(VALU_DEP_2)
	v_cndmask_b32_e32 v9, 0x7fc0, v11, vcc_lo
	v_cmp_le_i32_e32 vcc_lo, s7, v3
	v_perm_b32 v8, v9, v8, 0x5040100
	s_or_b32 s38, vcc_lo, s38
	global_store_b32 v[6:7], v8, off
	s_and_not1_b32 exec_lo, exec_lo, s38
	s_cbranch_execnz .LBB17_3
.LBB17_4:
	s_or_b32 exec_lo, exec_lo, s21
	s_load_b128 s[4:7], s[2:3], 0x68
	s_waitcnt lgkmcnt(0)
	s_ashr_i32 s11, s7, 31
	s_mov_b32 s10, s7
	s_delay_alu instid0(SALU_CYCLE_1) | instskip(SKIP_1) | instid1(SALU_CYCLE_1)
	s_or_b64 s[34:35], s[28:29], s[10:11]
	s_mov_b32 s34, 0
	s_cmp_lg_u64 s[34:35], 0
	s_cbranch_scc0 .LBB17_14
; %bb.5:
	s_add_u32 s36, s10, s11
	s_mov_b32 s8, s11
	s_mov_b32 s9, s11
	s_addc_u32 s37, s11, s11
	s_delay_alu instid0(SALU_CYCLE_1) | instskip(NEXT) | instid1(SALU_CYCLE_1)
	s_xor_b64 s[36:37], s[36:37], s[8:9]
	v_cvt_f32_u32_e32 v2, s36
	v_cvt_f32_u32_e32 v3, s37
	s_sub_u32 s25, 0, s36
	s_subb_u32 s33, 0, s37
	s_delay_alu instid0(VALU_DEP_1) | instskip(NEXT) | instid1(VALU_DEP_1)
	v_fmamk_f32 v2, v3, 0x4f800000, v2
	v_rcp_f32_e32 v2, v2
	s_waitcnt_depctr 0xfff
	v_mul_f32_e32 v2, 0x5f7ffffc, v2
	s_delay_alu instid0(VALU_DEP_1) | instskip(NEXT) | instid1(VALU_DEP_1)
	v_mul_f32_e32 v3, 0x2f800000, v2
	v_trunc_f32_e32 v3, v3
	s_delay_alu instid0(VALU_DEP_1) | instskip(SKIP_1) | instid1(VALU_DEP_2)
	v_fmamk_f32 v2, v3, 0xcf800000, v2
	v_cvt_u32_f32_e32 v3, v3
	v_cvt_u32_f32_e32 v2, v2
	s_delay_alu instid0(VALU_DEP_2) | instskip(NEXT) | instid1(VALU_DEP_2)
	v_readfirstlane_b32 s7, v3
	v_readfirstlane_b32 s21, v2
	s_delay_alu instid0(VALU_DEP_2) | instskip(NEXT) | instid1(VALU_DEP_1)
	s_mul_i32 s35, s25, s7
	s_mul_hi_u32 s39, s25, s21
	s_mul_i32 s38, s33, s21
	s_add_i32 s35, s39, s35
	s_mul_i32 s40, s25, s21
	s_add_i32 s35, s35, s38
	s_mul_hi_u32 s39, s21, s40
	s_mul_hi_u32 s41, s7, s40
	s_mul_i32 s38, s7, s40
	s_mul_hi_u32 s40, s21, s35
	s_mul_i32 s21, s21, s35
	s_mul_hi_u32 s42, s7, s35
	s_add_u32 s21, s39, s21
	s_addc_u32 s39, 0, s40
	s_add_u32 s21, s21, s38
	s_mul_i32 s35, s7, s35
	s_addc_u32 s21, s39, s41
	s_addc_u32 s38, s42, 0
	s_add_u32 s21, s21, s35
	s_addc_u32 s35, 0, s38
	v_add_co_u32 v2, s21, v2, s21
	s_delay_alu instid0(VALU_DEP_1) | instskip(SKIP_1) | instid1(VALU_DEP_1)
	s_cmp_lg_u32 s21, 0
	s_addc_u32 s7, s7, s35
	v_readfirstlane_b32 s21, v2
	s_mul_i32 s35, s25, s7
	s_delay_alu instid0(VALU_DEP_1)
	s_mul_hi_u32 s38, s25, s21
	s_mul_i32 s33, s33, s21
	s_add_i32 s35, s38, s35
	s_mul_i32 s25, s25, s21
	s_add_i32 s35, s35, s33
	s_mul_hi_u32 s38, s7, s25
	s_mul_i32 s39, s7, s25
	s_mul_hi_u32 s25, s21, s25
	s_mul_hi_u32 s40, s21, s35
	s_mul_i32 s21, s21, s35
	s_mul_hi_u32 s33, s7, s35
	s_add_u32 s21, s25, s21
	s_addc_u32 s25, 0, s40
	s_add_u32 s21, s21, s39
	s_mul_i32 s35, s7, s35
	s_addc_u32 s21, s25, s38
	s_addc_u32 s25, s33, 0
	s_add_u32 s21, s21, s35
	s_addc_u32 s25, 0, s25
	v_add_co_u32 v2, s21, v2, s21
	s_delay_alu instid0(VALU_DEP_1) | instskip(SKIP_2) | instid1(VALU_DEP_1)
	s_cmp_lg_u32 s21, 0
	s_addc_u32 s7, s7, s25
	s_ashr_i32 s38, s29, 31
	v_readfirstlane_b32 s21, v2
	s_add_u32 s40, s28, s38
	s_mov_b32 s39, s38
	s_addc_u32 s41, s29, s38
	s_delay_alu instid0(SALU_CYCLE_1) | instskip(NEXT) | instid1(SALU_CYCLE_1)
	s_xor_b64 s[40:41], s[40:41], s[38:39]
	s_mul_i32 s33, s40, s7
	s_mul_hi_u32 s35, s40, s21
	s_mul_hi_u32 s25, s40, s7
	;; [unrolled: 1-line block ×3, first 2 shown]
	s_mul_i32 s21, s41, s21
	s_add_u32 s33, s35, s33
	s_addc_u32 s25, 0, s25
	s_mul_hi_u32 s42, s41, s7
	s_add_u32 s21, s33, s21
	s_mul_i32 s7, s41, s7
	s_addc_u32 s21, s25, s43
	s_addc_u32 s25, s42, 0
	s_add_u32 s7, s21, s7
	s_addc_u32 s21, 0, s25
	s_mul_hi_u32 s25, s36, s7
	s_mul_i32 s35, s36, s21
	s_mul_i32 s42, s36, s7
	s_add_i32 s25, s25, s35
	v_sub_co_u32 v2, s35, s40, s42
	s_mul_i32 s33, s37, s7
	s_delay_alu instid0(SALU_CYCLE_1) | instskip(NEXT) | instid1(VALU_DEP_1)
	s_add_i32 s25, s25, s33
	v_sub_co_u32 v3, s40, v2, s36
	s_sub_i32 s33, s41, s25
	s_cmp_lg_u32 s35, 0
	s_subb_u32 s33, s33, s37
	s_cmp_lg_u32 s40, 0
	v_readfirstlane_b32 s40, v3
	s_subb_u32 s33, s33, 0
	s_delay_alu instid0(SALU_CYCLE_1) | instskip(SKIP_1) | instid1(VALU_DEP_1)
	s_cmp_ge_u32 s33, s37
	s_cselect_b32 s42, -1, 0
	s_cmp_ge_u32 s40, s36
	s_cselect_b32 s40, -1, 0
	s_cmp_eq_u32 s33, s37
	s_cselect_b32 s33, s40, s42
	s_add_u32 s40, s7, 1
	s_addc_u32 s42, s21, 0
	s_add_u32 s43, s7, 2
	s_addc_u32 s44, s21, 0
	s_cmp_lg_u32 s33, 0
	s_cselect_b32 s33, s43, s40
	s_cselect_b32 s40, s44, s42
	s_cmp_lg_u32 s35, 0
	v_readfirstlane_b32 s35, v2
	s_subb_u32 s25, s41, s25
	s_delay_alu instid0(SALU_CYCLE_1) | instskip(SKIP_1) | instid1(VALU_DEP_1)
	s_cmp_ge_u32 s25, s37
	s_cselect_b32 s41, -1, 0
	s_cmp_ge_u32 s35, s36
	s_cselect_b32 s35, -1, 0
	s_cmp_eq_u32 s25, s37
	s_cselect_b32 s25, s35, s41
	s_delay_alu instid0(SALU_CYCLE_1) | instskip(SKIP_3) | instid1(SALU_CYCLE_1)
	s_cmp_lg_u32 s25, 0
	s_cselect_b32 s37, s40, s21
	s_cselect_b32 s36, s33, s7
	s_xor_b64 s[8:9], s[38:39], s[8:9]
	s_xor_b64 s[36:37], s[36:37], s[8:9]
	s_delay_alu instid0(SALU_CYCLE_1)
	s_sub_u32 s8, s36, s8
	s_subb_u32 s9, s37, s9
	s_and_not1_b32 vcc_lo, exec_lo, s34
	s_cbranch_vccnz .LBB17_7
.LBB17_6:
	v_cvt_f32_u32_e32 v2, s10
	s_sub_i32 s8, 0, s10
	s_delay_alu instid0(VALU_DEP_1) | instskip(SKIP_2) | instid1(VALU_DEP_1)
	v_rcp_iflag_f32_e32 v2, v2
	s_waitcnt_depctr 0xfff
	v_mul_f32_e32 v2, 0x4f7ffffe, v2
	v_cvt_u32_f32_e32 v2, v2
	s_delay_alu instid0(VALU_DEP_1) | instskip(NEXT) | instid1(VALU_DEP_1)
	v_readfirstlane_b32 s7, v2
	s_mul_i32 s8, s8, s7
	s_delay_alu instid0(SALU_CYCLE_1) | instskip(NEXT) | instid1(SALU_CYCLE_1)
	s_mul_hi_u32 s8, s7, s8
	s_add_i32 s7, s7, s8
	s_delay_alu instid0(SALU_CYCLE_1) | instskip(NEXT) | instid1(SALU_CYCLE_1)
	s_mul_hi_u32 s7, s28, s7
	s_mul_i32 s8, s7, s10
	s_add_i32 s9, s7, 1
	s_sub_i32 s8, s28, s8
	s_delay_alu instid0(SALU_CYCLE_1)
	s_sub_i32 s21, s8, s10
	s_cmp_ge_u32 s8, s10
	s_cselect_b32 s7, s9, s7
	s_cselect_b32 s8, s21, s8
	s_add_i32 s21, s7, 1
	s_cmp_ge_u32 s8, s10
	s_mov_b32 s9, 0
	s_cselect_b32 s8, s21, s7
.LBB17_7:
	s_delay_alu instid0(SALU_CYCLE_1)
	s_mul_i32 s7, s8, s11
	s_mul_hi_u32 s11, s8, s10
	s_mul_hi_u32 s34, s8, s4
	s_add_i32 s7, s11, s7
	s_mul_i32 s11, s9, s10
	s_mul_i32 s10, s8, s10
	s_add_i32 s7, s7, s11
	s_sub_u32 s21, s28, s10
	s_subb_u32 s33, s29, s7
	s_mul_i32 s35, s9, s4
	s_mul_i32 s28, s8, s4
	s_mul_hi_u32 s9, s21, s5
	s_mul_i32 s33, s33, s5
	s_mul_i32 s10, s21, s5
	s_mov_b32 s36, exec_lo
	v_cmpx_gt_i32_e64 s24, v1
	s_cbranch_execz .LBB17_10
; %bb.8:
	s_load_b64 s[38:39], s[0:1], 0x4
	s_load_b32 s0, s[2:3], 0x8c
	s_mul_hi_u32 s37, s12, s20
	s_mul_i32 s40, s12, s20
	s_ashr_i32 s1, s4, 31
	v_bfe_u32 v5, v0, 10, 10
	s_lshl_b64 s[30:31], s[30:31], 1
	s_ashr_i32 s25, s24, 31
	s_ashr_i32 s11, s5, 31
	;; [unrolled: 1-line block ×3, first 2 shown]
	s_mul_i32 s29, s13, s20
	s_mul_i32 s42, s8, s1
	v_bfe_u32 v0, v0, 20, 10
	v_dual_mov_b32 v9, v1 :: v_dual_lshlrev_b32 v6, 2, v1
	s_mul_i32 s11, s21, s11
	s_waitcnt lgkmcnt(0)
	s_lshr_b32 s12, s38, 16
	s_and_b32 s1, s0, 0xffff
	s_mul_i32 s12, s12, s39
	s_add_u32 s0, s26, s30
	v_mul_lo_u32 v7, s12, v1
	s_addc_u32 s27, s27, s31
	s_add_i32 s41, s37, s29
	v_add_co_u32 v2, s0, s0, v4
	s_lshl_b64 s[30:31], s[40:41], 1
	s_lshl_b32 s26, s1, 1
	s_lshl_b64 s[12:13], s[24:25], 1
	s_delay_alu instid0(VALU_DEP_2)
	v_mad_u32_u24 v4, v5, s39, v7
	v_add_co_ci_u32_e64 v3, null, s27, 0, s0
	s_add_u32 s0, s16, s30
	s_addc_u32 s16, s17, s31
	s_add_i32 s17, s34, s42
	s_add_i32 s11, s9, s11
	v_add_lshl_u32 v0, v4, v0, 1
	v_add_co_u32 v4, s0, s0, v6
	s_add_i32 s29, s17, s35
	s_add_i32 s11, s11, s33
	v_add_co_ci_u32_e64 v5, null, s16, 0, s0
	s_lshl_b64 s[16:17], s[28:29], 2
	s_lshl_b64 s[30:31], s[10:11], 2
	s_lshl_b32 s11, s1, 2
	s_add_u32 s0, s16, s30
	s_addc_u32 s25, s17, s31
	s_lshl_b64 s[16:17], s[6:7], 2
	v_lshlrev_b32_e32 v6, 3, v1
	s_add_u32 s7, s22, s16
	s_addc_u32 s16, s23, s17
	s_add_u32 s0, s7, s0
	s_addc_u32 s7, s16, s25
	v_add_co_u32 v6, s0, s0, v6
	s_delay_alu instid0(VALU_DEP_1) | instskip(SKIP_2) | instid1(VALU_DEP_4)
	v_add_co_ci_u32_e64 v7, null, s7, 0, s0
	v_add_co_u32 v4, vcc_lo, v4, 2
	v_add_co_ci_u32_e32 v5, vcc_lo, 0, v5, vcc_lo
	v_add_co_u32 v6, vcc_lo, v6, 4
	v_add_nc_u32_e32 v8, 0x800, v0
	v_add_co_ci_u32_e32 v7, vcc_lo, 0, v7, vcc_lo
	s_mov_b32 s7, 0
	s_lshl_b32 s16, s1, 3
.LBB17_9:                               ; =>This Inner Loop Header: Depth=1
	v_add_co_u32 v10, vcc_lo, v2, s12
	v_add_co_ci_u32_e32 v11, vcc_lo, s13, v3, vcc_lo
	global_load_u16 v12, v[2:3], off
	global_load_b32 v13, v[4:5], off offset:-2
	global_load_u16 v10, v[10:11], off
	s_waitcnt vmcnt(0)
	v_lshlrev_b32_e32 v10, 16, v10
	v_lshlrev_b32_e32 v11, 16, v12
	v_and_b32_e32 v12, 0xffff0000, v13
	v_lshlrev_b32_e32 v13, 16, v13
	s_delay_alu instid0(VALU_DEP_2) | instskip(SKIP_1) | instid1(VALU_DEP_3)
	v_dual_mul_f32 v14, v11, v12 :: v_dual_add_nc_u32 v9, s1, v9
	v_mul_f32_e32 v12, v10, v12
	v_dual_mul_f32 v10, v13, v10 :: v_dual_mul_f32 v11, v11, v13
	s_delay_alu instid0(VALU_DEP_3) | instskip(NEXT) | instid1(VALU_DEP_3)
	v_bfe_u32 v15, v14, 16, 1
	v_bfe_u32 v16, v12, 16, 1
	s_delay_alu instid0(VALU_DEP_3) | instskip(NEXT) | instid1(VALU_DEP_4)
	v_bfe_u32 v17, v10, 16, 1
	v_bfe_u32 v13, v11, 16, 1
	v_cmp_o_f32_e32 vcc_lo, v11, v11
	v_add3_u32 v15, v14, v15, 0x7fff
	v_add3_u32 v16, v12, v16, 0x7fff
	v_cmp_o_f32_e64 s0, v14, v14
	v_add3_u32 v13, v11, v13, 0x7fff
	v_add3_u32 v17, v10, v17, 0x7fff
	v_and_b32_e32 v15, 0xffff0000, v15
	v_and_b32_e32 v11, 0xffff0000, v16
	s_delay_alu instid0(VALU_DEP_4) | instskip(NEXT) | instid1(VALU_DEP_3)
	v_and_b32_e32 v13, 0xffff0000, v13
	v_cndmask_b32_e64 v15, 0x7fc00000, v15, s0
	v_cmp_o_f32_e64 s0, v10, v10
	v_and_b32_e32 v14, 0xffff0000, v17
	s_delay_alu instid0(VALU_DEP_4) | instskip(SKIP_1) | instid1(VALU_DEP_3)
	v_cndmask_b32_e32 v10, 0x7fc00000, v13, vcc_lo
	v_cmp_o_f32_e32 vcc_lo, v12, v12
	v_cndmask_b32_e64 v12, 0x7fc00000, v14, s0
	v_cndmask_b32_e32 v11, 0x7fc00000, v11, vcc_lo
	s_delay_alu instid0(VALU_DEP_1) | instskip(NEXT) | instid1(VALU_DEP_3)
	v_sub_f32_e32 v10, v10, v11
	v_add_f32_e32 v11, v12, v15
	s_delay_alu instid0(VALU_DEP_2) | instskip(NEXT) | instid1(VALU_DEP_2)
	v_bfe_u32 v12, v10, 16, 1
	v_bfe_u32 v13, v11, 16, 1
	v_cmp_o_f32_e64 s0, v10, v10
	v_cmp_o_f32_e32 vcc_lo, v11, v11
	s_delay_alu instid0(VALU_DEP_4) | instskip(NEXT) | instid1(VALU_DEP_4)
	v_add3_u32 v12, v10, v12, 0x7fff
	v_add3_u32 v13, v11, v13, 0x7fff
	s_delay_alu instid0(VALU_DEP_2) | instskip(NEXT) | instid1(VALU_DEP_2)
	v_lshrrev_b32_e32 v12, 16, v12
	v_lshrrev_b32_e32 v13, 16, v13
	s_delay_alu instid0(VALU_DEP_2) | instskip(NEXT) | instid1(VALU_DEP_2)
	v_cndmask_b32_e64 v12, 0x7fc0, v12, s0
	v_cndmask_b32_e32 v13, 0x7fc0, v13, vcc_lo
	ds_store_b16 v8, v12
	ds_store_b16 v0, v13
	ds_load_b32 v10, v8
	ds_load_b32 v11, v0
	v_perm_b32 v12, v13, v12, 0x5040100
	v_add_co_u32 v2, vcc_lo, v2, s26
	v_add_co_ci_u32_e32 v3, vcc_lo, 0, v3, vcc_lo
	global_store_b32 v[4:5], v12, off offset:-2
	v_add_co_u32 v4, s0, v4, s11
	s_delay_alu instid0(VALU_DEP_1)
	v_add_co_ci_u32_e64 v5, s0, 0, v5, s0
	v_cmp_le_i32_e32 vcc_lo, s24, v9
	s_or_b32 s7, vcc_lo, s7
	s_waitcnt lgkmcnt(0)
	global_store_b64 v[6:7], v[10:11], off offset:-4
	v_add_co_u32 v6, s0, v6, s16
	s_delay_alu instid0(VALU_DEP_1)
	v_add_co_ci_u32_e64 v7, s0, 0, v7, s0
	s_and_not1_b32 exec_lo, exec_lo, s7
	s_cbranch_execnz .LBB17_9
.LBB17_10:
	s_or_b32 exec_lo, exec_lo, s36
	s_delay_alu instid0(SALU_CYCLE_1)
	s_mov_b32 s0, exec_lo
	v_cmpx_gt_i32_e64 s6, v1
	s_cbranch_execz .LBB17_13
; %bb.11:
	s_mul_i32 s1, s20, s15
	s_mul_hi_u32 s7, s20, s14
	s_mul_i32 s0, s20, s14
	s_add_i32 s1, s7, s1
	s_delay_alu instid0(SALU_CYCLE_1) | instskip(NEXT) | instid1(SALU_CYCLE_1)
	s_lshl_b64 s[12:13], s[0:1], 1
	s_add_u32 s1, s18, s12
	s_addc_u32 s7, s19, s13
	s_ashr_i32 s0, s4, 31
	s_load_b32 s4, s[2:3], 0x8c
	s_mul_i32 s0, s8, s0
	s_delay_alu instid0(SALU_CYCLE_1) | instskip(NEXT) | instid1(SALU_CYCLE_1)
	s_add_i32 s0, s34, s0
	s_add_i32 s29, s0, s35
	s_delay_alu instid0(SALU_CYCLE_1) | instskip(NEXT) | instid1(SALU_CYCLE_1)
	s_lshl_b64 s[2:3], s[28:29], 2
	s_add_u32 s0, s22, s2
	s_addc_u32 s8, s23, s3
	s_ashr_i32 s2, s5, 31
	s_mov_b32 s5, 0
	s_mul_i32 s21, s21, s2
	s_delay_alu instid0(SALU_CYCLE_1) | instskip(NEXT) | instid1(SALU_CYCLE_1)
	s_add_i32 s2, s9, s21
	s_add_i32 s11, s2, s33
	s_delay_alu instid0(SALU_CYCLE_1) | instskip(NEXT) | instid1(SALU_CYCLE_1)
	s_lshl_b64 s[2:3], s[10:11], 2
	s_add_u32 s2, s0, s2
	s_addc_u32 s3, s8, s3
	s_waitcnt lgkmcnt(0)
	s_and_b32 s4, s4, 0xffff
	.p2align	6
.LBB17_12:                              ; =>This Inner Loop Header: Depth=1
	v_ashrrev_i32_e32 v2, 31, v1
	s_delay_alu instid0(VALU_DEP_1) | instskip(NEXT) | instid1(VALU_DEP_1)
	v_lshlrev_b64 v[3:4], 1, v[1:2]
	v_add_co_u32 v3, vcc_lo, s1, v3
	s_delay_alu instid0(VALU_DEP_2) | instskip(SKIP_3) | instid1(VALU_DEP_1)
	v_add_co_ci_u32_e32 v4, vcc_lo, s7, v4, vcc_lo
	global_load_b32 v0, v[3:4], off
	v_lshlrev_b64 v[2:3], 2, v[1:2]
	v_add_nc_u32_e32 v1, s4, v1
	v_cmp_le_i32_e32 vcc_lo, s6, v1
	s_delay_alu instid0(VALU_DEP_3) | instskip(NEXT) | instid1(VALU_DEP_1)
	v_add_co_u32 v2, s0, s2, v2
	v_add_co_ci_u32_e64 v3, s0, s3, v3, s0
	s_or_b32 s5, vcc_lo, s5
	s_waitcnt vmcnt(0)
	global_store_b32 v[2:3], v0, off
	s_and_not1_b32 exec_lo, exec_lo, s5
	s_cbranch_execnz .LBB17_12
.LBB17_13:
	s_nop 0
	s_sendmsg sendmsg(MSG_DEALLOC_VGPRS)
	s_endpgm
.LBB17_14:
                                        ; implicit-def: $sgpr8_sgpr9
	s_branch .LBB17_6
	.section	.rodata,"a",@progbits
	.p2align	6, 0x0
	.amdhsa_kernel _ZN4vllm38concat_and_cache_mla_rope_fused_kernelIN3c108BFloat16ES2_Lb0EffLNS_18Fp8KVCacheDataTypeE0EEEvPKlPT_S7_PKS6_PKT0_illlliPT3_S5_iiiiPKf
		.amdhsa_group_segment_fixed_size 4096
		.amdhsa_private_segment_fixed_size 0
		.amdhsa_kernarg_size 384
		.amdhsa_user_sgpr_count 15
		.amdhsa_user_sgpr_dispatch_ptr 1
		.amdhsa_user_sgpr_queue_ptr 0
		.amdhsa_user_sgpr_kernarg_segment_ptr 1
		.amdhsa_user_sgpr_dispatch_id 0
		.amdhsa_user_sgpr_private_segment_size 0
		.amdhsa_wavefront_size32 1
		.amdhsa_uses_dynamic_stack 0
		.amdhsa_enable_private_segment 0
		.amdhsa_system_sgpr_workgroup_id_x 1
		.amdhsa_system_sgpr_workgroup_id_y 0
		.amdhsa_system_sgpr_workgroup_id_z 0
		.amdhsa_system_sgpr_workgroup_info 0
		.amdhsa_system_vgpr_workitem_id 2
		.amdhsa_next_free_vgpr 18
		.amdhsa_next_free_sgpr 45
		.amdhsa_reserve_vcc 1
		.amdhsa_float_round_mode_32 0
		.amdhsa_float_round_mode_16_64 0
		.amdhsa_float_denorm_mode_32 3
		.amdhsa_float_denorm_mode_16_64 3
		.amdhsa_dx10_clamp 1
		.amdhsa_ieee_mode 1
		.amdhsa_fp16_overflow 0
		.amdhsa_workgroup_processor_mode 1
		.amdhsa_memory_ordered 1
		.amdhsa_forward_progress 0
		.amdhsa_shared_vgpr_count 0
		.amdhsa_exception_fp_ieee_invalid_op 0
		.amdhsa_exception_fp_denorm_src 0
		.amdhsa_exception_fp_ieee_div_zero 0
		.amdhsa_exception_fp_ieee_overflow 0
		.amdhsa_exception_fp_ieee_underflow 0
		.amdhsa_exception_fp_ieee_inexact 0
		.amdhsa_exception_int_div_zero 0
	.end_amdhsa_kernel
	.section	.text._ZN4vllm38concat_and_cache_mla_rope_fused_kernelIN3c108BFloat16ES2_Lb0EffLNS_18Fp8KVCacheDataTypeE0EEEvPKlPT_S7_PKS6_PKT0_illlliPT3_S5_iiiiPKf,"axG",@progbits,_ZN4vllm38concat_and_cache_mla_rope_fused_kernelIN3c108BFloat16ES2_Lb0EffLNS_18Fp8KVCacheDataTypeE0EEEvPKlPT_S7_PKS6_PKT0_illlliPT3_S5_iiiiPKf,comdat
.Lfunc_end17:
	.size	_ZN4vllm38concat_and_cache_mla_rope_fused_kernelIN3c108BFloat16ES2_Lb0EffLNS_18Fp8KVCacheDataTypeE0EEEvPKlPT_S7_PKS6_PKT0_illlliPT3_S5_iiiiPKf, .Lfunc_end17-_ZN4vllm38concat_and_cache_mla_rope_fused_kernelIN3c108BFloat16ES2_Lb0EffLNS_18Fp8KVCacheDataTypeE0EEEvPKlPT_S7_PKS6_PKT0_illlliPT3_S5_iiiiPKf
                                        ; -- End function
	.section	.AMDGPU.csdata,"",@progbits
; Kernel info:
; codeLenInByte = 3040
; NumSgprs: 47
; NumVgprs: 18
; ScratchSize: 0
; MemoryBound: 0
; FloatMode: 240
; IeeeMode: 1
; LDSByteSize: 4096 bytes/workgroup (compile time only)
; SGPRBlocks: 5
; VGPRBlocks: 2
; NumSGPRsForWavesPerEU: 47
; NumVGPRsForWavesPerEU: 18
; Occupancy: 16
; WaveLimiterHint : 1
; COMPUTE_PGM_RSRC2:SCRATCH_EN: 0
; COMPUTE_PGM_RSRC2:USER_SGPR: 15
; COMPUTE_PGM_RSRC2:TRAP_HANDLER: 0
; COMPUTE_PGM_RSRC2:TGID_X_EN: 1
; COMPUTE_PGM_RSRC2:TGID_Y_EN: 0
; COMPUTE_PGM_RSRC2:TGID_Z_EN: 0
; COMPUTE_PGM_RSRC2:TIDIG_COMP_CNT: 2
	.section	.text._ZN4vllm38concat_and_cache_mla_rope_fused_kernelIffLb1EttLNS_18Fp8KVCacheDataTypeE0EEEvPKlPT_S5_PKS4_PKT0_illlliPT3_S3_iiiiPKf,"axG",@progbits,_ZN4vllm38concat_and_cache_mla_rope_fused_kernelIffLb1EttLNS_18Fp8KVCacheDataTypeE0EEEvPKlPT_S5_PKS4_PKT0_illlliPT3_S3_iiiiPKf,comdat
	.protected	_ZN4vllm38concat_and_cache_mla_rope_fused_kernelIffLb1EttLNS_18Fp8KVCacheDataTypeE0EEEvPKlPT_S5_PKS4_PKT0_illlliPT3_S3_iiiiPKf ; -- Begin function _ZN4vllm38concat_and_cache_mla_rope_fused_kernelIffLb1EttLNS_18Fp8KVCacheDataTypeE0EEEvPKlPT_S5_PKS4_PKT0_illlliPT3_S3_iiiiPKf
	.globl	_ZN4vllm38concat_and_cache_mla_rope_fused_kernelIffLb1EttLNS_18Fp8KVCacheDataTypeE0EEEvPKlPT_S5_PKS4_PKT0_illlliPT3_S3_iiiiPKf
	.p2align	8
	.type	_ZN4vllm38concat_and_cache_mla_rope_fused_kernelIffLb1EttLNS_18Fp8KVCacheDataTypeE0EEEvPKlPT_S5_PKS4_PKT0_illlliPT3_S3_iiiiPKf,@function
_ZN4vllm38concat_and_cache_mla_rope_fused_kernelIffLb1EttLNS_18Fp8KVCacheDataTypeE0EEEvPKlPT_S5_PKS4_PKT0_illlliPT3_S3_iiiiPKf: ; @_ZN4vllm38concat_and_cache_mla_rope_fused_kernelIffLb1EttLNS_18Fp8KVCacheDataTypeE0EEEvPKlPT_S5_PKS4_PKT0_illlliPT3_S3_iiiiPKf
; %bb.0:
	s_load_b64 s[4:5], s[0:1], 0x60
	s_mov_b32 s16, s15
	s_mov_b32 s17, 0
	s_delay_alu instid0(SALU_CYCLE_1)
	s_lshl_b64 s[2:3], s[16:17], 3
	s_waitcnt lgkmcnt(0)
	s_add_u32 s4, s4, s2
	s_addc_u32 s5, s5, s3
	s_load_b64 s[24:25], s[4:5], 0x0
	s_waitcnt lgkmcnt(0)
	v_cmp_lt_i64_e64 s4, s[24:25], 0
	s_delay_alu instid0(VALU_DEP_1)
	s_and_b32 vcc_lo, exec_lo, s4
	s_cbranch_vccnz .LBB18_13
; %bb.1:
	s_clause 0x2
	s_load_b32 s26, s[0:1], 0x28
	s_load_b64 s[4:5], s[0:1], 0x0
	s_load_b128 s[12:15], s[0:1], 0x10
	s_waitcnt lgkmcnt(0)
	s_ashr_i32 s17, s26, 31
	s_add_u32 s2, s4, s2
	s_addc_u32 s3, s5, s3
	s_load_b64 s[20:21], s[2:3], 0x0
	s_clause 0x3
	s_load_b64 s[2:3], s[0:1], 0x20
	s_load_b32 s27, s[0:1], 0x50
	s_load_b64 s[18:19], s[0:1], 0x58
	s_load_b256 s[4:11], s[0:1], 0x30
	s_waitcnt lgkmcnt(0)
	s_mul_i32 s17, s20, s17
	s_mul_hi_u32 s22, s20, s26
	s_mul_i32 s21, s21, s26
	s_add_i32 s17, s22, s17
	s_mul_i32 s20, s20, s26
	s_add_i32 s21, s17, s21
	s_delay_alu instid0(SALU_CYCLE_1) | instskip(NEXT) | instid1(SALU_CYCLE_1)
	s_lshl_b64 s[22:23], s[20:21], 2
	s_add_u32 s17, s2, s22
	s_addc_u32 s33, s3, s23
	s_lshr_b32 s20, s26, 31
	s_delay_alu instid0(SALU_CYCLE_1) | instskip(NEXT) | instid1(SALU_CYCLE_1)
	s_add_i32 s26, s26, s20
	s_ashr_i32 s20, s26, 1
	s_delay_alu instid0(SALU_CYCLE_1)
	s_mul_i32 s26, s20, s27
	s_mov_b32 s27, exec_lo
	v_cmpx_gt_i32_e64 s26, v0
	s_cbranch_execz .LBB18_4
; %bb.2:
	s_clause 0x1
	s_load_b64 s[28:29], s[0:1], 0x8
	s_load_b32 s31, s[0:1], 0x8c
	s_mul_i32 s5, s16, s5
	s_mul_hi_u32 s21, s16, s4
	s_mul_i32 s4, s16, s4
	s_add_i32 s5, s21, s5
	s_ashr_i32 s21, s20, 31
	s_lshl_b64 s[4:5], s[4:5], 2
	s_mov_b32 s34, 0
	s_waitcnt lgkmcnt(0)
	s_add_u32 s28, s28, s4
	s_addc_u32 s29, s29, s5
	s_abs_i32 s30, s20
	s_and_b32 s31, s31, 0xffff
	v_cvt_f32_u32_e32 v1, s30
	s_sub_i32 s4, 0, s30
	s_sub_i32 s35, 0, s20
	s_delay_alu instid0(VALU_DEP_1) | instskip(SKIP_2) | instid1(VALU_DEP_1)
	v_rcp_iflag_f32_e32 v1, v1
	s_waitcnt_depctr 0xfff
	v_mul_f32_e32 v1, 0x4f7ffffe, v1
	v_cvt_u32_f32_e32 v1, v1
	s_delay_alu instid0(VALU_DEP_1) | instskip(SKIP_1) | instid1(VALU_DEP_1)
	v_mul_lo_u32 v2, s4, v1
	s_lshl_b64 s[4:5], s[20:21], 2
	v_mul_hi_u32 v2, v1, v2
	s_delay_alu instid0(VALU_DEP_1)
	v_dual_mov_b32 v1, v0 :: v_dual_add_nc_u32 v2, v1, v2
.LBB18_3:                               ; =>This Inner Loop Header: Depth=1
	s_delay_alu instid0(VALU_DEP_1) | instskip(SKIP_1) | instid1(VALU_DEP_2)
	v_sub_nc_u32_e32 v3, 0, v1
	v_ashrrev_i32_e32 v4, 31, v1
	v_max_i32_e32 v3, v1, v3
	s_delay_alu instid0(VALU_DEP_2) | instskip(NEXT) | instid1(VALU_DEP_2)
	v_xor_b32_e32 v4, s21, v4
	v_mul_hi_u32 v5, v3, v2
	s_delay_alu instid0(VALU_DEP_1) | instskip(SKIP_1) | instid1(VALU_DEP_2)
	v_mul_lo_u32 v6, v5, s30
	v_add_nc_u32_e32 v7, 1, v5
	v_sub_nc_u32_e32 v3, v3, v6
	s_delay_alu instid0(VALU_DEP_1) | instskip(SKIP_1) | instid1(VALU_DEP_4)
	v_subrev_nc_u32_e32 v6, s30, v3
	v_cmp_le_u32_e32 vcc_lo, s30, v3
	v_cndmask_b32_e32 v5, v5, v7, vcc_lo
	s_delay_alu instid0(VALU_DEP_1) | instskip(NEXT) | instid1(VALU_DEP_1)
	v_dual_cndmask_b32 v3, v3, v6 :: v_dual_add_nc_u32 v6, 1, v5
	v_cmp_le_u32_e32 vcc_lo, s30, v3
	s_delay_alu instid0(VALU_DEP_2) | instskip(NEXT) | instid1(VALU_DEP_1)
	v_cndmask_b32_e32 v3, v5, v6, vcc_lo
	v_xor_b32_e32 v3, v3, v4
	s_delay_alu instid0(VALU_DEP_1) | instskip(NEXT) | instid1(VALU_DEP_1)
	v_sub_nc_u32_e32 v7, v3, v4
	v_ashrrev_i32_e32 v8, 31, v7
	v_mad_u64_u32 v[3:4], null, s35, v7, v[1:2]
	v_mul_lo_u32 v9, v7, s7
	v_mad_u64_u32 v[5:6], null, v7, s6, 0
	s_delay_alu instid0(VALU_DEP_4) | instskip(SKIP_2) | instid1(VALU_DEP_3)
	v_mul_lo_u32 v7, v8, s6
	v_add_nc_u32_e32 v1, s31, v1
	v_ashrrev_i32_e32 v4, 31, v3
	v_add3_u32 v6, v6, v9, v7
	s_delay_alu instid0(VALU_DEP_2) | instskip(NEXT) | instid1(VALU_DEP_2)
	v_lshlrev_b64 v[3:4], 2, v[3:4]
	v_lshlrev_b64 v[5:6], 2, v[5:6]
	s_delay_alu instid0(VALU_DEP_2) | instskip(NEXT) | instid1(VALU_DEP_3)
	v_add_co_u32 v7, vcc_lo, s17, v3
	v_add_co_ci_u32_e32 v8, vcc_lo, s33, v4, vcc_lo
	s_delay_alu instid0(VALU_DEP_3) | instskip(NEXT) | instid1(VALU_DEP_4)
	v_add_co_u32 v9, vcc_lo, s28, v5
	v_add_co_ci_u32_e32 v10, vcc_lo, s29, v6, vcc_lo
	s_delay_alu instid0(VALU_DEP_4) | instskip(NEXT) | instid1(VALU_DEP_4)
	v_add_co_u32 v5, vcc_lo, v7, s4
	v_add_co_ci_u32_e32 v6, vcc_lo, s5, v8, vcc_lo
	s_delay_alu instid0(VALU_DEP_4) | instskip(NEXT) | instid1(VALU_DEP_4)
	v_add_co_u32 v3, vcc_lo, v9, v3
	v_add_co_ci_u32_e32 v4, vcc_lo, v10, v4, vcc_lo
	s_delay_alu instid0(VALU_DEP_2) | instskip(NEXT) | instid1(VALU_DEP_2)
	v_add_co_u32 v9, vcc_lo, v3, s4
	v_add_co_ci_u32_e32 v10, vcc_lo, s5, v4, vcc_lo
	s_clause 0x1
	global_load_b32 v7, v[7:8], off
	global_load_b32 v5, v[5:6], off
	s_clause 0x1
	global_load_b32 v6, v[3:4], off
	global_load_b32 v8, v[9:10], off
	v_cmp_le_i32_e32 vcc_lo, s26, v1
	s_or_b32 s34, vcc_lo, s34
	s_waitcnt vmcnt(0)
	v_mul_f32_e32 v11, v5, v8
	v_mul_f32_e32 v8, v7, v8
	s_delay_alu instid0(VALU_DEP_2) | instskip(NEXT) | instid1(VALU_DEP_2)
	v_fma_f32 v7, v7, v6, -v11
	v_fmac_f32_e32 v8, v5, v6
	s_clause 0x1
	global_store_b32 v[3:4], v7, off
	global_store_b32 v[9:10], v8, off
	s_and_not1_b32 exec_lo, exec_lo, s34
	s_cbranch_execnz .LBB18_3
.LBB18_4:
	s_or_b32 exec_lo, exec_lo, s27
	s_load_b128 s[4:7], s[0:1], 0x68
	s_waitcnt lgkmcnt(0)
	s_ashr_i32 s29, s7, 31
	s_mov_b32 s28, s7
	s_delay_alu instid0(SALU_CYCLE_1) | instskip(SKIP_1) | instid1(SALU_CYCLE_1)
	s_or_b64 s[30:31], s[24:25], s[28:29]
	s_mov_b32 s30, 0
	s_cmp_lg_u64 s[30:31], 0
	s_cbranch_scc0 .LBB18_14
; %bb.5:
	s_add_u32 s34, s28, s29
	s_mov_b32 s26, s29
	s_mov_b32 s27, s29
	s_addc_u32 s35, s29, s29
	s_delay_alu instid0(SALU_CYCLE_1) | instskip(NEXT) | instid1(SALU_CYCLE_1)
	s_xor_b64 s[34:35], s[34:35], s[26:27]
	v_cvt_f32_u32_e32 v1, s34
	v_cvt_f32_u32_e32 v2, s35
	s_sub_u32 s31, 0, s34
	s_subb_u32 s36, 0, s35
	s_delay_alu instid0(VALU_DEP_1) | instskip(NEXT) | instid1(VALU_DEP_1)
	v_fmamk_f32 v1, v2, 0x4f800000, v1
	v_rcp_f32_e32 v1, v1
	s_waitcnt_depctr 0xfff
	v_mul_f32_e32 v1, 0x5f7ffffc, v1
	s_delay_alu instid0(VALU_DEP_1) | instskip(NEXT) | instid1(VALU_DEP_1)
	v_mul_f32_e32 v2, 0x2f800000, v1
	v_trunc_f32_e32 v2, v2
	s_delay_alu instid0(VALU_DEP_1) | instskip(SKIP_1) | instid1(VALU_DEP_2)
	v_fmamk_f32 v1, v2, 0xcf800000, v1
	v_cvt_u32_f32_e32 v2, v2
	v_cvt_u32_f32_e32 v1, v1
	s_delay_alu instid0(VALU_DEP_2) | instskip(NEXT) | instid1(VALU_DEP_2)
	v_readfirstlane_b32 s7, v2
	v_readfirstlane_b32 s21, v1
	s_delay_alu instid0(VALU_DEP_2) | instskip(NEXT) | instid1(VALU_DEP_1)
	s_mul_i32 s37, s31, s7
	s_mul_hi_u32 s39, s31, s21
	s_mul_i32 s38, s36, s21
	s_add_i32 s37, s39, s37
	s_mul_i32 s40, s31, s21
	s_add_i32 s37, s37, s38
	s_mul_hi_u32 s39, s21, s40
	s_mul_hi_u32 s41, s7, s40
	s_mul_i32 s38, s7, s40
	s_mul_hi_u32 s40, s21, s37
	s_mul_i32 s21, s21, s37
	s_mul_hi_u32 s42, s7, s37
	s_add_u32 s21, s39, s21
	s_addc_u32 s39, 0, s40
	s_add_u32 s21, s21, s38
	s_mul_i32 s37, s7, s37
	s_addc_u32 s21, s39, s41
	s_addc_u32 s38, s42, 0
	s_add_u32 s21, s21, s37
	s_addc_u32 s37, 0, s38
	v_add_co_u32 v1, s21, v1, s21
	s_delay_alu instid0(VALU_DEP_1) | instskip(SKIP_1) | instid1(VALU_DEP_1)
	s_cmp_lg_u32 s21, 0
	s_addc_u32 s7, s7, s37
	v_readfirstlane_b32 s21, v1
	s_mul_i32 s37, s31, s7
	s_delay_alu instid0(VALU_DEP_1)
	s_mul_hi_u32 s38, s31, s21
	s_mul_i32 s36, s36, s21
	s_add_i32 s37, s38, s37
	s_mul_i32 s31, s31, s21
	s_add_i32 s37, s37, s36
	s_mul_hi_u32 s38, s7, s31
	s_mul_i32 s39, s7, s31
	s_mul_hi_u32 s31, s21, s31
	s_mul_hi_u32 s40, s21, s37
	s_mul_i32 s21, s21, s37
	s_mul_hi_u32 s36, s7, s37
	s_add_u32 s21, s31, s21
	s_addc_u32 s31, 0, s40
	s_add_u32 s21, s21, s39
	s_mul_i32 s37, s7, s37
	s_addc_u32 s21, s31, s38
	s_addc_u32 s31, s36, 0
	s_add_u32 s21, s21, s37
	s_addc_u32 s31, 0, s31
	v_add_co_u32 v1, s21, v1, s21
	s_delay_alu instid0(VALU_DEP_1) | instskip(SKIP_2) | instid1(VALU_DEP_1)
	s_cmp_lg_u32 s21, 0
	s_addc_u32 s7, s7, s31
	s_ashr_i32 s36, s25, 31
	v_readfirstlane_b32 s21, v1
	s_add_u32 s38, s24, s36
	s_mov_b32 s37, s36
	s_addc_u32 s39, s25, s36
	s_delay_alu instid0(SALU_CYCLE_1) | instskip(NEXT) | instid1(SALU_CYCLE_1)
	s_xor_b64 s[38:39], s[38:39], s[36:37]
	s_mul_i32 s40, s38, s7
	s_mul_hi_u32 s41, s38, s21
	s_mul_hi_u32 s31, s38, s7
	;; [unrolled: 1-line block ×3, first 2 shown]
	s_mul_i32 s21, s39, s21
	s_add_u32 s40, s41, s40
	s_addc_u32 s31, 0, s31
	s_mul_hi_u32 s42, s39, s7
	s_add_u32 s21, s40, s21
	s_mul_i32 s7, s39, s7
	s_addc_u32 s21, s31, s43
	s_addc_u32 s31, s42, 0
	s_add_u32 s7, s21, s7
	s_addc_u32 s21, 0, s31
	s_mul_i32 s42, s34, s7
	s_mul_hi_u32 s31, s34, s7
	s_mul_i32 s41, s34, s21
	v_sub_co_u32 v1, s38, s38, s42
	s_mul_i32 s40, s35, s7
	s_add_i32 s31, s31, s41
	s_delay_alu instid0(SALU_CYCLE_1) | instskip(NEXT) | instid1(VALU_DEP_1)
	s_add_i32 s31, s31, s40
	v_sub_co_u32 v2, s41, v1, s34
	s_sub_i32 s40, s39, s31
	s_cmp_lg_u32 s38, 0
	s_subb_u32 s40, s40, s35
	s_cmp_lg_u32 s41, 0
	v_readfirstlane_b32 s41, v2
	s_subb_u32 s40, s40, 0
	s_delay_alu instid0(SALU_CYCLE_1) | instskip(SKIP_1) | instid1(VALU_DEP_1)
	s_cmp_ge_u32 s40, s35
	s_cselect_b32 s42, -1, 0
	s_cmp_ge_u32 s41, s34
	s_cselect_b32 s41, -1, 0
	s_cmp_eq_u32 s40, s35
	s_cselect_b32 s40, s41, s42
	s_add_u32 s41, s7, 1
	s_addc_u32 s42, s21, 0
	s_add_u32 s43, s7, 2
	s_addc_u32 s44, s21, 0
	s_cmp_lg_u32 s40, 0
	s_cselect_b32 s40, s43, s41
	s_cselect_b32 s41, s44, s42
	s_cmp_lg_u32 s38, 0
	v_readfirstlane_b32 s38, v1
	s_subb_u32 s31, s39, s31
	s_delay_alu instid0(SALU_CYCLE_1) | instskip(SKIP_1) | instid1(VALU_DEP_1)
	s_cmp_ge_u32 s31, s35
	s_cselect_b32 s39, -1, 0
	s_cmp_ge_u32 s38, s34
	s_cselect_b32 s34, -1, 0
	s_cmp_eq_u32 s31, s35
	s_cselect_b32 s31, s34, s39
	s_delay_alu instid0(SALU_CYCLE_1) | instskip(SKIP_3) | instid1(SALU_CYCLE_1)
	s_cmp_lg_u32 s31, 0
	s_cselect_b32 s35, s41, s21
	s_cselect_b32 s34, s40, s7
	s_xor_b64 s[26:27], s[36:37], s[26:27]
	s_xor_b64 s[34:35], s[34:35], s[26:27]
	s_delay_alu instid0(SALU_CYCLE_1)
	s_sub_u32 s26, s34, s26
	s_subb_u32 s27, s35, s27
	s_and_not1_b32 vcc_lo, exec_lo, s30
	s_cbranch_vccnz .LBB18_7
.LBB18_6:
	v_cvt_f32_u32_e32 v1, s28
	s_sub_i32 s21, 0, s28
	s_delay_alu instid0(VALU_DEP_1) | instskip(SKIP_2) | instid1(VALU_DEP_1)
	v_rcp_iflag_f32_e32 v1, v1
	s_waitcnt_depctr 0xfff
	v_mul_f32_e32 v1, 0x4f7ffffe, v1
	v_cvt_u32_f32_e32 v1, v1
	s_delay_alu instid0(VALU_DEP_1) | instskip(NEXT) | instid1(VALU_DEP_1)
	v_readfirstlane_b32 s7, v1
	s_mul_i32 s21, s21, s7
	s_delay_alu instid0(SALU_CYCLE_1) | instskip(NEXT) | instid1(SALU_CYCLE_1)
	s_mul_hi_u32 s21, s7, s21
	s_add_i32 s7, s7, s21
	s_delay_alu instid0(SALU_CYCLE_1) | instskip(NEXT) | instid1(SALU_CYCLE_1)
	s_mul_hi_u32 s7, s24, s7
	s_mul_i32 s21, s7, s28
	s_add_i32 s26, s7, 1
	s_sub_i32 s21, s24, s21
	s_delay_alu instid0(SALU_CYCLE_1)
	s_sub_i32 s27, s21, s28
	s_cmp_ge_u32 s21, s28
	s_cselect_b32 s7, s26, s7
	s_cselect_b32 s21, s27, s21
	s_add_i32 s26, s7, 1
	s_cmp_ge_u32 s21, s28
	s_mov_b32 s27, 0
	s_cselect_b32 s26, s26, s7
.LBB18_7:
	s_delay_alu instid0(SALU_CYCLE_1)
	s_mul_i32 s7, s26, s29
	s_mul_hi_u32 s21, s26, s28
	s_mul_hi_u32 s34, s26, s4
	s_add_i32 s7, s21, s7
	s_mul_i32 s21, s27, s28
	s_mul_i32 s28, s26, s28
	s_add_i32 s7, s7, s21
	s_sub_u32 s30, s24, s28
	s_subb_u32 s31, s25, s7
	s_mul_i32 s35, s27, s4
	s_mul_i32 s28, s26, s4
	s_mul_hi_u32 s27, s30, s5
	s_mul_i32 s31, s31, s5
	s_mul_i32 s24, s30, s5
	s_mov_b32 s36, exec_lo
	v_cmpx_gt_i32_e64 s20, v0
	s_cbranch_execz .LBB18_10
; %bb.8:
	s_load_b32 s25, s[0:1], 0x8c
	s_mul_i32 s7, s16, s9
	s_mul_hi_u32 s9, s16, s8
	s_mul_i32 s8, s16, s8
	s_add_i32 s9, s9, s7
	s_ashr_i32 s21, s20, 31
	s_lshl_b64 s[8:9], s[8:9], 2
	v_lshlrev_b32_e32 v1, 1, v0
	s_add_u32 s37, s12, s8
	s_addc_u32 s38, s13, s9
	s_ashr_i32 s40, s5, 31
	s_lshl_b64 s[42:43], s[20:21], 2
	s_ashr_i32 s29, s4, 31
	s_ashr_i32 s7, s6, 31
	s_mul_i32 s29, s26, s29
	v_dual_mov_b32 v4, v0 :: v_dual_lshlrev_b32 v3, 2, v0
	s_waitcnt lgkmcnt(0)
	s_and_b32 s39, s25, 0xffff
	s_mul_i32 s25, s30, s40
	s_lshl_b32 s40, s39, 2
	s_add_u32 s22, s22, s42
	s_addc_u32 s23, s23, s43
	s_add_u32 s22, s2, s22
	s_addc_u32 s3, s3, s23
	;; [unrolled: 2-line block ×4, first 2 shown]
	s_add_i32 s2, s34, s29
	s_add_i32 s8, s27, s25
	;; [unrolled: 1-line block ×4, first 2 shown]
	s_lshl_b64 s[42:43], s[28:29], 1
	s_lshl_b64 s[44:45], s[24:25], 1
	;; [unrolled: 1-line block ×3, first 2 shown]
	s_add_u32 s2, s42, s44
	s_addc_u32 s21, s43, s45
	s_lshl_b64 s[42:43], s[6:7], 1
	s_delay_alu instid0(SALU_CYCLE_1) | instskip(SKIP_4) | instid1(VALU_DEP_1)
	s_add_u32 s2, s2, s42
	s_addc_u32 s7, s21, s43
	s_add_u32 s2, s18, s2
	s_addc_u32 s7, s19, s7
	v_add_co_u32 v1, s2, s2, v1
	v_add_co_ci_u32_e64 v2, null, s7, 0, s2
	s_mov_b32 s7, 0
	s_lshl_b32 s21, s39, 1
.LBB18_9:                               ; =>This Inner Loop Header: Depth=1
	v_add_co_u32 v5, s2, s17, v3
	s_delay_alu instid0(VALU_DEP_1) | instskip(SKIP_1) | instid1(VALU_DEP_1)
	v_add_co_ci_u32_e64 v6, null, s33, 0, s2
	v_add_co_u32 v7, s2, s22, v3
	v_add_co_ci_u32_e64 v8, null, s3, 0, s2
	v_add_co_u32 v9, s2, s12, v3
	s_delay_alu instid0(VALU_DEP_1) | instskip(SKIP_1) | instid1(VALU_DEP_1)
	v_add_co_ci_u32_e64 v10, null, s13, 0, s2
	v_add_co_u32 v11, s2, s37, v3
	v_add_co_ci_u32_e64 v12, null, s38, 0, s2
	global_load_b32 v7, v[7:8], off
	global_load_b32 v8, v[9:10], off
	global_load_b32 v13, v[5:6], off
	global_load_b32 v14, v[11:12], off
	v_add_nc_u32_e32 v4, s39, v4
	v_add_co_u32 v5, vcc_lo, v1, s8
	s_add_u32 s17, s17, s40
	s_addc_u32 s33, s33, 0
	v_add_co_ci_u32_e32 v6, vcc_lo, s9, v2, vcc_lo
	s_add_u32 s22, s22, s40
	s_addc_u32 s3, s3, 0
	v_cmp_le_i32_e32 vcc_lo, s20, v4
	s_add_u32 s12, s12, s40
	s_addc_u32 s13, s13, 0
	s_add_u32 s37, s37, s40
	s_addc_u32 s38, s38, 0
	s_or_b32 s7, vcc_lo, s7
	s_waitcnt vmcnt(2)
	v_mul_f32_e32 v15, v7, v8
	s_waitcnt vmcnt(1)
	v_mul_f32_e32 v8, v13, v8
	s_waitcnt vmcnt(0)
	s_delay_alu instid0(VALU_DEP_2) | instskip(NEXT) | instid1(VALU_DEP_2)
	v_fma_f32 v13, v13, v14, -v15
	v_fmac_f32_e32 v8, v7, v14
	global_store_b16 v[1:2], v13, off
	v_add_co_u32 v1, s2, v1, s21
	s_delay_alu instid0(VALU_DEP_1)
	v_add_co_ci_u32_e64 v2, s2, 0, v2, s2
	global_store_b32 v[11:12], v13, off
	global_store_b32 v[9:10], v8, off
	global_store_b16 v[5:6], v8, off
	s_and_not1_b32 exec_lo, exec_lo, s7
	s_cbranch_execnz .LBB18_9
.LBB18_10:
	s_or_b32 exec_lo, exec_lo, s36
	s_delay_alu instid0(SALU_CYCLE_1)
	s_mov_b32 s2, exec_lo
	v_cmpx_gt_i32_e64 s6, v0
	s_cbranch_execz .LBB18_13
; %bb.11:
	s_mul_i32 s3, s16, s11
	s_mul_hi_u32 s7, s16, s10
	s_mul_i32 s2, s16, s10
	s_add_i32 s3, s7, s3
	s_load_b32 s7, s[0:1], 0x8c
	s_lshl_b64 s[2:3], s[2:3], 2
	s_delay_alu instid0(SALU_CYCLE_1) | instskip(SKIP_2) | instid1(SALU_CYCLE_1)
	s_add_u32 s2, s14, s2
	s_addc_u32 s3, s15, s3
	s_ashr_i32 s4, s4, 31
	s_mul_i32 s4, s26, s4
	s_delay_alu instid0(SALU_CYCLE_1) | instskip(NEXT) | instid1(SALU_CYCLE_1)
	s_add_i32 s0, s34, s4
	s_add_i32 s29, s0, s35
	s_delay_alu instid0(SALU_CYCLE_1) | instskip(NEXT) | instid1(SALU_CYCLE_1)
	s_lshl_b64 s[0:1], s[28:29], 1
	s_add_u32 s0, s18, s0
	s_addc_u32 s8, s19, s1
	s_ashr_i32 s1, s5, 31
	s_delay_alu instid0(SALU_CYCLE_1) | instskip(NEXT) | instid1(SALU_CYCLE_1)
	s_mul_i32 s30, s30, s1
	s_add_i32 s1, s27, s30
	s_delay_alu instid0(SALU_CYCLE_1) | instskip(NEXT) | instid1(SALU_CYCLE_1)
	s_add_i32 s25, s1, s31
	s_lshl_b64 s[4:5], s[24:25], 1
	s_delay_alu instid0(SALU_CYCLE_1)
	s_add_u32 s1, s0, s4
	s_addc_u32 s4, s8, s5
	s_waitcnt lgkmcnt(0)
	s_and_b32 s5, s7, 0xffff
	s_mov_b32 s7, 0
	.p2align	6
.LBB18_12:                              ; =>This Inner Loop Header: Depth=1
	v_ashrrev_i32_e32 v1, 31, v0
	s_delay_alu instid0(VALU_DEP_1) | instskip(NEXT) | instid1(VALU_DEP_1)
	v_lshlrev_b64 v[2:3], 2, v[0:1]
	v_add_co_u32 v2, vcc_lo, s2, v2
	s_delay_alu instid0(VALU_DEP_2) | instskip(SKIP_3) | instid1(VALU_DEP_1)
	v_add_co_ci_u32_e32 v3, vcc_lo, s3, v3, vcc_lo
	global_load_u16 v3, v[2:3], off
	v_lshlrev_b64 v[1:2], 1, v[0:1]
	v_add_nc_u32_e32 v0, s5, v0
	v_cmp_le_i32_e32 vcc_lo, s6, v0
	s_delay_alu instid0(VALU_DEP_3) | instskip(NEXT) | instid1(VALU_DEP_1)
	v_add_co_u32 v1, s0, s1, v1
	v_add_co_ci_u32_e64 v2, s0, s4, v2, s0
	s_or_b32 s7, vcc_lo, s7
	s_waitcnt vmcnt(0)
	global_store_b16 v[1:2], v3, off
	s_and_not1_b32 exec_lo, exec_lo, s7
	s_cbranch_execnz .LBB18_12
.LBB18_13:
	s_nop 0
	s_sendmsg sendmsg(MSG_DEALLOC_VGPRS)
	s_endpgm
.LBB18_14:
                                        ; implicit-def: $sgpr26_sgpr27
	s_branch .LBB18_6
	.section	.rodata,"a",@progbits
	.p2align	6, 0x0
	.amdhsa_kernel _ZN4vllm38concat_and_cache_mla_rope_fused_kernelIffLb1EttLNS_18Fp8KVCacheDataTypeE0EEEvPKlPT_S5_PKS4_PKT0_illlliPT3_S3_iiiiPKf
		.amdhsa_group_segment_fixed_size 0
		.amdhsa_private_segment_fixed_size 0
		.amdhsa_kernarg_size 384
		.amdhsa_user_sgpr_count 15
		.amdhsa_user_sgpr_dispatch_ptr 0
		.amdhsa_user_sgpr_queue_ptr 0
		.amdhsa_user_sgpr_kernarg_segment_ptr 1
		.amdhsa_user_sgpr_dispatch_id 0
		.amdhsa_user_sgpr_private_segment_size 0
		.amdhsa_wavefront_size32 1
		.amdhsa_uses_dynamic_stack 0
		.amdhsa_enable_private_segment 0
		.amdhsa_system_sgpr_workgroup_id_x 1
		.amdhsa_system_sgpr_workgroup_id_y 0
		.amdhsa_system_sgpr_workgroup_id_z 0
		.amdhsa_system_sgpr_workgroup_info 0
		.amdhsa_system_vgpr_workitem_id 0
		.amdhsa_next_free_vgpr 16
		.amdhsa_next_free_sgpr 46
		.amdhsa_reserve_vcc 1
		.amdhsa_float_round_mode_32 0
		.amdhsa_float_round_mode_16_64 0
		.amdhsa_float_denorm_mode_32 3
		.amdhsa_float_denorm_mode_16_64 3
		.amdhsa_dx10_clamp 1
		.amdhsa_ieee_mode 1
		.amdhsa_fp16_overflow 0
		.amdhsa_workgroup_processor_mode 1
		.amdhsa_memory_ordered 1
		.amdhsa_forward_progress 0
		.amdhsa_shared_vgpr_count 0
		.amdhsa_exception_fp_ieee_invalid_op 0
		.amdhsa_exception_fp_denorm_src 0
		.amdhsa_exception_fp_ieee_div_zero 0
		.amdhsa_exception_fp_ieee_overflow 0
		.amdhsa_exception_fp_ieee_underflow 0
		.amdhsa_exception_fp_ieee_inexact 0
		.amdhsa_exception_int_div_zero 0
	.end_amdhsa_kernel
	.section	.text._ZN4vllm38concat_and_cache_mla_rope_fused_kernelIffLb1EttLNS_18Fp8KVCacheDataTypeE0EEEvPKlPT_S5_PKS4_PKT0_illlliPT3_S3_iiiiPKf,"axG",@progbits,_ZN4vllm38concat_and_cache_mla_rope_fused_kernelIffLb1EttLNS_18Fp8KVCacheDataTypeE0EEEvPKlPT_S5_PKS4_PKT0_illlliPT3_S3_iiiiPKf,comdat
.Lfunc_end18:
	.size	_ZN4vllm38concat_and_cache_mla_rope_fused_kernelIffLb1EttLNS_18Fp8KVCacheDataTypeE0EEEvPKlPT_S5_PKS4_PKT0_illlliPT3_S3_iiiiPKf, .Lfunc_end18-_ZN4vllm38concat_and_cache_mla_rope_fused_kernelIffLb1EttLNS_18Fp8KVCacheDataTypeE0EEEvPKlPT_S5_PKS4_PKT0_illlliPT3_S3_iiiiPKf
                                        ; -- End function
	.section	.AMDGPU.csdata,"",@progbits
; Kernel info:
; codeLenInByte = 2336
; NumSgprs: 48
; NumVgprs: 16
; ScratchSize: 0
; MemoryBound: 0
; FloatMode: 240
; IeeeMode: 1
; LDSByteSize: 0 bytes/workgroup (compile time only)
; SGPRBlocks: 5
; VGPRBlocks: 1
; NumSGPRsForWavesPerEU: 48
; NumVGPRsForWavesPerEU: 16
; Occupancy: 16
; WaveLimiterHint : 1
; COMPUTE_PGM_RSRC2:SCRATCH_EN: 0
; COMPUTE_PGM_RSRC2:USER_SGPR: 15
; COMPUTE_PGM_RSRC2:TRAP_HANDLER: 0
; COMPUTE_PGM_RSRC2:TGID_X_EN: 1
; COMPUTE_PGM_RSRC2:TGID_Y_EN: 0
; COMPUTE_PGM_RSRC2:TGID_Z_EN: 0
; COMPUTE_PGM_RSRC2:TIDIG_COMP_CNT: 0
	.section	.text._ZN4vllm38concat_and_cache_mla_rope_fused_kernelIffLb0EttLNS_18Fp8KVCacheDataTypeE0EEEvPKlPT_S5_PKS4_PKT0_illlliPT3_S3_iiiiPKf,"axG",@progbits,_ZN4vllm38concat_and_cache_mla_rope_fused_kernelIffLb0EttLNS_18Fp8KVCacheDataTypeE0EEEvPKlPT_S5_PKS4_PKT0_illlliPT3_S3_iiiiPKf,comdat
	.protected	_ZN4vllm38concat_and_cache_mla_rope_fused_kernelIffLb0EttLNS_18Fp8KVCacheDataTypeE0EEEvPKlPT_S5_PKS4_PKT0_illlliPT3_S3_iiiiPKf ; -- Begin function _ZN4vllm38concat_and_cache_mla_rope_fused_kernelIffLb0EttLNS_18Fp8KVCacheDataTypeE0EEEvPKlPT_S5_PKS4_PKT0_illlliPT3_S3_iiiiPKf
	.globl	_ZN4vllm38concat_and_cache_mla_rope_fused_kernelIffLb0EttLNS_18Fp8KVCacheDataTypeE0EEEvPKlPT_S5_PKS4_PKT0_illlliPT3_S3_iiiiPKf
	.p2align	8
	.type	_ZN4vllm38concat_and_cache_mla_rope_fused_kernelIffLb0EttLNS_18Fp8KVCacheDataTypeE0EEEvPKlPT_S5_PKS4_PKT0_illlliPT3_S3_iiiiPKf,@function
_ZN4vllm38concat_and_cache_mla_rope_fused_kernelIffLb0EttLNS_18Fp8KVCacheDataTypeE0EEEvPKlPT_S5_PKS4_PKT0_illlliPT3_S3_iiiiPKf: ; @_ZN4vllm38concat_and_cache_mla_rope_fused_kernelIffLb0EttLNS_18Fp8KVCacheDataTypeE0EEEvPKlPT_S5_PKS4_PKT0_illlliPT3_S3_iiiiPKf
; %bb.0:
	s_load_b64 s[4:5], s[0:1], 0x60
	s_mov_b32 s16, s15
	s_mov_b32 s17, 0
	s_delay_alu instid0(SALU_CYCLE_1)
	s_lshl_b64 s[2:3], s[16:17], 3
	s_waitcnt lgkmcnt(0)
	s_add_u32 s4, s4, s2
	s_addc_u32 s5, s5, s3
	s_load_b64 s[22:23], s[4:5], 0x0
	s_waitcnt lgkmcnt(0)
	v_cmp_lt_i64_e64 s4, s[22:23], 0
	s_delay_alu instid0(VALU_DEP_1)
	s_and_b32 vcc_lo, exec_lo, s4
	s_cbranch_vccnz .LBB19_13
; %bb.1:
	s_clause 0x3
	s_load_b32 s21, s[0:1], 0x28
	s_load_b64 s[4:5], s[0:1], 0x0
	s_load_b128 s[12:15], s[0:1], 0x10
	s_load_b32 s17, s[0:1], 0x50
	s_waitcnt lgkmcnt(0)
	s_ashr_i32 s26, s21, 31
	s_add_u32 s2, s4, s2
	s_addc_u32 s3, s5, s3
	s_lshr_b32 s20, s21, 31
	s_load_b64 s[24:25], s[2:3], 0x0
	s_clause 0x2
	s_load_b64 s[2:3], s[0:1], 0x20
	s_load_b64 s[18:19], s[0:1], 0x58
	s_load_b256 s[4:11], s[0:1], 0x30
	s_add_i32 s20, s21, s20
	s_delay_alu instid0(SALU_CYCLE_1) | instskip(NEXT) | instid1(SALU_CYCLE_1)
	s_ashr_i32 s20, s20, 1
	s_mul_i32 s17, s20, s17
	s_waitcnt lgkmcnt(0)
	s_mul_i32 s26, s24, s26
	s_mul_hi_u32 s27, s24, s21
	s_mul_i32 s25, s25, s21
	s_add_i32 s26, s27, s26
	s_mul_i32 s24, s24, s21
	s_add_i32 s25, s26, s25
	s_mov_b32 s26, exec_lo
	v_cmpx_gt_i32_e64 s17, v0
	s_cbranch_execz .LBB19_4
; %bb.2:
	s_clause 0x1
	s_load_b64 s[30:31], s[0:1], 0x8
	s_load_b32 s34, s[0:1], 0x8c
	s_lshl_b64 s[28:29], s[24:25], 2
	s_mul_i32 s5, s16, s5
	s_mul_hi_u32 s21, s16, s4
	s_add_u32 s27, s2, s28
	s_mul_i32 s4, s16, s4
	s_addc_u32 s28, s3, s29
	s_add_i32 s5, s21, s5
	s_ashr_i32 s21, s20, 31
	s_lshl_b64 s[4:5], s[4:5], 2
	s_mov_b32 s33, 0
	s_waitcnt lgkmcnt(0)
	s_add_u32 s29, s30, s4
	s_addc_u32 s30, s31, s5
	s_abs_i32 s31, s20
	s_and_b32 s34, s34, 0xffff
	v_cvt_f32_u32_e32 v1, s31
	s_sub_i32 s4, 0, s31
	s_sub_i32 s35, 0, s20
	s_lshl_b32 s37, s34, 1
	s_delay_alu instid0(VALU_DEP_1) | instskip(SKIP_2) | instid1(VALU_DEP_1)
	v_rcp_iflag_f32_e32 v1, v1
	s_waitcnt_depctr 0xfff
	v_mul_f32_e32 v1, 0x4f7ffffe, v1
	v_cvt_u32_f32_e32 v2, v1
	s_delay_alu instid0(VALU_DEP_1) | instskip(SKIP_1) | instid1(SALU_CYCLE_1)
	v_mul_lo_u32 v1, s4, v2
	s_lshl_b32 s4, s20, 1
	s_sub_i32 s36, 0, s4
	s_lshl_b64 s[4:5], s[20:21], 2
	s_delay_alu instid0(VALU_DEP_1) | instskip(SKIP_1) | instid1(VALU_DEP_2)
	v_mul_hi_u32 v3, v2, v1
	v_lshlrev_b32_e32 v1, 1, v0
	v_dual_mov_b32 v2, v0 :: v_dual_add_nc_u32 v3, v2, v3
.LBB19_3:                               ; =>This Inner Loop Header: Depth=1
	s_delay_alu instid0(VALU_DEP_1) | instskip(SKIP_1) | instid1(VALU_DEP_2)
	v_sub_nc_u32_e32 v4, 0, v2
	v_ashrrev_i32_e32 v5, 31, v2
	v_max_i32_e32 v4, v2, v4
	s_delay_alu instid0(VALU_DEP_2) | instskip(NEXT) | instid1(VALU_DEP_2)
	v_xor_b32_e32 v5, s21, v5
	v_mul_hi_u32 v6, v4, v3
	s_delay_alu instid0(VALU_DEP_1) | instskip(SKIP_1) | instid1(VALU_DEP_2)
	v_mul_lo_u32 v7, v6, s31
	v_add_nc_u32_e32 v8, 1, v6
	v_sub_nc_u32_e32 v4, v4, v7
	s_delay_alu instid0(VALU_DEP_1) | instskip(SKIP_1) | instid1(VALU_DEP_4)
	v_subrev_nc_u32_e32 v7, s31, v4
	v_cmp_le_u32_e32 vcc_lo, s31, v4
	v_cndmask_b32_e32 v6, v6, v8, vcc_lo
	s_delay_alu instid0(VALU_DEP_1) | instskip(NEXT) | instid1(VALU_DEP_1)
	v_dual_cndmask_b32 v4, v4, v7 :: v_dual_add_nc_u32 v7, 1, v6
	v_cmp_le_u32_e32 vcc_lo, s31, v4
	s_delay_alu instid0(VALU_DEP_2) | instskip(NEXT) | instid1(VALU_DEP_1)
	v_cndmask_b32_e32 v4, v6, v7, vcc_lo
	v_xor_b32_e32 v4, v4, v5
	s_delay_alu instid0(VALU_DEP_1) | instskip(NEXT) | instid1(VALU_DEP_1)
	v_sub_nc_u32_e32 v10, v4, v5
	v_mad_u64_u32 v[4:5], null, s35, v10, v[2:3]
	v_ashrrev_i32_e32 v5, 31, v10
	v_mul_lo_u32 v11, v10, s7
	v_mad_u64_u32 v[6:7], null, v10, s6, 0
	v_mad_u64_u32 v[8:9], null, s36, v10, v[1:2]
	s_delay_alu instid0(VALU_DEP_4) | instskip(SKIP_3) | instid1(VALU_DEP_3)
	v_mul_lo_u32 v10, v5, s6
	v_ashrrev_i32_e32 v5, 31, v4
	v_add_nc_u32_e32 v2, s34, v2
	v_add_nc_u32_e32 v1, s37, v1
	v_lshlrev_b64 v[4:5], 2, v[4:5]
	v_ashrrev_i32_e32 v9, 31, v8
	v_add3_u32 v7, v7, v11, v10
	s_delay_alu instid0(VALU_DEP_3) | instskip(NEXT) | instid1(VALU_DEP_2)
	v_add_co_u32 v4, vcc_lo, s27, v4
	v_lshlrev_b64 v[6:7], 2, v[6:7]
	v_add_co_ci_u32_e32 v5, vcc_lo, s28, v5, vcc_lo
	v_lshlrev_b64 v[8:9], 2, v[8:9]
	s_delay_alu instid0(VALU_DEP_3) | instskip(NEXT) | instid1(VALU_DEP_4)
	v_add_co_u32 v10, vcc_lo, s29, v6
	v_add_co_ci_u32_e32 v11, vcc_lo, s30, v7, vcc_lo
	v_add_co_u32 v6, vcc_lo, v4, s4
	v_add_co_ci_u32_e32 v7, vcc_lo, s5, v5, vcc_lo
	s_delay_alu instid0(VALU_DEP_4) | instskip(NEXT) | instid1(VALU_DEP_4)
	v_add_co_u32 v8, vcc_lo, v10, v8
	v_add_co_ci_u32_e32 v9, vcc_lo, v11, v9, vcc_lo
	s_clause 0x1
	global_load_b32 v10, v[4:5], off
	global_load_b32 v7, v[6:7], off
	global_load_b64 v[4:5], v[8:9], off
	v_cmp_le_i32_e32 vcc_lo, s17, v2
	s_or_b32 s33, vcc_lo, s33
	s_waitcnt vmcnt(0)
	v_mul_f32_e32 v11, v7, v5
	v_mul_f32_e32 v6, v10, v5
	s_delay_alu instid0(VALU_DEP_2) | instskip(NEXT) | instid1(VALU_DEP_2)
	v_fma_f32 v5, v10, v4, -v11
	v_fmac_f32_e32 v6, v7, v4
	global_store_b64 v[8:9], v[5:6], off
	s_and_not1_b32 exec_lo, exec_lo, s33
	s_cbranch_execnz .LBB19_3
.LBB19_4:
	s_or_b32 exec_lo, exec_lo, s26
	s_load_b128 s[4:7], s[0:1], 0x68
	s_waitcnt lgkmcnt(0)
	s_ashr_i32 s27, s7, 31
	s_mov_b32 s26, s7
	s_delay_alu instid0(SALU_CYCLE_1) | instskip(SKIP_1) | instid1(SALU_CYCLE_1)
	s_or_b64 s[30:31], s[22:23], s[26:27]
	s_mov_b32 s30, 0
	s_cmp_lg_u64 s[30:31], 0
	s_cbranch_scc0 .LBB19_14
; %bb.5:
	s_add_u32 s34, s26, s27
	s_mov_b32 s28, s27
	s_mov_b32 s29, s27
	s_addc_u32 s35, s27, s27
	s_delay_alu instid0(SALU_CYCLE_1) | instskip(NEXT) | instid1(SALU_CYCLE_1)
	s_xor_b64 s[34:35], s[34:35], s[28:29]
	v_cvt_f32_u32_e32 v1, s34
	v_cvt_f32_u32_e32 v2, s35
	s_sub_u32 s21, 0, s34
	s_subb_u32 s31, 0, s35
	s_delay_alu instid0(VALU_DEP_1) | instskip(NEXT) | instid1(VALU_DEP_1)
	v_fmamk_f32 v1, v2, 0x4f800000, v1
	v_rcp_f32_e32 v1, v1
	s_waitcnt_depctr 0xfff
	v_mul_f32_e32 v1, 0x5f7ffffc, v1
	s_delay_alu instid0(VALU_DEP_1) | instskip(NEXT) | instid1(VALU_DEP_1)
	v_mul_f32_e32 v2, 0x2f800000, v1
	v_trunc_f32_e32 v2, v2
	s_delay_alu instid0(VALU_DEP_1) | instskip(SKIP_1) | instid1(VALU_DEP_2)
	v_fmamk_f32 v1, v2, 0xcf800000, v1
	v_cvt_u32_f32_e32 v2, v2
	v_cvt_u32_f32_e32 v1, v1
	s_delay_alu instid0(VALU_DEP_2) | instskip(NEXT) | instid1(VALU_DEP_2)
	v_readfirstlane_b32 s7, v2
	v_readfirstlane_b32 s17, v1
	s_delay_alu instid0(VALU_DEP_2) | instskip(NEXT) | instid1(VALU_DEP_1)
	s_mul_i32 s33, s21, s7
	s_mul_hi_u32 s37, s21, s17
	s_mul_i32 s36, s31, s17
	s_add_i32 s33, s37, s33
	s_mul_i32 s38, s21, s17
	s_add_i32 s33, s33, s36
	s_mul_hi_u32 s37, s17, s38
	s_mul_hi_u32 s39, s7, s38
	s_mul_i32 s36, s7, s38
	s_mul_hi_u32 s38, s17, s33
	s_mul_i32 s17, s17, s33
	s_mul_hi_u32 s40, s7, s33
	s_add_u32 s17, s37, s17
	s_addc_u32 s37, 0, s38
	s_add_u32 s17, s17, s36
	s_mul_i32 s33, s7, s33
	s_addc_u32 s17, s37, s39
	s_addc_u32 s36, s40, 0
	s_add_u32 s17, s17, s33
	s_addc_u32 s33, 0, s36
	v_add_co_u32 v1, s17, v1, s17
	s_delay_alu instid0(VALU_DEP_1) | instskip(SKIP_1) | instid1(VALU_DEP_1)
	s_cmp_lg_u32 s17, 0
	s_addc_u32 s7, s7, s33
	v_readfirstlane_b32 s17, v1
	s_mul_i32 s33, s21, s7
	s_delay_alu instid0(VALU_DEP_1)
	s_mul_hi_u32 s36, s21, s17
	s_mul_i32 s31, s31, s17
	s_add_i32 s33, s36, s33
	s_mul_i32 s21, s21, s17
	s_add_i32 s33, s33, s31
	s_mul_hi_u32 s36, s7, s21
	s_mul_i32 s37, s7, s21
	s_mul_hi_u32 s21, s17, s21
	s_mul_hi_u32 s38, s17, s33
	s_mul_i32 s17, s17, s33
	s_mul_hi_u32 s31, s7, s33
	s_add_u32 s17, s21, s17
	s_addc_u32 s21, 0, s38
	s_add_u32 s17, s17, s37
	s_mul_i32 s33, s7, s33
	s_addc_u32 s17, s21, s36
	s_addc_u32 s21, s31, 0
	s_add_u32 s17, s17, s33
	s_addc_u32 s21, 0, s21
	v_add_co_u32 v1, s17, v1, s17
	s_delay_alu instid0(VALU_DEP_1) | instskip(SKIP_2) | instid1(VALU_DEP_1)
	s_cmp_lg_u32 s17, 0
	s_addc_u32 s7, s7, s21
	s_ashr_i32 s36, s23, 31
	v_readfirstlane_b32 s17, v1
	s_add_u32 s38, s22, s36
	s_mov_b32 s37, s36
	s_addc_u32 s39, s23, s36
	s_delay_alu instid0(SALU_CYCLE_1) | instskip(NEXT) | instid1(SALU_CYCLE_1)
	s_xor_b64 s[38:39], s[38:39], s[36:37]
	s_mul_i32 s31, s38, s7
	s_mul_hi_u32 s33, s38, s17
	s_mul_hi_u32 s21, s38, s7
	;; [unrolled: 1-line block ×3, first 2 shown]
	s_mul_i32 s17, s39, s17
	s_add_u32 s31, s33, s31
	s_addc_u32 s21, 0, s21
	s_mul_hi_u32 s40, s39, s7
	s_add_u32 s17, s31, s17
	s_mul_i32 s7, s39, s7
	s_addc_u32 s17, s21, s41
	s_addc_u32 s21, s40, 0
	s_add_u32 s7, s17, s7
	s_addc_u32 s17, 0, s21
	s_mul_hi_u32 s21, s34, s7
	s_mul_i32 s33, s34, s17
	s_mul_i32 s40, s34, s7
	s_add_i32 s21, s21, s33
	v_sub_co_u32 v1, s33, s38, s40
	s_mul_i32 s31, s35, s7
	s_delay_alu instid0(SALU_CYCLE_1) | instskip(NEXT) | instid1(VALU_DEP_1)
	s_add_i32 s21, s21, s31
	v_sub_co_u32 v2, s38, v1, s34
	s_sub_i32 s31, s39, s21
	s_cmp_lg_u32 s33, 0
	s_subb_u32 s31, s31, s35
	s_cmp_lg_u32 s38, 0
	v_readfirstlane_b32 s38, v2
	s_subb_u32 s31, s31, 0
	s_delay_alu instid0(SALU_CYCLE_1) | instskip(SKIP_1) | instid1(VALU_DEP_1)
	s_cmp_ge_u32 s31, s35
	s_cselect_b32 s40, -1, 0
	s_cmp_ge_u32 s38, s34
	s_cselect_b32 s38, -1, 0
	s_cmp_eq_u32 s31, s35
	s_cselect_b32 s31, s38, s40
	s_add_u32 s38, s7, 1
	s_addc_u32 s40, s17, 0
	s_add_u32 s41, s7, 2
	s_addc_u32 s42, s17, 0
	s_cmp_lg_u32 s31, 0
	s_cselect_b32 s31, s41, s38
	s_cselect_b32 s38, s42, s40
	s_cmp_lg_u32 s33, 0
	v_readfirstlane_b32 s33, v1
	s_subb_u32 s21, s39, s21
	s_delay_alu instid0(SALU_CYCLE_1) | instskip(SKIP_1) | instid1(VALU_DEP_1)
	s_cmp_ge_u32 s21, s35
	s_cselect_b32 s39, -1, 0
	s_cmp_ge_u32 s33, s34
	s_cselect_b32 s33, -1, 0
	s_cmp_eq_u32 s21, s35
	s_cselect_b32 s21, s33, s39
	s_delay_alu instid0(SALU_CYCLE_1) | instskip(SKIP_3) | instid1(SALU_CYCLE_1)
	s_cmp_lg_u32 s21, 0
	s_cselect_b32 s35, s38, s17
	s_cselect_b32 s34, s31, s7
	s_xor_b64 s[28:29], s[36:37], s[28:29]
	s_xor_b64 s[34:35], s[34:35], s[28:29]
	s_delay_alu instid0(SALU_CYCLE_1)
	s_sub_u32 s28, s34, s28
	s_subb_u32 s29, s35, s29
	s_and_not1_b32 vcc_lo, exec_lo, s30
	s_cbranch_vccnz .LBB19_7
.LBB19_6:
	v_cvt_f32_u32_e32 v1, s26
	s_sub_i32 s17, 0, s26
	s_mov_b32 s29, 0
	s_delay_alu instid0(VALU_DEP_1) | instskip(SKIP_2) | instid1(VALU_DEP_1)
	v_rcp_iflag_f32_e32 v1, v1
	s_waitcnt_depctr 0xfff
	v_mul_f32_e32 v1, 0x4f7ffffe, v1
	v_cvt_u32_f32_e32 v1, v1
	s_delay_alu instid0(VALU_DEP_1) | instskip(NEXT) | instid1(VALU_DEP_1)
	v_readfirstlane_b32 s7, v1
	s_mul_i32 s17, s17, s7
	s_delay_alu instid0(SALU_CYCLE_1) | instskip(NEXT) | instid1(SALU_CYCLE_1)
	s_mul_hi_u32 s17, s7, s17
	s_add_i32 s7, s7, s17
	s_delay_alu instid0(SALU_CYCLE_1) | instskip(NEXT) | instid1(SALU_CYCLE_1)
	s_mul_hi_u32 s7, s22, s7
	s_mul_i32 s17, s7, s26
	s_add_i32 s21, s7, 1
	s_sub_i32 s17, s22, s17
	s_delay_alu instid0(SALU_CYCLE_1)
	s_sub_i32 s28, s17, s26
	s_cmp_ge_u32 s17, s26
	s_cselect_b32 s7, s21, s7
	s_cselect_b32 s17, s28, s17
	s_add_i32 s21, s7, 1
	s_cmp_ge_u32 s17, s26
	s_cselect_b32 s28, s21, s7
.LBB19_7:
	s_delay_alu instid0(SALU_CYCLE_1)
	s_mul_i32 s7, s28, s27
	s_mul_hi_u32 s17, s28, s26
	s_mul_i32 s21, s28, s26
	s_add_i32 s7, s17, s7
	s_mul_i32 s17, s29, s26
	s_mul_hi_u32 s31, s28, s4
	s_add_i32 s7, s7, s17
	s_sub_u32 s17, s22, s21
	s_subb_u32 s30, s23, s7
	s_mul_i32 s33, s29, s4
	s_mul_i32 s26, s28, s4
	s_mul_hi_u32 s29, s17, s5
	s_mul_i32 s30, s30, s5
	s_mul_i32 s22, s17, s5
	s_mov_b32 s34, exec_lo
	v_cmpx_gt_i32_e64 s20, v0
	s_cbranch_execz .LBB19_10
; %bb.8:
	s_load_b32 s23, s[0:1], 0x8c
	s_lshl_b64 s[36:37], s[24:25], 2
	v_lshlrev_b32_e32 v5, 2, v0
	s_ashr_i32 s21, s20, 31
	s_ashr_i32 s27, s4, 31
	;; [unrolled: 1-line block ×4, first 2 shown]
	s_mul_i32 s9, s9, s16
	s_mul_hi_u32 s25, s8, s16
	s_mul_i32 s38, s8, s16
	v_lshlrev_b32_e32 v3, 3, v0
	s_mul_i32 s27, s28, s27
	s_mul_i32 s35, s17, s35
	v_mov_b32_e32 v7, v0
	s_waitcnt lgkmcnt(0)
	s_and_b32 s24, s23, 0xffff
	s_add_u32 s2, s2, s36
	s_addc_u32 s23, s3, s37
	s_add_i32 s39, s25, s9
	v_add_co_u32 v1, s2, s2, v5
	s_lshl_b64 s[36:37], s[38:39], 2
	s_lshl_b32 s3, s24, 2
	s_lshl_b64 s[8:9], s[20:21], 2
	v_add_co_ci_u32_e64 v2, null, s23, 0, s2
	s_add_u32 s2, s12, s36
	s_addc_u32 s12, s13, s37
	v_add_co_u32 v3, s2, s2, v3
	s_delay_alu instid0(VALU_DEP_1)
	v_add_co_ci_u32_e64 v4, null, s12, 0, s2
	s_add_i32 s2, s31, s27
	s_add_i32 s12, s29, s35
	;; [unrolled: 1-line block ×4, first 2 shown]
	s_lshl_b64 s[36:37], s[26:27], 1
	s_lshl_b64 s[38:39], s[22:23], 1
	s_lshl_b32 s12, s24, 3
	s_add_u32 s2, s36, s38
	s_addc_u32 s13, s37, s39
	s_lshl_b64 s[36:37], s[6:7], 1
	v_add_co_u32 v3, vcc_lo, v3, 4
	s_add_u32 s7, s18, s36
	s_addc_u32 s21, s19, s37
	s_add_u32 s2, s7, s2
	s_addc_u32 s7, s21, s13
	v_add_co_u32 v5, s2, s2, v5
	v_add_co_ci_u32_e32 v4, vcc_lo, 0, v4, vcc_lo
	v_add_co_ci_u32_e64 v6, null, s7, 0, s2
	s_mov_b32 s7, 0
	s_set_inst_prefetch_distance 0x1
	.p2align	6
.LBB19_9:                               ; =>This Inner Loop Header: Depth=1
	v_add_co_u32 v8, vcc_lo, v1, s8
	v_add_co_ci_u32_e32 v9, vcc_lo, s9, v2, vcc_lo
	v_add_nc_u32_e32 v7, s24, v7
	global_load_b32 v12, v[1:2], off
	global_load_b64 v[10:11], v[3:4], off offset:-4
	global_load_b32 v8, v[8:9], off
	v_add_co_u32 v1, vcc_lo, v1, s3
	v_add_co_ci_u32_e32 v2, vcc_lo, 0, v2, vcc_lo
	v_cmp_le_i32_e32 vcc_lo, s20, v7
	s_or_b32 s7, vcc_lo, s7
	s_waitcnt vmcnt(1)
	v_mul_f32_e32 v9, v12, v11
	s_waitcnt vmcnt(0)
	v_mul_f32_e32 v11, v8, v11
	s_delay_alu instid0(VALU_DEP_2) | instskip(NEXT) | instid1(VALU_DEP_2)
	v_fmac_f32_e32 v9, v8, v10
	v_fma_f32 v8, v12, v10, -v11
	global_store_b64 v[3:4], v[8:9], off offset:-4
	v_perm_b32 v8, v9, v8, 0x5040100
	v_add_co_u32 v3, s2, v3, s12
	s_delay_alu instid0(VALU_DEP_1) | instskip(SKIP_2) | instid1(VALU_DEP_1)
	v_add_co_ci_u32_e64 v4, s2, 0, v4, s2
	global_store_b32 v[5:6], v8, off
	v_add_co_u32 v5, s2, v5, s3
	v_add_co_ci_u32_e64 v6, s2, 0, v6, s2
	s_and_not1_b32 exec_lo, exec_lo, s7
	s_cbranch_execnz .LBB19_9
.LBB19_10:
	s_set_inst_prefetch_distance 0x2
	s_or_b32 exec_lo, exec_lo, s34
	s_delay_alu instid0(SALU_CYCLE_1)
	s_mov_b32 s2, exec_lo
	v_cmpx_gt_i32_e64 s6, v0
	s_cbranch_execz .LBB19_13
; %bb.11:
	s_mul_i32 s3, s16, s11
	s_mul_hi_u32 s7, s16, s10
	s_mul_i32 s2, s16, s10
	s_add_i32 s3, s7, s3
	s_load_b32 s7, s[0:1], 0x8c
	s_lshl_b64 s[2:3], s[2:3], 2
	s_delay_alu instid0(SALU_CYCLE_1) | instskip(SKIP_2) | instid1(SALU_CYCLE_1)
	s_add_u32 s2, s14, s2
	s_addc_u32 s3, s15, s3
	s_ashr_i32 s4, s4, 31
	s_mul_i32 s4, s28, s4
	s_delay_alu instid0(SALU_CYCLE_1) | instskip(NEXT) | instid1(SALU_CYCLE_1)
	s_add_i32 s0, s31, s4
	s_add_i32 s27, s0, s33
	s_delay_alu instid0(SALU_CYCLE_1) | instskip(NEXT) | instid1(SALU_CYCLE_1)
	s_lshl_b64 s[0:1], s[26:27], 1
	s_add_u32 s0, s18, s0
	s_addc_u32 s8, s19, s1
	s_ashr_i32 s1, s5, 31
	s_delay_alu instid0(SALU_CYCLE_1) | instskip(NEXT) | instid1(SALU_CYCLE_1)
	s_mul_i32 s17, s17, s1
	s_add_i32 s1, s29, s17
	s_delay_alu instid0(SALU_CYCLE_1) | instskip(NEXT) | instid1(SALU_CYCLE_1)
	s_add_i32 s23, s1, s30
	s_lshl_b64 s[4:5], s[22:23], 1
	s_delay_alu instid0(SALU_CYCLE_1)
	s_add_u32 s1, s0, s4
	s_addc_u32 s4, s8, s5
	s_waitcnt lgkmcnt(0)
	s_and_b32 s5, s7, 0xffff
	s_mov_b32 s7, 0
	.p2align	6
.LBB19_12:                              ; =>This Inner Loop Header: Depth=1
	v_ashrrev_i32_e32 v1, 31, v0
	s_delay_alu instid0(VALU_DEP_1) | instskip(NEXT) | instid1(VALU_DEP_1)
	v_lshlrev_b64 v[2:3], 2, v[0:1]
	v_add_co_u32 v2, vcc_lo, s2, v2
	s_delay_alu instid0(VALU_DEP_2) | instskip(SKIP_3) | instid1(VALU_DEP_1)
	v_add_co_ci_u32_e32 v3, vcc_lo, s3, v3, vcc_lo
	global_load_u16 v3, v[2:3], off
	v_lshlrev_b64 v[1:2], 1, v[0:1]
	v_add_nc_u32_e32 v0, s5, v0
	v_cmp_le_i32_e32 vcc_lo, s6, v0
	s_delay_alu instid0(VALU_DEP_3) | instskip(NEXT) | instid1(VALU_DEP_1)
	v_add_co_u32 v1, s0, s1, v1
	v_add_co_ci_u32_e64 v2, s0, s4, v2, s0
	s_or_b32 s7, vcc_lo, s7
	s_waitcnt vmcnt(0)
	global_store_b16 v[1:2], v3, off
	s_and_not1_b32 exec_lo, exec_lo, s7
	s_cbranch_execnz .LBB19_12
.LBB19_13:
	s_nop 0
	s_sendmsg sendmsg(MSG_DEALLOC_VGPRS)
	s_endpgm
.LBB19_14:
                                        ; implicit-def: $sgpr28_sgpr29
	s_branch .LBB19_6
	.section	.rodata,"a",@progbits
	.p2align	6, 0x0
	.amdhsa_kernel _ZN4vllm38concat_and_cache_mla_rope_fused_kernelIffLb0EttLNS_18Fp8KVCacheDataTypeE0EEEvPKlPT_S5_PKS4_PKT0_illlliPT3_S3_iiiiPKf
		.amdhsa_group_segment_fixed_size 0
		.amdhsa_private_segment_fixed_size 0
		.amdhsa_kernarg_size 384
		.amdhsa_user_sgpr_count 15
		.amdhsa_user_sgpr_dispatch_ptr 0
		.amdhsa_user_sgpr_queue_ptr 0
		.amdhsa_user_sgpr_kernarg_segment_ptr 1
		.amdhsa_user_sgpr_dispatch_id 0
		.amdhsa_user_sgpr_private_segment_size 0
		.amdhsa_wavefront_size32 1
		.amdhsa_uses_dynamic_stack 0
		.amdhsa_enable_private_segment 0
		.amdhsa_system_sgpr_workgroup_id_x 1
		.amdhsa_system_sgpr_workgroup_id_y 0
		.amdhsa_system_sgpr_workgroup_id_z 0
		.amdhsa_system_sgpr_workgroup_info 0
		.amdhsa_system_vgpr_workitem_id 0
		.amdhsa_next_free_vgpr 13
		.amdhsa_next_free_sgpr 43
		.amdhsa_reserve_vcc 1
		.amdhsa_float_round_mode_32 0
		.amdhsa_float_round_mode_16_64 0
		.amdhsa_float_denorm_mode_32 3
		.amdhsa_float_denorm_mode_16_64 3
		.amdhsa_dx10_clamp 1
		.amdhsa_ieee_mode 1
		.amdhsa_fp16_overflow 0
		.amdhsa_workgroup_processor_mode 1
		.amdhsa_memory_ordered 1
		.amdhsa_forward_progress 0
		.amdhsa_shared_vgpr_count 0
		.amdhsa_exception_fp_ieee_invalid_op 0
		.amdhsa_exception_fp_denorm_src 0
		.amdhsa_exception_fp_ieee_div_zero 0
		.amdhsa_exception_fp_ieee_overflow 0
		.amdhsa_exception_fp_ieee_underflow 0
		.amdhsa_exception_fp_ieee_inexact 0
		.amdhsa_exception_int_div_zero 0
	.end_amdhsa_kernel
	.section	.text._ZN4vllm38concat_and_cache_mla_rope_fused_kernelIffLb0EttLNS_18Fp8KVCacheDataTypeE0EEEvPKlPT_S5_PKS4_PKT0_illlliPT3_S3_iiiiPKf,"axG",@progbits,_ZN4vllm38concat_and_cache_mla_rope_fused_kernelIffLb0EttLNS_18Fp8KVCacheDataTypeE0EEEvPKlPT_S5_PKS4_PKT0_illlliPT3_S3_iiiiPKf,comdat
.Lfunc_end19:
	.size	_ZN4vllm38concat_and_cache_mla_rope_fused_kernelIffLb0EttLNS_18Fp8KVCacheDataTypeE0EEEvPKlPT_S5_PKS4_PKT0_illlliPT3_S3_iiiiPKf, .Lfunc_end19-_ZN4vllm38concat_and_cache_mla_rope_fused_kernelIffLb0EttLNS_18Fp8KVCacheDataTypeE0EEEvPKlPT_S5_PKS4_PKT0_illlliPT3_S3_iiiiPKf
                                        ; -- End function
	.section	.AMDGPU.csdata,"",@progbits
; Kernel info:
; codeLenInByte = 2256
; NumSgprs: 45
; NumVgprs: 13
; ScratchSize: 0
; MemoryBound: 0
; FloatMode: 240
; IeeeMode: 1
; LDSByteSize: 0 bytes/workgroup (compile time only)
; SGPRBlocks: 5
; VGPRBlocks: 1
; NumSGPRsForWavesPerEU: 45
; NumVGPRsForWavesPerEU: 13
; Occupancy: 16
; WaveLimiterHint : 1
; COMPUTE_PGM_RSRC2:SCRATCH_EN: 0
; COMPUTE_PGM_RSRC2:USER_SGPR: 15
; COMPUTE_PGM_RSRC2:TRAP_HANDLER: 0
; COMPUTE_PGM_RSRC2:TGID_X_EN: 1
; COMPUTE_PGM_RSRC2:TGID_Y_EN: 0
; COMPUTE_PGM_RSRC2:TGID_Z_EN: 0
; COMPUTE_PGM_RSRC2:TIDIG_COMP_CNT: 0
	.section	.text._ZN4vllm38concat_and_cache_mla_rope_fused_kernelIfN3c104HalfELb1EttLNS_18Fp8KVCacheDataTypeE0EEEvPKlPT_S7_PKS6_PKT0_illlliPT3_S5_iiiiPKf,"axG",@progbits,_ZN4vllm38concat_and_cache_mla_rope_fused_kernelIfN3c104HalfELb1EttLNS_18Fp8KVCacheDataTypeE0EEEvPKlPT_S7_PKS6_PKT0_illlliPT3_S5_iiiiPKf,comdat
	.protected	_ZN4vllm38concat_and_cache_mla_rope_fused_kernelIfN3c104HalfELb1EttLNS_18Fp8KVCacheDataTypeE0EEEvPKlPT_S7_PKS6_PKT0_illlliPT3_S5_iiiiPKf ; -- Begin function _ZN4vllm38concat_and_cache_mla_rope_fused_kernelIfN3c104HalfELb1EttLNS_18Fp8KVCacheDataTypeE0EEEvPKlPT_S7_PKS6_PKT0_illlliPT3_S5_iiiiPKf
	.globl	_ZN4vllm38concat_and_cache_mla_rope_fused_kernelIfN3c104HalfELb1EttLNS_18Fp8KVCacheDataTypeE0EEEvPKlPT_S7_PKS6_PKT0_illlliPT3_S5_iiiiPKf
	.p2align	8
	.type	_ZN4vllm38concat_and_cache_mla_rope_fused_kernelIfN3c104HalfELb1EttLNS_18Fp8KVCacheDataTypeE0EEEvPKlPT_S7_PKS6_PKT0_illlliPT3_S5_iiiiPKf,@function
_ZN4vllm38concat_and_cache_mla_rope_fused_kernelIfN3c104HalfELb1EttLNS_18Fp8KVCacheDataTypeE0EEEvPKlPT_S7_PKS6_PKT0_illlliPT3_S5_iiiiPKf: ; @_ZN4vllm38concat_and_cache_mla_rope_fused_kernelIfN3c104HalfELb1EttLNS_18Fp8KVCacheDataTypeE0EEEvPKlPT_S7_PKS6_PKT0_illlliPT3_S5_iiiiPKf
; %bb.0:
	s_load_b64 s[4:5], s[0:1], 0x60
	s_mov_b32 s16, s15
	s_mov_b32 s17, 0
	s_delay_alu instid0(SALU_CYCLE_1)
	s_lshl_b64 s[2:3], s[16:17], 3
	s_waitcnt lgkmcnt(0)
	s_add_u32 s4, s4, s2
	s_addc_u32 s5, s5, s3
	s_load_b64 s[24:25], s[4:5], 0x0
	s_waitcnt lgkmcnt(0)
	v_cmp_lt_i64_e64 s4, s[24:25], 0
	s_delay_alu instid0(VALU_DEP_1)
	s_and_b32 vcc_lo, exec_lo, s4
	s_cbranch_vccnz .LBB20_13
; %bb.1:
	s_clause 0x2
	s_load_b32 s26, s[0:1], 0x28
	s_load_b64 s[4:5], s[0:1], 0x0
	s_load_b128 s[12:15], s[0:1], 0x10
	s_mov_b32 s29, exec_lo
	s_waitcnt lgkmcnt(0)
	s_ashr_i32 s17, s26, 31
	s_add_u32 s2, s4, s2
	s_addc_u32 s3, s5, s3
	s_load_b64 s[20:21], s[2:3], 0x0
	s_clause 0x3
	s_load_b64 s[2:3], s[0:1], 0x20
	s_load_b32 s27, s[0:1], 0x50
	s_load_b64 s[18:19], s[0:1], 0x58
	s_load_b256 s[4:11], s[0:1], 0x30
	s_waitcnt lgkmcnt(0)
	s_mul_i32 s17, s20, s17
	s_mul_hi_u32 s22, s20, s26
	s_mul_i32 s21, s21, s26
	s_add_i32 s17, s22, s17
	s_mul_i32 s20, s20, s26
	s_add_i32 s21, s17, s21
	s_delay_alu instid0(SALU_CYCLE_1) | instskip(NEXT) | instid1(SALU_CYCLE_1)
	s_lshl_b64 s[22:23], s[20:21], 1
	s_add_u32 s17, s2, s22
	s_addc_u32 s33, s3, s23
	s_lshr_b32 s20, s26, 31
	s_delay_alu instid0(SALU_CYCLE_1) | instskip(NEXT) | instid1(SALU_CYCLE_1)
	s_add_i32 s26, s26, s20
	s_ashr_i32 s20, s26, 1
	s_delay_alu instid0(SALU_CYCLE_1) | instskip(NEXT) | instid1(SALU_CYCLE_1)
	s_mul_i32 s28, s20, s27
	v_cmpx_gt_i32_e64 s28, v0
	s_cbranch_execz .LBB20_4
; %bb.2:
	s_clause 0x1
	s_load_b64 s[26:27], s[0:1], 0x8
	s_load_b32 s36, s[0:1], 0x8c
	s_mul_i32 s5, s16, s5
	s_mul_hi_u32 s21, s16, s4
	s_mul_i32 s4, s16, s4
	s_add_i32 s5, s21, s5
	s_ashr_i32 s21, s20, 31
	s_lshl_b64 s[4:5], s[4:5], 2
	s_mov_b32 s35, 0
	s_waitcnt lgkmcnt(0)
	s_add_u32 s30, s26, s4
	s_addc_u32 s31, s27, s5
	s_abs_i32 s34, s20
	s_and_b32 s36, s36, 0xffff
	v_cvt_f32_u32_e32 v1, s34
	s_sub_i32 s4, 0, s34
	s_sub_i32 s37, 0, s20
	s_lshl_b64 s[26:27], s[20:21], 2
	s_delay_alu instid0(VALU_DEP_1) | instskip(SKIP_2) | instid1(VALU_DEP_1)
	v_rcp_iflag_f32_e32 v1, v1
	s_waitcnt_depctr 0xfff
	v_mul_f32_e32 v1, 0x4f7ffffe, v1
	v_cvt_u32_f32_e32 v1, v1
	s_delay_alu instid0(VALU_DEP_1) | instskip(SKIP_1) | instid1(VALU_DEP_1)
	v_mul_lo_u32 v2, s4, v1
	s_lshl_b64 s[4:5], s[20:21], 1
	v_mul_hi_u32 v2, v1, v2
	s_delay_alu instid0(VALU_DEP_1)
	v_dual_mov_b32 v1, v0 :: v_dual_add_nc_u32 v2, v1, v2
.LBB20_3:                               ; =>This Inner Loop Header: Depth=1
	s_delay_alu instid0(VALU_DEP_1) | instskip(SKIP_1) | instid1(VALU_DEP_2)
	v_sub_nc_u32_e32 v3, 0, v1
	v_ashrrev_i32_e32 v4, 31, v1
	v_max_i32_e32 v3, v1, v3
	s_delay_alu instid0(VALU_DEP_2) | instskip(NEXT) | instid1(VALU_DEP_2)
	v_xor_b32_e32 v4, s21, v4
	v_mul_hi_u32 v5, v3, v2
	s_delay_alu instid0(VALU_DEP_1) | instskip(SKIP_1) | instid1(VALU_DEP_2)
	v_mul_lo_u32 v6, v5, s34
	v_add_nc_u32_e32 v7, 1, v5
	v_sub_nc_u32_e32 v3, v3, v6
	s_delay_alu instid0(VALU_DEP_1) | instskip(SKIP_1) | instid1(VALU_DEP_4)
	v_subrev_nc_u32_e32 v6, s34, v3
	v_cmp_le_u32_e32 vcc_lo, s34, v3
	v_cndmask_b32_e32 v5, v5, v7, vcc_lo
	s_delay_alu instid0(VALU_DEP_1) | instskip(NEXT) | instid1(VALU_DEP_1)
	v_dual_cndmask_b32 v3, v3, v6 :: v_dual_add_nc_u32 v6, 1, v5
	v_cmp_le_u32_e32 vcc_lo, s34, v3
	s_delay_alu instid0(VALU_DEP_2) | instskip(NEXT) | instid1(VALU_DEP_1)
	v_cndmask_b32_e32 v3, v5, v6, vcc_lo
	v_xor_b32_e32 v3, v3, v4
	s_delay_alu instid0(VALU_DEP_1) | instskip(NEXT) | instid1(VALU_DEP_1)
	v_sub_nc_u32_e32 v7, v3, v4
	v_ashrrev_i32_e32 v8, 31, v7
	v_mad_u64_u32 v[3:4], null, s37, v7, v[1:2]
	v_mul_lo_u32 v9, v7, s7
	v_mad_u64_u32 v[5:6], null, v7, s6, 0
	s_delay_alu instid0(VALU_DEP_4) | instskip(SKIP_2) | instid1(VALU_DEP_3)
	v_mul_lo_u32 v7, v8, s6
	v_add_nc_u32_e32 v1, s36, v1
	v_ashrrev_i32_e32 v4, 31, v3
	v_add3_u32 v6, v6, v9, v7
	s_delay_alu instid0(VALU_DEP_2) | instskip(SKIP_1) | instid1(VALU_DEP_3)
	v_lshlrev_b64 v[7:8], 1, v[3:4]
	v_lshlrev_b64 v[3:4], 2, v[3:4]
	;; [unrolled: 1-line block ×3, first 2 shown]
	s_delay_alu instid0(VALU_DEP_3) | instskip(NEXT) | instid1(VALU_DEP_4)
	v_add_co_u32 v7, vcc_lo, s17, v7
	v_add_co_ci_u32_e32 v8, vcc_lo, s33, v8, vcc_lo
	s_delay_alu instid0(VALU_DEP_3) | instskip(NEXT) | instid1(VALU_DEP_4)
	v_add_co_u32 v10, vcc_lo, s30, v5
	v_add_co_ci_u32_e32 v11, vcc_lo, s31, v6, vcc_lo
	s_delay_alu instid0(VALU_DEP_4) | instskip(NEXT) | instid1(VALU_DEP_4)
	v_add_co_u32 v5, vcc_lo, v7, s4
	v_add_co_ci_u32_e32 v6, vcc_lo, s5, v8, vcc_lo
	s_delay_alu instid0(VALU_DEP_4) | instskip(NEXT) | instid1(VALU_DEP_4)
	v_add_co_u32 v3, vcc_lo, v10, v3
	v_add_co_ci_u32_e32 v4, vcc_lo, v11, v4, vcc_lo
	s_clause 0x1
	global_load_u16 v9, v[7:8], off
	global_load_u16 v7, v[5:6], off
	v_add_co_u32 v5, vcc_lo, v3, s26
	v_add_co_ci_u32_e32 v6, vcc_lo, s27, v4, vcc_lo
	s_clause 0x1
	global_load_b32 v8, v[3:4], off
	global_load_b32 v10, v[5:6], off
	v_cmp_le_i32_e32 vcc_lo, s28, v1
	s_or_b32 s35, vcc_lo, s35
	s_waitcnt vmcnt(3)
	v_cvt_f32_f16_e32 v11, v9
	s_waitcnt vmcnt(2)
	v_cvt_f32_f16_e32 v12, v7
	s_waitcnt vmcnt(0)
	s_delay_alu instid0(VALU_DEP_1) | instskip(SKIP_1) | instid1(VALU_DEP_2)
	v_mul_f32_e32 v12, v10, v12
	v_mul_f32_e32 v10, v10, v11
	v_fma_mix_f32 v9, v8, v9, -v12 op_sel_hi:[0,1,0]
	s_delay_alu instid0(VALU_DEP_2)
	v_fma_mix_f32 v7, v8, v7, v10 op_sel_hi:[0,1,0]
	s_clause 0x1
	global_store_b32 v[3:4], v9, off
	global_store_b32 v[5:6], v7, off
	s_and_not1_b32 exec_lo, exec_lo, s35
	s_cbranch_execnz .LBB20_3
.LBB20_4:
	s_or_b32 exec_lo, exec_lo, s29
	s_load_b128 s[4:7], s[0:1], 0x68
	s_waitcnt lgkmcnt(0)
	s_ashr_i32 s29, s7, 31
	s_mov_b32 s28, s7
	s_delay_alu instid0(SALU_CYCLE_1) | instskip(SKIP_1) | instid1(SALU_CYCLE_1)
	s_or_b64 s[30:31], s[24:25], s[28:29]
	s_mov_b32 s30, 0
	s_cmp_lg_u64 s[30:31], 0
	s_cbranch_scc0 .LBB20_14
; %bb.5:
	s_add_u32 s34, s28, s29
	s_mov_b32 s26, s29
	s_mov_b32 s27, s29
	s_addc_u32 s35, s29, s29
	s_delay_alu instid0(SALU_CYCLE_1) | instskip(NEXT) | instid1(SALU_CYCLE_1)
	s_xor_b64 s[34:35], s[34:35], s[26:27]
	v_cvt_f32_u32_e32 v1, s34
	v_cvt_f32_u32_e32 v2, s35
	s_sub_u32 s31, 0, s34
	s_subb_u32 s36, 0, s35
	s_delay_alu instid0(VALU_DEP_1) | instskip(NEXT) | instid1(VALU_DEP_1)
	v_fmamk_f32 v1, v2, 0x4f800000, v1
	v_rcp_f32_e32 v1, v1
	s_waitcnt_depctr 0xfff
	v_mul_f32_e32 v1, 0x5f7ffffc, v1
	s_delay_alu instid0(VALU_DEP_1) | instskip(NEXT) | instid1(VALU_DEP_1)
	v_mul_f32_e32 v2, 0x2f800000, v1
	v_trunc_f32_e32 v2, v2
	s_delay_alu instid0(VALU_DEP_1) | instskip(SKIP_1) | instid1(VALU_DEP_2)
	v_fmamk_f32 v1, v2, 0xcf800000, v1
	v_cvt_u32_f32_e32 v2, v2
	v_cvt_u32_f32_e32 v1, v1
	s_delay_alu instid0(VALU_DEP_2) | instskip(NEXT) | instid1(VALU_DEP_2)
	v_readfirstlane_b32 s7, v2
	v_readfirstlane_b32 s21, v1
	s_delay_alu instid0(VALU_DEP_2) | instskip(NEXT) | instid1(VALU_DEP_1)
	s_mul_i32 s37, s31, s7
	s_mul_hi_u32 s39, s31, s21
	s_mul_i32 s38, s36, s21
	s_add_i32 s37, s39, s37
	s_mul_i32 s40, s31, s21
	s_add_i32 s37, s37, s38
	s_mul_hi_u32 s39, s21, s40
	s_mul_hi_u32 s41, s7, s40
	s_mul_i32 s38, s7, s40
	s_mul_hi_u32 s40, s21, s37
	s_mul_i32 s21, s21, s37
	s_mul_hi_u32 s42, s7, s37
	s_add_u32 s21, s39, s21
	s_addc_u32 s39, 0, s40
	s_add_u32 s21, s21, s38
	s_mul_i32 s37, s7, s37
	s_addc_u32 s21, s39, s41
	s_addc_u32 s38, s42, 0
	s_add_u32 s21, s21, s37
	s_addc_u32 s37, 0, s38
	v_add_co_u32 v1, s21, v1, s21
	s_delay_alu instid0(VALU_DEP_1) | instskip(SKIP_1) | instid1(VALU_DEP_1)
	s_cmp_lg_u32 s21, 0
	s_addc_u32 s7, s7, s37
	v_readfirstlane_b32 s21, v1
	s_mul_i32 s37, s31, s7
	s_delay_alu instid0(VALU_DEP_1)
	s_mul_hi_u32 s38, s31, s21
	s_mul_i32 s36, s36, s21
	s_add_i32 s37, s38, s37
	s_mul_i32 s31, s31, s21
	s_add_i32 s37, s37, s36
	s_mul_hi_u32 s38, s7, s31
	s_mul_i32 s39, s7, s31
	s_mul_hi_u32 s31, s21, s31
	s_mul_hi_u32 s40, s21, s37
	s_mul_i32 s21, s21, s37
	s_mul_hi_u32 s36, s7, s37
	s_add_u32 s21, s31, s21
	s_addc_u32 s31, 0, s40
	s_add_u32 s21, s21, s39
	s_mul_i32 s37, s7, s37
	s_addc_u32 s21, s31, s38
	s_addc_u32 s31, s36, 0
	s_add_u32 s21, s21, s37
	s_addc_u32 s31, 0, s31
	v_add_co_u32 v1, s21, v1, s21
	s_delay_alu instid0(VALU_DEP_1) | instskip(SKIP_2) | instid1(VALU_DEP_1)
	s_cmp_lg_u32 s21, 0
	s_addc_u32 s7, s7, s31
	s_ashr_i32 s36, s25, 31
	v_readfirstlane_b32 s21, v1
	s_add_u32 s38, s24, s36
	s_mov_b32 s37, s36
	s_addc_u32 s39, s25, s36
	s_delay_alu instid0(SALU_CYCLE_1) | instskip(NEXT) | instid1(SALU_CYCLE_1)
	s_xor_b64 s[38:39], s[38:39], s[36:37]
	s_mul_i32 s40, s38, s7
	s_mul_hi_u32 s41, s38, s21
	s_mul_hi_u32 s31, s38, s7
	;; [unrolled: 1-line block ×3, first 2 shown]
	s_mul_i32 s21, s39, s21
	s_add_u32 s40, s41, s40
	s_addc_u32 s31, 0, s31
	s_mul_hi_u32 s42, s39, s7
	s_add_u32 s21, s40, s21
	s_mul_i32 s7, s39, s7
	s_addc_u32 s21, s31, s43
	s_addc_u32 s31, s42, 0
	s_add_u32 s7, s21, s7
	s_addc_u32 s21, 0, s31
	s_mul_i32 s42, s34, s7
	s_mul_hi_u32 s31, s34, s7
	s_mul_i32 s41, s34, s21
	v_sub_co_u32 v1, s38, s38, s42
	s_mul_i32 s40, s35, s7
	s_add_i32 s31, s31, s41
	s_delay_alu instid0(SALU_CYCLE_1) | instskip(NEXT) | instid1(VALU_DEP_1)
	s_add_i32 s31, s31, s40
	v_sub_co_u32 v2, s41, v1, s34
	s_sub_i32 s40, s39, s31
	s_cmp_lg_u32 s38, 0
	s_subb_u32 s40, s40, s35
	s_cmp_lg_u32 s41, 0
	v_readfirstlane_b32 s41, v2
	s_subb_u32 s40, s40, 0
	s_delay_alu instid0(SALU_CYCLE_1) | instskip(SKIP_1) | instid1(VALU_DEP_1)
	s_cmp_ge_u32 s40, s35
	s_cselect_b32 s42, -1, 0
	s_cmp_ge_u32 s41, s34
	s_cselect_b32 s41, -1, 0
	s_cmp_eq_u32 s40, s35
	s_cselect_b32 s40, s41, s42
	s_add_u32 s41, s7, 1
	s_addc_u32 s42, s21, 0
	s_add_u32 s43, s7, 2
	s_addc_u32 s44, s21, 0
	s_cmp_lg_u32 s40, 0
	s_cselect_b32 s40, s43, s41
	s_cselect_b32 s41, s44, s42
	s_cmp_lg_u32 s38, 0
	v_readfirstlane_b32 s38, v1
	s_subb_u32 s31, s39, s31
	s_delay_alu instid0(SALU_CYCLE_1) | instskip(SKIP_1) | instid1(VALU_DEP_1)
	s_cmp_ge_u32 s31, s35
	s_cselect_b32 s39, -1, 0
	s_cmp_ge_u32 s38, s34
	s_cselect_b32 s34, -1, 0
	s_cmp_eq_u32 s31, s35
	s_cselect_b32 s31, s34, s39
	s_delay_alu instid0(SALU_CYCLE_1) | instskip(SKIP_3) | instid1(SALU_CYCLE_1)
	s_cmp_lg_u32 s31, 0
	s_cselect_b32 s35, s41, s21
	s_cselect_b32 s34, s40, s7
	s_xor_b64 s[26:27], s[36:37], s[26:27]
	s_xor_b64 s[34:35], s[34:35], s[26:27]
	s_delay_alu instid0(SALU_CYCLE_1)
	s_sub_u32 s26, s34, s26
	s_subb_u32 s27, s35, s27
	s_and_not1_b32 vcc_lo, exec_lo, s30
	s_cbranch_vccnz .LBB20_7
.LBB20_6:
	v_cvt_f32_u32_e32 v1, s28
	s_sub_i32 s21, 0, s28
	s_delay_alu instid0(VALU_DEP_1) | instskip(SKIP_2) | instid1(VALU_DEP_1)
	v_rcp_iflag_f32_e32 v1, v1
	s_waitcnt_depctr 0xfff
	v_mul_f32_e32 v1, 0x4f7ffffe, v1
	v_cvt_u32_f32_e32 v1, v1
	s_delay_alu instid0(VALU_DEP_1) | instskip(NEXT) | instid1(VALU_DEP_1)
	v_readfirstlane_b32 s7, v1
	s_mul_i32 s21, s21, s7
	s_delay_alu instid0(SALU_CYCLE_1) | instskip(NEXT) | instid1(SALU_CYCLE_1)
	s_mul_hi_u32 s21, s7, s21
	s_add_i32 s7, s7, s21
	s_delay_alu instid0(SALU_CYCLE_1) | instskip(NEXT) | instid1(SALU_CYCLE_1)
	s_mul_hi_u32 s7, s24, s7
	s_mul_i32 s21, s7, s28
	s_add_i32 s26, s7, 1
	s_sub_i32 s21, s24, s21
	s_delay_alu instid0(SALU_CYCLE_1)
	s_sub_i32 s27, s21, s28
	s_cmp_ge_u32 s21, s28
	s_cselect_b32 s7, s26, s7
	s_cselect_b32 s21, s27, s21
	s_add_i32 s26, s7, 1
	s_cmp_ge_u32 s21, s28
	s_mov_b32 s27, 0
	s_cselect_b32 s26, s26, s7
.LBB20_7:
	s_delay_alu instid0(SALU_CYCLE_1)
	s_mul_i32 s7, s26, s29
	s_mul_hi_u32 s21, s26, s28
	s_mul_hi_u32 s34, s26, s4
	s_add_i32 s7, s21, s7
	s_mul_i32 s21, s27, s28
	s_mul_i32 s28, s26, s28
	s_add_i32 s7, s7, s21
	s_sub_u32 s30, s24, s28
	s_subb_u32 s31, s25, s7
	s_mul_i32 s35, s27, s4
	s_mul_i32 s28, s26, s4
	s_mul_hi_u32 s27, s30, s5
	s_mul_i32 s31, s31, s5
	s_mul_i32 s24, s30, s5
	s_mov_b32 s36, exec_lo
	v_cmpx_gt_i32_e64 s20, v0
	s_cbranch_execz .LBB20_10
; %bb.8:
	s_load_b32 s37, s[0:1], 0x8c
	s_ashr_i32 s7, s4, 31
	s_ashr_i32 s21, s5, 31
	s_mul_i32 s7, s26, s7
	s_mul_i32 s21, s30, s21
	s_add_i32 s7, s34, s7
	s_add_i32 s21, s27, s21
	;; [unrolled: 1-line block ×4, first 2 shown]
	s_lshl_b64 s[38:39], s[28:29], 1
	s_lshl_b64 s[40:41], s[24:25], 1
	s_ashr_i32 s21, s20, 31
	s_add_u32 s44, s38, s40
	s_addc_u32 s45, s39, s41
	s_add_u32 s25, s44, s18
	s_addc_u32 s29, s45, s19
	s_ashr_i32 s7, s6, 31
	v_lshlrev_b32_e32 v1, 2, v0
	s_lshl_b64 s[38:39], s[6:7], 1
	v_dual_mov_b32 v4, v0 :: v_dual_lshlrev_b32 v3, 1, v0
	s_add_u32 s7, s25, s38
	s_addc_u32 s25, s29, s39
	s_waitcnt lgkmcnt(0)
	s_and_b32 s29, s37, 0xffff
	s_lshl_b64 s[40:41], s[20:21], 1
	s_lshl_b32 s37, s29, 1
	s_add_u32 s22, s22, s40
	s_addc_u32 s23, s23, s41
	s_add_u32 s22, s2, s22
	s_mul_i32 s2, s9, s16
	s_mul_hi_u32 s9, s8, s16
	s_addc_u32 s3, s3, s23
	s_add_i32 s9, s9, s2
	s_mul_i32 s8, s8, s16
	s_mov_b32 s23, 0
	s_lshl_b64 s[42:43], s[8:9], 2
	s_lshl_b64 s[8:9], s[20:21], 2
	s_add_u32 s2, s12, s42
	s_addc_u32 s12, s13, s43
	v_add_co_u32 v1, s2, s2, v1
	s_delay_alu instid0(VALU_DEP_1)
	v_add_co_ci_u32_e64 v2, null, s12, 0, s2
	s_lshl_b32 s12, s29, 2
	s_add_u32 s2, s44, s40
	s_addc_u32 s13, s45, s41
	s_add_u32 s2, s2, s38
	s_addc_u32 s21, s13, s39
	s_add_u32 s13, s18, s2
	s_addc_u32 s21, s19, s21
.LBB20_9:                               ; =>This Inner Loop Header: Depth=1
	v_add_co_u32 v5, s2, s17, v3
	s_delay_alu instid0(VALU_DEP_1) | instskip(SKIP_1) | instid1(VALU_DEP_1)
	v_add_co_ci_u32_e64 v6, null, s33, 0, s2
	v_add_co_u32 v7, s2, s22, v3
	v_add_co_ci_u32_e64 v8, null, s3, 0, s2
	v_add_co_u32 v9, vcc_lo, v1, s8
	v_add_co_ci_u32_e32 v10, vcc_lo, s9, v2, vcc_lo
	global_load_b32 v11, v[1:2], off
	global_load_u16 v12, v[7:8], off
	global_load_u16 v13, v[5:6], off
	global_load_b32 v14, v[9:10], off
	v_add_co_u32 v5, s2, s7, v3
	s_add_u32 s17, s17, s37
	v_add_co_ci_u32_e64 v6, null, s25, 0, s2
	v_add_co_u32 v7, s2, s13, v3
	s_addc_u32 s33, s33, 0
	s_add_u32 s22, s22, s37
	v_add_co_ci_u32_e64 v8, null, s21, 0, s2
	s_addc_u32 s3, s3, 0
	s_add_u32 s13, s13, s37
	s_addc_u32 s21, s21, 0
	s_add_u32 s7, s7, s37
	s_addc_u32 s25, s25, 0
	s_waitcnt vmcnt(2)
	v_cvt_f32_f16_e32 v15, v12
	v_add_nc_u32_e32 v4, s29, v4
	s_waitcnt vmcnt(1)
	v_cvt_f32_f16_e32 v16, v13
	s_waitcnt vmcnt(0)
	v_mul_f32_e32 v15, v14, v15
	v_cmp_le_i32_e32 vcc_lo, s20, v4
	s_delay_alu instid0(VALU_DEP_3) | instskip(NEXT) | instid1(VALU_DEP_3)
	v_mul_f32_e32 v14, v14, v16
	v_fma_mix_f32 v13, v11, v13, -v15 op_sel_hi:[0,1,0]
	s_or_b32 s23, vcc_lo, s23
	s_delay_alu instid0(VALU_DEP_2) | instskip(SKIP_2) | instid1(VALU_DEP_1)
	v_fma_mix_f32 v11, v11, v12, v14 op_sel_hi:[0,1,0]
	global_store_b32 v[1:2], v13, off
	v_add_co_u32 v1, s2, v1, s12
	v_add_co_ci_u32_e64 v2, s2, 0, v2, s2
	global_store_b32 v[9:10], v11, off
	global_store_b16 v[5:6], v13, off
	global_store_b16 v[7:8], v11, off
	s_and_not1_b32 exec_lo, exec_lo, s23
	s_cbranch_execnz .LBB20_9
.LBB20_10:
	s_or_b32 exec_lo, exec_lo, s36
	s_delay_alu instid0(SALU_CYCLE_1)
	s_mov_b32 s2, exec_lo
	v_cmpx_gt_i32_e64 s6, v0
	s_cbranch_execz .LBB20_13
; %bb.11:
	s_mul_i32 s3, s16, s11
	s_mul_hi_u32 s7, s16, s10
	s_mul_i32 s2, s16, s10
	s_add_i32 s3, s7, s3
	s_load_b32 s7, s[0:1], 0x8c
	s_lshl_b64 s[2:3], s[2:3], 2
	s_delay_alu instid0(SALU_CYCLE_1) | instskip(SKIP_2) | instid1(SALU_CYCLE_1)
	s_add_u32 s2, s14, s2
	s_addc_u32 s3, s15, s3
	s_ashr_i32 s4, s4, 31
	s_mul_i32 s4, s26, s4
	s_delay_alu instid0(SALU_CYCLE_1) | instskip(NEXT) | instid1(SALU_CYCLE_1)
	s_add_i32 s0, s34, s4
	s_add_i32 s29, s0, s35
	s_delay_alu instid0(SALU_CYCLE_1) | instskip(NEXT) | instid1(SALU_CYCLE_1)
	s_lshl_b64 s[0:1], s[28:29], 1
	s_add_u32 s0, s18, s0
	s_addc_u32 s8, s19, s1
	s_ashr_i32 s1, s5, 31
	s_delay_alu instid0(SALU_CYCLE_1) | instskip(NEXT) | instid1(SALU_CYCLE_1)
	s_mul_i32 s30, s30, s1
	s_add_i32 s1, s27, s30
	s_delay_alu instid0(SALU_CYCLE_1) | instskip(NEXT) | instid1(SALU_CYCLE_1)
	s_add_i32 s25, s1, s31
	s_lshl_b64 s[4:5], s[24:25], 1
	s_delay_alu instid0(SALU_CYCLE_1)
	s_add_u32 s1, s0, s4
	s_addc_u32 s4, s8, s5
	s_waitcnt lgkmcnt(0)
	s_and_b32 s5, s7, 0xffff
	s_mov_b32 s7, 0
	.p2align	6
.LBB20_12:                              ; =>This Inner Loop Header: Depth=1
	v_ashrrev_i32_e32 v1, 31, v0
	s_delay_alu instid0(VALU_DEP_1) | instskip(NEXT) | instid1(VALU_DEP_1)
	v_lshlrev_b64 v[2:3], 2, v[0:1]
	v_add_co_u32 v2, vcc_lo, s2, v2
	s_delay_alu instid0(VALU_DEP_2) | instskip(SKIP_3) | instid1(VALU_DEP_1)
	v_add_co_ci_u32_e32 v3, vcc_lo, s3, v3, vcc_lo
	global_load_u16 v3, v[2:3], off
	v_lshlrev_b64 v[1:2], 1, v[0:1]
	v_add_nc_u32_e32 v0, s5, v0
	v_cmp_le_i32_e32 vcc_lo, s6, v0
	s_delay_alu instid0(VALU_DEP_3) | instskip(NEXT) | instid1(VALU_DEP_1)
	v_add_co_u32 v1, s0, s1, v1
	v_add_co_ci_u32_e64 v2, s0, s4, v2, s0
	s_or_b32 s7, vcc_lo, s7
	s_waitcnt vmcnt(0)
	global_store_b16 v[1:2], v3, off
	s_and_not1_b32 exec_lo, exec_lo, s7
	s_cbranch_execnz .LBB20_12
.LBB20_13:
	s_nop 0
	s_sendmsg sendmsg(MSG_DEALLOC_VGPRS)
	s_endpgm
.LBB20_14:
                                        ; implicit-def: $sgpr26_sgpr27
	s_branch .LBB20_6
	.section	.rodata,"a",@progbits
	.p2align	6, 0x0
	.amdhsa_kernel _ZN4vllm38concat_and_cache_mla_rope_fused_kernelIfN3c104HalfELb1EttLNS_18Fp8KVCacheDataTypeE0EEEvPKlPT_S7_PKS6_PKT0_illlliPT3_S5_iiiiPKf
		.amdhsa_group_segment_fixed_size 0
		.amdhsa_private_segment_fixed_size 0
		.amdhsa_kernarg_size 384
		.amdhsa_user_sgpr_count 15
		.amdhsa_user_sgpr_dispatch_ptr 0
		.amdhsa_user_sgpr_queue_ptr 0
		.amdhsa_user_sgpr_kernarg_segment_ptr 1
		.amdhsa_user_sgpr_dispatch_id 0
		.amdhsa_user_sgpr_private_segment_size 0
		.amdhsa_wavefront_size32 1
		.amdhsa_uses_dynamic_stack 0
		.amdhsa_enable_private_segment 0
		.amdhsa_system_sgpr_workgroup_id_x 1
		.amdhsa_system_sgpr_workgroup_id_y 0
		.amdhsa_system_sgpr_workgroup_id_z 0
		.amdhsa_system_sgpr_workgroup_info 0
		.amdhsa_system_vgpr_workitem_id 0
		.amdhsa_next_free_vgpr 17
		.amdhsa_next_free_sgpr 46
		.amdhsa_reserve_vcc 1
		.amdhsa_float_round_mode_32 0
		.amdhsa_float_round_mode_16_64 0
		.amdhsa_float_denorm_mode_32 3
		.amdhsa_float_denorm_mode_16_64 3
		.amdhsa_dx10_clamp 1
		.amdhsa_ieee_mode 1
		.amdhsa_fp16_overflow 0
		.amdhsa_workgroup_processor_mode 1
		.amdhsa_memory_ordered 1
		.amdhsa_forward_progress 0
		.amdhsa_shared_vgpr_count 0
		.amdhsa_exception_fp_ieee_invalid_op 0
		.amdhsa_exception_fp_denorm_src 0
		.amdhsa_exception_fp_ieee_div_zero 0
		.amdhsa_exception_fp_ieee_overflow 0
		.amdhsa_exception_fp_ieee_underflow 0
		.amdhsa_exception_fp_ieee_inexact 0
		.amdhsa_exception_int_div_zero 0
	.end_amdhsa_kernel
	.section	.text._ZN4vllm38concat_and_cache_mla_rope_fused_kernelIfN3c104HalfELb1EttLNS_18Fp8KVCacheDataTypeE0EEEvPKlPT_S7_PKS6_PKT0_illlliPT3_S5_iiiiPKf,"axG",@progbits,_ZN4vllm38concat_and_cache_mla_rope_fused_kernelIfN3c104HalfELb1EttLNS_18Fp8KVCacheDataTypeE0EEEvPKlPT_S7_PKS6_PKT0_illlliPT3_S5_iiiiPKf,comdat
.Lfunc_end20:
	.size	_ZN4vllm38concat_and_cache_mla_rope_fused_kernelIfN3c104HalfELb1EttLNS_18Fp8KVCacheDataTypeE0EEEvPKlPT_S7_PKS6_PKT0_illlliPT3_S5_iiiiPKf, .Lfunc_end20-_ZN4vllm38concat_and_cache_mla_rope_fused_kernelIfN3c104HalfELb1EttLNS_18Fp8KVCacheDataTypeE0EEEvPKlPT_S7_PKS6_PKT0_illlliPT3_S5_iiiiPKf
                                        ; -- End function
	.section	.AMDGPU.csdata,"",@progbits
; Kernel info:
; codeLenInByte = 2384
; NumSgprs: 48
; NumVgprs: 17
; ScratchSize: 0
; MemoryBound: 0
; FloatMode: 240
; IeeeMode: 1
; LDSByteSize: 0 bytes/workgroup (compile time only)
; SGPRBlocks: 5
; VGPRBlocks: 2
; NumSGPRsForWavesPerEU: 48
; NumVGPRsForWavesPerEU: 17
; Occupancy: 16
; WaveLimiterHint : 1
; COMPUTE_PGM_RSRC2:SCRATCH_EN: 0
; COMPUTE_PGM_RSRC2:USER_SGPR: 15
; COMPUTE_PGM_RSRC2:TRAP_HANDLER: 0
; COMPUTE_PGM_RSRC2:TGID_X_EN: 1
; COMPUTE_PGM_RSRC2:TGID_Y_EN: 0
; COMPUTE_PGM_RSRC2:TGID_Z_EN: 0
; COMPUTE_PGM_RSRC2:TIDIG_COMP_CNT: 0
	.section	.text._ZN4vllm38concat_and_cache_mla_rope_fused_kernelIfN3c104HalfELb0EttLNS_18Fp8KVCacheDataTypeE0EEEvPKlPT_S7_PKS6_PKT0_illlliPT3_S5_iiiiPKf,"axG",@progbits,_ZN4vllm38concat_and_cache_mla_rope_fused_kernelIfN3c104HalfELb0EttLNS_18Fp8KVCacheDataTypeE0EEEvPKlPT_S7_PKS6_PKT0_illlliPT3_S5_iiiiPKf,comdat
	.protected	_ZN4vllm38concat_and_cache_mla_rope_fused_kernelIfN3c104HalfELb0EttLNS_18Fp8KVCacheDataTypeE0EEEvPKlPT_S7_PKS6_PKT0_illlliPT3_S5_iiiiPKf ; -- Begin function _ZN4vllm38concat_and_cache_mla_rope_fused_kernelIfN3c104HalfELb0EttLNS_18Fp8KVCacheDataTypeE0EEEvPKlPT_S7_PKS6_PKT0_illlliPT3_S5_iiiiPKf
	.globl	_ZN4vllm38concat_and_cache_mla_rope_fused_kernelIfN3c104HalfELb0EttLNS_18Fp8KVCacheDataTypeE0EEEvPKlPT_S7_PKS6_PKT0_illlliPT3_S5_iiiiPKf
	.p2align	8
	.type	_ZN4vllm38concat_and_cache_mla_rope_fused_kernelIfN3c104HalfELb0EttLNS_18Fp8KVCacheDataTypeE0EEEvPKlPT_S7_PKS6_PKT0_illlliPT3_S5_iiiiPKf,@function
_ZN4vllm38concat_and_cache_mla_rope_fused_kernelIfN3c104HalfELb0EttLNS_18Fp8KVCacheDataTypeE0EEEvPKlPT_S7_PKS6_PKT0_illlliPT3_S5_iiiiPKf: ; @_ZN4vllm38concat_and_cache_mla_rope_fused_kernelIfN3c104HalfELb0EttLNS_18Fp8KVCacheDataTypeE0EEEvPKlPT_S7_PKS6_PKT0_illlliPT3_S5_iiiiPKf
; %bb.0:
	s_load_b64 s[4:5], s[0:1], 0x60
	s_mov_b32 s16, s15
	s_mov_b32 s17, 0
	s_delay_alu instid0(SALU_CYCLE_1)
	s_lshl_b64 s[2:3], s[16:17], 3
	s_waitcnt lgkmcnt(0)
	s_add_u32 s4, s4, s2
	s_addc_u32 s5, s5, s3
	s_load_b64 s[22:23], s[4:5], 0x0
	s_waitcnt lgkmcnt(0)
	v_cmp_lt_i64_e64 s4, s[22:23], 0
	s_delay_alu instid0(VALU_DEP_1)
	s_and_b32 vcc_lo, exec_lo, s4
	s_cbranch_vccnz .LBB21_13
; %bb.1:
	s_clause 0x3
	s_load_b32 s21, s[0:1], 0x28
	s_load_b64 s[4:5], s[0:1], 0x0
	s_load_b128 s[12:15], s[0:1], 0x10
	s_load_b32 s17, s[0:1], 0x50
	v_lshlrev_b32_e32 v3, 1, v0
	s_waitcnt lgkmcnt(0)
	s_ashr_i32 s26, s21, 31
	s_add_u32 s2, s4, s2
	s_addc_u32 s3, s5, s3
	s_lshr_b32 s20, s21, 31
	s_load_b64 s[24:25], s[2:3], 0x0
	s_clause 0x2
	s_load_b64 s[2:3], s[0:1], 0x20
	s_load_b64 s[18:19], s[0:1], 0x58
	s_load_b256 s[4:11], s[0:1], 0x30
	s_add_i32 s20, s21, s20
	s_delay_alu instid0(SALU_CYCLE_1) | instskip(NEXT) | instid1(SALU_CYCLE_1)
	s_ashr_i32 s20, s20, 1
	s_mul_i32 s17, s20, s17
	s_waitcnt lgkmcnt(0)
	s_mul_i32 s26, s24, s26
	s_mul_hi_u32 s27, s24, s21
	s_mul_i32 s25, s25, s21
	s_add_i32 s26, s27, s26
	s_mul_i32 s24, s24, s21
	s_add_i32 s25, s26, s25
	s_mov_b32 s26, exec_lo
	v_cmpx_gt_i32_e64 s17, v0
	s_cbranch_execz .LBB21_4
; %bb.2:
	s_clause 0x1
	s_load_b64 s[30:31], s[0:1], 0x8
	s_load_b32 s34, s[0:1], 0x8c
	s_lshl_b64 s[28:29], s[24:25], 1
	s_mul_i32 s5, s16, s5
	s_mul_hi_u32 s21, s16, s4
	s_add_u32 s27, s2, s28
	s_mul_i32 s4, s16, s4
	s_addc_u32 s28, s3, s29
	s_add_i32 s5, s21, s5
	s_ashr_i32 s21, s20, 31
	s_lshl_b64 s[4:5], s[4:5], 2
	s_mov_b32 s33, 0
	s_waitcnt lgkmcnt(0)
	s_add_u32 s29, s30, s4
	s_addc_u32 s30, s31, s5
	s_abs_i32 s31, s20
	s_and_b32 s34, s34, 0xffff
	v_cvt_f32_u32_e32 v1, s31
	s_sub_i32 s4, 0, s31
	s_sub_i32 s35, 0, s20
	s_lshl_b32 s37, s34, 1
	s_delay_alu instid0(VALU_DEP_1) | instskip(SKIP_2) | instid1(VALU_DEP_1)
	v_rcp_iflag_f32_e32 v1, v1
	s_waitcnt_depctr 0xfff
	v_mul_f32_e32 v1, 0x4f7ffffe, v1
	v_cvt_u32_f32_e32 v2, v1
	s_delay_alu instid0(VALU_DEP_1) | instskip(SKIP_1) | instid1(SALU_CYCLE_1)
	v_mul_lo_u32 v1, s4, v2
	s_lshl_b32 s4, s20, 1
	s_sub_i32 s36, 0, s4
	s_lshl_b64 s[4:5], s[20:21], 1
	s_delay_alu instid0(VALU_DEP_1) | instskip(NEXT) | instid1(VALU_DEP_1)
	v_mul_hi_u32 v4, v2, v1
	v_dual_mov_b32 v1, v3 :: v_dual_add_nc_u32 v4, v2, v4
	v_mov_b32_e32 v2, v0
.LBB21_3:                               ; =>This Inner Loop Header: Depth=1
	s_delay_alu instid0(VALU_DEP_1) | instskip(SKIP_1) | instid1(VALU_DEP_2)
	v_sub_nc_u32_e32 v5, 0, v2
	v_ashrrev_i32_e32 v6, 31, v2
	v_max_i32_e32 v5, v2, v5
	s_delay_alu instid0(VALU_DEP_2) | instskip(NEXT) | instid1(VALU_DEP_2)
	v_xor_b32_e32 v6, s21, v6
	v_mul_hi_u32 v7, v5, v4
	s_delay_alu instid0(VALU_DEP_1) | instskip(SKIP_1) | instid1(VALU_DEP_2)
	v_mul_lo_u32 v8, v7, s31
	v_add_nc_u32_e32 v9, 1, v7
	v_sub_nc_u32_e32 v5, v5, v8
	s_delay_alu instid0(VALU_DEP_1) | instskip(SKIP_1) | instid1(VALU_DEP_4)
	v_subrev_nc_u32_e32 v8, s31, v5
	v_cmp_le_u32_e32 vcc_lo, s31, v5
	v_cndmask_b32_e32 v7, v7, v9, vcc_lo
	s_delay_alu instid0(VALU_DEP_1) | instskip(NEXT) | instid1(VALU_DEP_1)
	v_dual_cndmask_b32 v5, v5, v8 :: v_dual_add_nc_u32 v8, 1, v7
	v_cmp_le_u32_e32 vcc_lo, s31, v5
	s_delay_alu instid0(VALU_DEP_2) | instskip(NEXT) | instid1(VALU_DEP_1)
	v_cndmask_b32_e32 v5, v7, v8, vcc_lo
	v_xor_b32_e32 v5, v5, v6
	s_delay_alu instid0(VALU_DEP_1) | instskip(NEXT) | instid1(VALU_DEP_1)
	v_sub_nc_u32_e32 v11, v5, v6
	v_mad_u64_u32 v[5:6], null, s35, v11, v[2:3]
	v_ashrrev_i32_e32 v6, 31, v11
	v_mul_lo_u32 v12, v11, s7
	v_mad_u64_u32 v[7:8], null, v11, s6, 0
	v_mad_u64_u32 v[9:10], null, s36, v11, v[1:2]
	s_delay_alu instid0(VALU_DEP_4) | instskip(SKIP_3) | instid1(VALU_DEP_3)
	v_mul_lo_u32 v11, v6, s6
	v_ashrrev_i32_e32 v6, 31, v5
	v_add_nc_u32_e32 v2, s34, v2
	v_add_nc_u32_e32 v1, s37, v1
	v_lshlrev_b64 v[5:6], 1, v[5:6]
	v_ashrrev_i32_e32 v10, 31, v9
	v_add3_u32 v8, v8, v12, v11
	s_delay_alu instid0(VALU_DEP_3) | instskip(NEXT) | instid1(VALU_DEP_2)
	v_add_co_u32 v5, vcc_lo, s27, v5
	v_lshlrev_b64 v[7:8], 2, v[7:8]
	v_add_co_ci_u32_e32 v6, vcc_lo, s28, v6, vcc_lo
	s_delay_alu instid0(VALU_DEP_3) | instskip(SKIP_1) | instid1(VALU_DEP_3)
	v_add_co_u32 v11, vcc_lo, v5, s4
	v_lshlrev_b64 v[9:10], 2, v[9:10]
	v_add_co_ci_u32_e32 v12, vcc_lo, s5, v6, vcc_lo
	v_add_co_u32 v7, vcc_lo, s29, v7
	v_add_co_ci_u32_e32 v8, vcc_lo, s30, v8, vcc_lo
	s_clause 0x1
	global_load_u16 v13, v[5:6], off
	global_load_u16 v11, v[11:12], off
	v_add_co_u32 v5, vcc_lo, v7, v9
	v_add_co_ci_u32_e32 v6, vcc_lo, v8, v10, vcc_lo
	v_cmp_le_i32_e32 vcc_lo, s17, v2
	global_load_b64 v[7:8], v[5:6], off
	s_or_b32 s33, vcc_lo, s33
	s_waitcnt vmcnt(2)
	v_cvt_f32_f16_e32 v9, v13
	s_waitcnt vmcnt(1)
	v_cvt_f32_f16_e32 v10, v11
	s_waitcnt vmcnt(0)
	s_delay_alu instid0(VALU_DEP_1) | instskip(SKIP_1) | instid1(VALU_DEP_2)
	v_mul_f32_e32 v10, v8, v10
	v_mul_f32_e32 v9, v8, v9
	v_fma_mix_f32 v8, v7, v13, -v10 op_sel_hi:[0,1,0]
	s_delay_alu instid0(VALU_DEP_2)
	v_fma_mix_f32 v9, v7, v11, v9 op_sel_hi:[0,1,0]
	global_store_b64 v[5:6], v[8:9], off
	s_and_not1_b32 exec_lo, exec_lo, s33
	s_cbranch_execnz .LBB21_3
.LBB21_4:
	s_or_b32 exec_lo, exec_lo, s26
	s_load_b128 s[4:7], s[0:1], 0x68
	s_waitcnt lgkmcnt(0)
	s_ashr_i32 s27, s7, 31
	s_mov_b32 s26, s7
	s_delay_alu instid0(SALU_CYCLE_1) | instskip(SKIP_1) | instid1(SALU_CYCLE_1)
	s_or_b64 s[30:31], s[22:23], s[26:27]
	s_mov_b32 s30, 0
	s_cmp_lg_u64 s[30:31], 0
	s_cbranch_scc0 .LBB21_14
; %bb.5:
	s_add_u32 s34, s26, s27
	s_mov_b32 s28, s27
	s_mov_b32 s29, s27
	s_addc_u32 s35, s27, s27
	s_delay_alu instid0(SALU_CYCLE_1) | instskip(NEXT) | instid1(SALU_CYCLE_1)
	s_xor_b64 s[34:35], s[34:35], s[28:29]
	v_cvt_f32_u32_e32 v1, s34
	v_cvt_f32_u32_e32 v2, s35
	s_sub_u32 s21, 0, s34
	s_subb_u32 s31, 0, s35
	s_delay_alu instid0(VALU_DEP_1) | instskip(NEXT) | instid1(VALU_DEP_1)
	v_fmamk_f32 v1, v2, 0x4f800000, v1
	v_rcp_f32_e32 v1, v1
	s_waitcnt_depctr 0xfff
	v_mul_f32_e32 v1, 0x5f7ffffc, v1
	s_delay_alu instid0(VALU_DEP_1) | instskip(NEXT) | instid1(VALU_DEP_1)
	v_mul_f32_e32 v2, 0x2f800000, v1
	v_trunc_f32_e32 v2, v2
	s_delay_alu instid0(VALU_DEP_1) | instskip(SKIP_1) | instid1(VALU_DEP_2)
	v_fmamk_f32 v1, v2, 0xcf800000, v1
	v_cvt_u32_f32_e32 v2, v2
	v_cvt_u32_f32_e32 v1, v1
	s_delay_alu instid0(VALU_DEP_2) | instskip(NEXT) | instid1(VALU_DEP_2)
	v_readfirstlane_b32 s7, v2
	v_readfirstlane_b32 s17, v1
	s_delay_alu instid0(VALU_DEP_2) | instskip(NEXT) | instid1(VALU_DEP_1)
	s_mul_i32 s33, s21, s7
	s_mul_hi_u32 s37, s21, s17
	s_mul_i32 s36, s31, s17
	s_add_i32 s33, s37, s33
	s_mul_i32 s38, s21, s17
	s_add_i32 s33, s33, s36
	s_mul_hi_u32 s37, s17, s38
	s_mul_hi_u32 s39, s7, s38
	s_mul_i32 s36, s7, s38
	s_mul_hi_u32 s38, s17, s33
	s_mul_i32 s17, s17, s33
	s_mul_hi_u32 s40, s7, s33
	s_add_u32 s17, s37, s17
	s_addc_u32 s37, 0, s38
	s_add_u32 s17, s17, s36
	s_mul_i32 s33, s7, s33
	s_addc_u32 s17, s37, s39
	s_addc_u32 s36, s40, 0
	s_add_u32 s17, s17, s33
	s_addc_u32 s33, 0, s36
	v_add_co_u32 v1, s17, v1, s17
	s_delay_alu instid0(VALU_DEP_1) | instskip(SKIP_1) | instid1(VALU_DEP_1)
	s_cmp_lg_u32 s17, 0
	s_addc_u32 s7, s7, s33
	v_readfirstlane_b32 s17, v1
	s_mul_i32 s33, s21, s7
	s_delay_alu instid0(VALU_DEP_1)
	s_mul_hi_u32 s36, s21, s17
	s_mul_i32 s31, s31, s17
	s_add_i32 s33, s36, s33
	s_mul_i32 s21, s21, s17
	s_add_i32 s33, s33, s31
	s_mul_hi_u32 s36, s7, s21
	s_mul_i32 s37, s7, s21
	s_mul_hi_u32 s21, s17, s21
	s_mul_hi_u32 s38, s17, s33
	s_mul_i32 s17, s17, s33
	s_mul_hi_u32 s31, s7, s33
	s_add_u32 s17, s21, s17
	s_addc_u32 s21, 0, s38
	s_add_u32 s17, s17, s37
	s_mul_i32 s33, s7, s33
	s_addc_u32 s17, s21, s36
	s_addc_u32 s21, s31, 0
	s_add_u32 s17, s17, s33
	s_addc_u32 s21, 0, s21
	v_add_co_u32 v1, s17, v1, s17
	s_delay_alu instid0(VALU_DEP_1) | instskip(SKIP_2) | instid1(VALU_DEP_1)
	s_cmp_lg_u32 s17, 0
	s_addc_u32 s7, s7, s21
	s_ashr_i32 s36, s23, 31
	v_readfirstlane_b32 s17, v1
	s_add_u32 s38, s22, s36
	s_mov_b32 s37, s36
	s_addc_u32 s39, s23, s36
	s_delay_alu instid0(SALU_CYCLE_1) | instskip(NEXT) | instid1(SALU_CYCLE_1)
	s_xor_b64 s[38:39], s[38:39], s[36:37]
	s_mul_i32 s31, s38, s7
	s_mul_hi_u32 s33, s38, s17
	s_mul_hi_u32 s21, s38, s7
	;; [unrolled: 1-line block ×3, first 2 shown]
	s_mul_i32 s17, s39, s17
	s_add_u32 s31, s33, s31
	s_addc_u32 s21, 0, s21
	s_mul_hi_u32 s40, s39, s7
	s_add_u32 s17, s31, s17
	s_mul_i32 s7, s39, s7
	s_addc_u32 s17, s21, s41
	s_addc_u32 s21, s40, 0
	s_add_u32 s7, s17, s7
	s_addc_u32 s17, 0, s21
	s_mul_hi_u32 s21, s34, s7
	s_mul_i32 s33, s34, s17
	s_mul_i32 s40, s34, s7
	s_add_i32 s21, s21, s33
	v_sub_co_u32 v1, s33, s38, s40
	s_mul_i32 s31, s35, s7
	s_delay_alu instid0(SALU_CYCLE_1) | instskip(NEXT) | instid1(VALU_DEP_1)
	s_add_i32 s21, s21, s31
	v_sub_co_u32 v2, s38, v1, s34
	s_sub_i32 s31, s39, s21
	s_cmp_lg_u32 s33, 0
	s_subb_u32 s31, s31, s35
	s_cmp_lg_u32 s38, 0
	v_readfirstlane_b32 s38, v2
	s_subb_u32 s31, s31, 0
	s_delay_alu instid0(SALU_CYCLE_1) | instskip(SKIP_1) | instid1(VALU_DEP_1)
	s_cmp_ge_u32 s31, s35
	s_cselect_b32 s40, -1, 0
	s_cmp_ge_u32 s38, s34
	s_cselect_b32 s38, -1, 0
	s_cmp_eq_u32 s31, s35
	s_cselect_b32 s31, s38, s40
	s_add_u32 s38, s7, 1
	s_addc_u32 s40, s17, 0
	s_add_u32 s41, s7, 2
	s_addc_u32 s42, s17, 0
	s_cmp_lg_u32 s31, 0
	s_cselect_b32 s31, s41, s38
	s_cselect_b32 s38, s42, s40
	s_cmp_lg_u32 s33, 0
	v_readfirstlane_b32 s33, v1
	s_subb_u32 s21, s39, s21
	s_delay_alu instid0(SALU_CYCLE_1) | instskip(SKIP_1) | instid1(VALU_DEP_1)
	s_cmp_ge_u32 s21, s35
	s_cselect_b32 s39, -1, 0
	s_cmp_ge_u32 s33, s34
	s_cselect_b32 s33, -1, 0
	s_cmp_eq_u32 s21, s35
	s_cselect_b32 s21, s33, s39
	s_delay_alu instid0(SALU_CYCLE_1) | instskip(SKIP_3) | instid1(SALU_CYCLE_1)
	s_cmp_lg_u32 s21, 0
	s_cselect_b32 s35, s38, s17
	s_cselect_b32 s34, s31, s7
	s_xor_b64 s[28:29], s[36:37], s[28:29]
	s_xor_b64 s[34:35], s[34:35], s[28:29]
	s_delay_alu instid0(SALU_CYCLE_1)
	s_sub_u32 s28, s34, s28
	s_subb_u32 s29, s35, s29
	s_and_not1_b32 vcc_lo, exec_lo, s30
	s_cbranch_vccnz .LBB21_7
.LBB21_6:
	v_cvt_f32_u32_e32 v1, s26
	s_sub_i32 s17, 0, s26
	s_mov_b32 s29, 0
	s_delay_alu instid0(VALU_DEP_1) | instskip(SKIP_2) | instid1(VALU_DEP_1)
	v_rcp_iflag_f32_e32 v1, v1
	s_waitcnt_depctr 0xfff
	v_mul_f32_e32 v1, 0x4f7ffffe, v1
	v_cvt_u32_f32_e32 v1, v1
	s_delay_alu instid0(VALU_DEP_1) | instskip(NEXT) | instid1(VALU_DEP_1)
	v_readfirstlane_b32 s7, v1
	s_mul_i32 s17, s17, s7
	s_delay_alu instid0(SALU_CYCLE_1) | instskip(NEXT) | instid1(SALU_CYCLE_1)
	s_mul_hi_u32 s17, s7, s17
	s_add_i32 s7, s7, s17
	s_delay_alu instid0(SALU_CYCLE_1) | instskip(NEXT) | instid1(SALU_CYCLE_1)
	s_mul_hi_u32 s7, s22, s7
	s_mul_i32 s17, s7, s26
	s_add_i32 s21, s7, 1
	s_sub_i32 s17, s22, s17
	s_delay_alu instid0(SALU_CYCLE_1)
	s_sub_i32 s28, s17, s26
	s_cmp_ge_u32 s17, s26
	s_cselect_b32 s7, s21, s7
	s_cselect_b32 s17, s28, s17
	s_add_i32 s21, s7, 1
	s_cmp_ge_u32 s17, s26
	s_cselect_b32 s28, s21, s7
.LBB21_7:
	s_delay_alu instid0(SALU_CYCLE_1)
	s_mul_i32 s7, s28, s27
	s_mul_hi_u32 s17, s28, s26
	s_mul_i32 s21, s28, s26
	s_add_i32 s7, s17, s7
	s_mul_i32 s17, s29, s26
	s_mul_hi_u32 s31, s28, s4
	s_add_i32 s7, s7, s17
	s_sub_u32 s17, s22, s21
	s_subb_u32 s30, s23, s7
	s_mul_i32 s33, s29, s4
	s_mul_i32 s26, s28, s4
	s_mul_hi_u32 s29, s17, s5
	s_mul_i32 s30, s30, s5
	s_mul_i32 s22, s17, s5
	s_mov_b32 s34, exec_lo
	v_cmpx_gt_i32_e64 s20, v0
	s_cbranch_execz .LBB21_10
; %bb.8:
	s_load_b32 s23, s[0:1], 0x8c
	s_lshl_b64 s[36:37], s[24:25], 1
	s_ashr_i32 s21, s20, 31
	s_ashr_i32 s27, s4, 31
	;; [unrolled: 1-line block ×4, first 2 shown]
	s_mul_i32 s9, s9, s16
	s_mul_hi_u32 s25, s8, s16
	s_mul_i32 s38, s8, s16
	v_dual_mov_b32 v7, v0 :: v_dual_lshlrev_b32 v4, 3, v0
	s_mul_i32 s27, s28, s27
	s_mul_i32 s35, s17, s35
	v_lshlrev_b32_e32 v5, 2, v0
	s_waitcnt lgkmcnt(0)
	s_and_b32 s24, s23, 0xffff
	s_add_u32 s2, s2, s36
	s_addc_u32 s23, s3, s37
	s_add_i32 s39, s25, s9
	v_add_co_u32 v1, s2, s2, v3
	s_lshl_b64 s[36:37], s[38:39], 2
	s_lshl_b32 s3, s24, 1
	s_lshl_b64 s[8:9], s[20:21], 1
	v_add_co_ci_u32_e64 v2, null, s23, 0, s2
	s_add_u32 s2, s12, s36
	s_addc_u32 s12, s13, s37
	v_add_co_u32 v3, s2, s2, v4
	s_add_i32 s13, s31, s27
	v_add_co_ci_u32_e64 v4, null, s12, 0, s2
	s_add_i32 s2, s29, s35
	s_add_i32 s27, s13, s33
	;; [unrolled: 1-line block ×3, first 2 shown]
	s_lshl_b64 s[36:37], s[26:27], 1
	s_lshl_b64 s[38:39], s[22:23], 1
	s_lshl_b32 s12, s24, 3
	s_add_u32 s2, s36, s38
	s_addc_u32 s13, s37, s39
	s_lshl_b64 s[36:37], s[6:7], 1
	v_add_co_u32 v3, vcc_lo, v3, 4
	s_add_u32 s7, s18, s36
	s_addc_u32 s21, s19, s37
	s_add_u32 s2, s7, s2
	s_addc_u32 s7, s21, s13
	v_add_co_u32 v5, s2, s2, v5
	v_add_co_ci_u32_e32 v4, vcc_lo, 0, v4, vcc_lo
	v_add_co_ci_u32_e64 v6, null, s7, 0, s2
	s_mov_b32 s7, 0
	s_lshl_b32 s13, s24, 2
	s_set_inst_prefetch_distance 0x1
	.p2align	6
.LBB21_9:                               ; =>This Inner Loop Header: Depth=1
	v_add_co_u32 v8, vcc_lo, v1, s8
	v_add_co_ci_u32_e32 v9, vcc_lo, s9, v2, vcc_lo
	s_clause 0x1
	global_load_u16 v10, v[1:2], off
	global_load_u16 v11, v[8:9], off
	global_load_b64 v[8:9], v[3:4], off offset:-4
	v_add_co_u32 v1, vcc_lo, v1, s3
	v_add_co_ci_u32_e32 v2, vcc_lo, 0, v2, vcc_lo
	s_waitcnt vmcnt(2)
	v_cvt_f32_f16_e32 v12, v10
	s_waitcnt vmcnt(1)
	v_cvt_f32_f16_e32 v13, v11
	s_waitcnt vmcnt(0)
	s_delay_alu instid0(VALU_DEP_2) | instskip(NEXT) | instid1(VALU_DEP_2)
	v_dual_mul_f32 v12, v9, v12 :: v_dual_add_nc_u32 v7, s24, v7
	v_mul_f32_e32 v13, v9, v13
	s_delay_alu instid0(VALU_DEP_2) | instskip(NEXT) | instid1(VALU_DEP_3)
	v_cmp_le_i32_e32 vcc_lo, s20, v7
	v_fma_mix_f32 v9, v8, v11, v12 op_sel_hi:[0,1,0]
	s_delay_alu instid0(VALU_DEP_3) | instskip(SKIP_4) | instid1(VALU_DEP_1)
	v_fma_mix_f32 v8, v8, v10, -v13 op_sel_hi:[0,1,0]
	s_or_b32 s7, vcc_lo, s7
	global_store_b64 v[3:4], v[8:9], off offset:-4
	v_perm_b32 v8, v9, v8, 0x5040100
	v_add_co_u32 v3, s2, v3, s12
	v_add_co_ci_u32_e64 v4, s2, 0, v4, s2
	global_store_b32 v[5:6], v8, off
	v_add_co_u32 v5, s2, v5, s13
	s_delay_alu instid0(VALU_DEP_1)
	v_add_co_ci_u32_e64 v6, s2, 0, v6, s2
	s_and_not1_b32 exec_lo, exec_lo, s7
	s_cbranch_execnz .LBB21_9
.LBB21_10:
	s_set_inst_prefetch_distance 0x2
	s_or_b32 exec_lo, exec_lo, s34
	s_delay_alu instid0(SALU_CYCLE_1)
	s_mov_b32 s2, exec_lo
	v_cmpx_gt_i32_e64 s6, v0
	s_cbranch_execz .LBB21_13
; %bb.11:
	s_mul_i32 s3, s16, s11
	s_mul_hi_u32 s7, s16, s10
	s_mul_i32 s2, s16, s10
	s_add_i32 s3, s7, s3
	s_load_b32 s7, s[0:1], 0x8c
	s_lshl_b64 s[2:3], s[2:3], 2
	s_delay_alu instid0(SALU_CYCLE_1) | instskip(SKIP_2) | instid1(SALU_CYCLE_1)
	s_add_u32 s2, s14, s2
	s_addc_u32 s3, s15, s3
	s_ashr_i32 s4, s4, 31
	s_mul_i32 s4, s28, s4
	s_delay_alu instid0(SALU_CYCLE_1) | instskip(NEXT) | instid1(SALU_CYCLE_1)
	s_add_i32 s0, s31, s4
	s_add_i32 s27, s0, s33
	s_delay_alu instid0(SALU_CYCLE_1) | instskip(NEXT) | instid1(SALU_CYCLE_1)
	s_lshl_b64 s[0:1], s[26:27], 1
	s_add_u32 s0, s18, s0
	s_addc_u32 s8, s19, s1
	s_ashr_i32 s1, s5, 31
	s_delay_alu instid0(SALU_CYCLE_1) | instskip(NEXT) | instid1(SALU_CYCLE_1)
	s_mul_i32 s17, s17, s1
	s_add_i32 s1, s29, s17
	s_delay_alu instid0(SALU_CYCLE_1) | instskip(NEXT) | instid1(SALU_CYCLE_1)
	s_add_i32 s23, s1, s30
	s_lshl_b64 s[4:5], s[22:23], 1
	s_delay_alu instid0(SALU_CYCLE_1)
	s_add_u32 s1, s0, s4
	s_addc_u32 s4, s8, s5
	s_waitcnt lgkmcnt(0)
	s_and_b32 s5, s7, 0xffff
	s_mov_b32 s7, 0
	.p2align	6
.LBB21_12:                              ; =>This Inner Loop Header: Depth=1
	v_ashrrev_i32_e32 v1, 31, v0
	s_delay_alu instid0(VALU_DEP_1) | instskip(NEXT) | instid1(VALU_DEP_1)
	v_lshlrev_b64 v[2:3], 2, v[0:1]
	v_add_co_u32 v2, vcc_lo, s2, v2
	s_delay_alu instid0(VALU_DEP_2) | instskip(SKIP_3) | instid1(VALU_DEP_1)
	v_add_co_ci_u32_e32 v3, vcc_lo, s3, v3, vcc_lo
	global_load_u16 v3, v[2:3], off
	v_lshlrev_b64 v[1:2], 1, v[0:1]
	v_add_nc_u32_e32 v0, s5, v0
	v_cmp_le_i32_e32 vcc_lo, s6, v0
	s_delay_alu instid0(VALU_DEP_3) | instskip(NEXT) | instid1(VALU_DEP_1)
	v_add_co_u32 v1, s0, s1, v1
	v_add_co_ci_u32_e64 v2, s0, s4, v2, s0
	s_or_b32 s7, vcc_lo, s7
	s_waitcnt vmcnt(0)
	global_store_b16 v[1:2], v3, off
	s_and_not1_b32 exec_lo, exec_lo, s7
	s_cbranch_execnz .LBB21_12
.LBB21_13:
	s_nop 0
	s_sendmsg sendmsg(MSG_DEALLOC_VGPRS)
	s_endpgm
.LBB21_14:
                                        ; implicit-def: $sgpr28_sgpr29
	s_branch .LBB21_6
	.section	.rodata,"a",@progbits
	.p2align	6, 0x0
	.amdhsa_kernel _ZN4vllm38concat_and_cache_mla_rope_fused_kernelIfN3c104HalfELb0EttLNS_18Fp8KVCacheDataTypeE0EEEvPKlPT_S7_PKS6_PKT0_illlliPT3_S5_iiiiPKf
		.amdhsa_group_segment_fixed_size 0
		.amdhsa_private_segment_fixed_size 0
		.amdhsa_kernarg_size 384
		.amdhsa_user_sgpr_count 15
		.amdhsa_user_sgpr_dispatch_ptr 0
		.amdhsa_user_sgpr_queue_ptr 0
		.amdhsa_user_sgpr_kernarg_segment_ptr 1
		.amdhsa_user_sgpr_dispatch_id 0
		.amdhsa_user_sgpr_private_segment_size 0
		.amdhsa_wavefront_size32 1
		.amdhsa_uses_dynamic_stack 0
		.amdhsa_enable_private_segment 0
		.amdhsa_system_sgpr_workgroup_id_x 1
		.amdhsa_system_sgpr_workgroup_id_y 0
		.amdhsa_system_sgpr_workgroup_id_z 0
		.amdhsa_system_sgpr_workgroup_info 0
		.amdhsa_system_vgpr_workitem_id 0
		.amdhsa_next_free_vgpr 14
		.amdhsa_next_free_sgpr 43
		.amdhsa_reserve_vcc 1
		.amdhsa_float_round_mode_32 0
		.amdhsa_float_round_mode_16_64 0
		.amdhsa_float_denorm_mode_32 3
		.amdhsa_float_denorm_mode_16_64 3
		.amdhsa_dx10_clamp 1
		.amdhsa_ieee_mode 1
		.amdhsa_fp16_overflow 0
		.amdhsa_workgroup_processor_mode 1
		.amdhsa_memory_ordered 1
		.amdhsa_forward_progress 0
		.amdhsa_shared_vgpr_count 0
		.amdhsa_exception_fp_ieee_invalid_op 0
		.amdhsa_exception_fp_denorm_src 0
		.amdhsa_exception_fp_ieee_div_zero 0
		.amdhsa_exception_fp_ieee_overflow 0
		.amdhsa_exception_fp_ieee_underflow 0
		.amdhsa_exception_fp_ieee_inexact 0
		.amdhsa_exception_int_div_zero 0
	.end_amdhsa_kernel
	.section	.text._ZN4vllm38concat_and_cache_mla_rope_fused_kernelIfN3c104HalfELb0EttLNS_18Fp8KVCacheDataTypeE0EEEvPKlPT_S7_PKS6_PKT0_illlliPT3_S5_iiiiPKf,"axG",@progbits,_ZN4vllm38concat_and_cache_mla_rope_fused_kernelIfN3c104HalfELb0EttLNS_18Fp8KVCacheDataTypeE0EEEvPKlPT_S7_PKS6_PKT0_illlliPT3_S5_iiiiPKf,comdat
.Lfunc_end21:
	.size	_ZN4vllm38concat_and_cache_mla_rope_fused_kernelIfN3c104HalfELb0EttLNS_18Fp8KVCacheDataTypeE0EEEvPKlPT_S7_PKS6_PKT0_illlliPT3_S5_iiiiPKf, .Lfunc_end21-_ZN4vllm38concat_and_cache_mla_rope_fused_kernelIfN3c104HalfELb0EttLNS_18Fp8KVCacheDataTypeE0EEEvPKlPT_S7_PKS6_PKT0_illlliPT3_S5_iiiiPKf
                                        ; -- End function
	.section	.AMDGPU.csdata,"",@progbits
; Kernel info:
; codeLenInByte = 2308
; NumSgprs: 45
; NumVgprs: 14
; ScratchSize: 0
; MemoryBound: 0
; FloatMode: 240
; IeeeMode: 1
; LDSByteSize: 0 bytes/workgroup (compile time only)
; SGPRBlocks: 5
; VGPRBlocks: 1
; NumSGPRsForWavesPerEU: 45
; NumVGPRsForWavesPerEU: 14
; Occupancy: 16
; WaveLimiterHint : 1
; COMPUTE_PGM_RSRC2:SCRATCH_EN: 0
; COMPUTE_PGM_RSRC2:USER_SGPR: 15
; COMPUTE_PGM_RSRC2:TRAP_HANDLER: 0
; COMPUTE_PGM_RSRC2:TGID_X_EN: 1
; COMPUTE_PGM_RSRC2:TGID_Y_EN: 0
; COMPUTE_PGM_RSRC2:TGID_Z_EN: 0
; COMPUTE_PGM_RSRC2:TIDIG_COMP_CNT: 0
	.section	.text._ZN4vllm38concat_and_cache_mla_rope_fused_kernelIfN3c108BFloat16ELb1EttLNS_18Fp8KVCacheDataTypeE0EEEvPKlPT_S7_PKS6_PKT0_illlliPT3_S5_iiiiPKf,"axG",@progbits,_ZN4vllm38concat_and_cache_mla_rope_fused_kernelIfN3c108BFloat16ELb1EttLNS_18Fp8KVCacheDataTypeE0EEEvPKlPT_S7_PKS6_PKT0_illlliPT3_S5_iiiiPKf,comdat
	.protected	_ZN4vllm38concat_and_cache_mla_rope_fused_kernelIfN3c108BFloat16ELb1EttLNS_18Fp8KVCacheDataTypeE0EEEvPKlPT_S7_PKS6_PKT0_illlliPT3_S5_iiiiPKf ; -- Begin function _ZN4vllm38concat_and_cache_mla_rope_fused_kernelIfN3c108BFloat16ELb1EttLNS_18Fp8KVCacheDataTypeE0EEEvPKlPT_S7_PKS6_PKT0_illlliPT3_S5_iiiiPKf
	.globl	_ZN4vllm38concat_and_cache_mla_rope_fused_kernelIfN3c108BFloat16ELb1EttLNS_18Fp8KVCacheDataTypeE0EEEvPKlPT_S7_PKS6_PKT0_illlliPT3_S5_iiiiPKf
	.p2align	8
	.type	_ZN4vllm38concat_and_cache_mla_rope_fused_kernelIfN3c108BFloat16ELb1EttLNS_18Fp8KVCacheDataTypeE0EEEvPKlPT_S7_PKS6_PKT0_illlliPT3_S5_iiiiPKf,@function
_ZN4vllm38concat_and_cache_mla_rope_fused_kernelIfN3c108BFloat16ELb1EttLNS_18Fp8KVCacheDataTypeE0EEEvPKlPT_S7_PKS6_PKT0_illlliPT3_S5_iiiiPKf: ; @_ZN4vllm38concat_and_cache_mla_rope_fused_kernelIfN3c108BFloat16ELb1EttLNS_18Fp8KVCacheDataTypeE0EEEvPKlPT_S7_PKS6_PKT0_illlliPT3_S5_iiiiPKf
; %bb.0:
	s_load_b64 s[4:5], s[0:1], 0x60
	s_mov_b32 s16, s15
	s_mov_b32 s17, 0
	s_delay_alu instid0(SALU_CYCLE_1)
	s_lshl_b64 s[2:3], s[16:17], 3
	s_waitcnt lgkmcnt(0)
	s_add_u32 s4, s4, s2
	s_addc_u32 s5, s5, s3
	s_load_b64 s[24:25], s[4:5], 0x0
	s_waitcnt lgkmcnt(0)
	v_cmp_lt_i64_e64 s4, s[24:25], 0
	s_delay_alu instid0(VALU_DEP_1)
	s_and_b32 vcc_lo, exec_lo, s4
	s_cbranch_vccnz .LBB22_13
; %bb.1:
	s_clause 0x2
	s_load_b32 s26, s[0:1], 0x28
	s_load_b64 s[4:5], s[0:1], 0x0
	s_load_b128 s[12:15], s[0:1], 0x10
	s_mov_b32 s29, exec_lo
	s_waitcnt lgkmcnt(0)
	s_ashr_i32 s17, s26, 31
	s_add_u32 s2, s4, s2
	s_addc_u32 s3, s5, s3
	s_load_b64 s[20:21], s[2:3], 0x0
	s_clause 0x3
	s_load_b64 s[2:3], s[0:1], 0x20
	s_load_b32 s27, s[0:1], 0x50
	s_load_b64 s[18:19], s[0:1], 0x58
	s_load_b256 s[4:11], s[0:1], 0x30
	s_waitcnt lgkmcnt(0)
	s_mul_i32 s17, s20, s17
	s_mul_hi_u32 s22, s20, s26
	s_mul_i32 s21, s21, s26
	s_add_i32 s17, s22, s17
	s_mul_i32 s20, s20, s26
	s_add_i32 s21, s17, s21
	s_delay_alu instid0(SALU_CYCLE_1) | instskip(NEXT) | instid1(SALU_CYCLE_1)
	s_lshl_b64 s[22:23], s[20:21], 1
	s_add_u32 s17, s2, s22
	s_addc_u32 s33, s3, s23
	s_lshr_b32 s20, s26, 31
	s_delay_alu instid0(SALU_CYCLE_1) | instskip(NEXT) | instid1(SALU_CYCLE_1)
	s_add_i32 s26, s26, s20
	s_ashr_i32 s20, s26, 1
	s_delay_alu instid0(SALU_CYCLE_1) | instskip(NEXT) | instid1(SALU_CYCLE_1)
	s_mul_i32 s28, s20, s27
	v_cmpx_gt_i32_e64 s28, v0
	s_cbranch_execz .LBB22_4
; %bb.2:
	s_clause 0x1
	s_load_b64 s[26:27], s[0:1], 0x8
	s_load_b32 s36, s[0:1], 0x8c
	s_mul_i32 s5, s16, s5
	s_mul_hi_u32 s21, s16, s4
	s_mul_i32 s4, s16, s4
	s_add_i32 s5, s21, s5
	s_ashr_i32 s21, s20, 31
	s_lshl_b64 s[4:5], s[4:5], 2
	s_mov_b32 s35, 0
	s_waitcnt lgkmcnt(0)
	s_add_u32 s30, s26, s4
	s_addc_u32 s31, s27, s5
	s_abs_i32 s34, s20
	s_and_b32 s36, s36, 0xffff
	v_cvt_f32_u32_e32 v1, s34
	s_sub_i32 s4, 0, s34
	s_sub_i32 s37, 0, s20
	s_lshl_b64 s[26:27], s[20:21], 2
	s_delay_alu instid0(VALU_DEP_1) | instskip(SKIP_2) | instid1(VALU_DEP_1)
	v_rcp_iflag_f32_e32 v1, v1
	s_waitcnt_depctr 0xfff
	v_mul_f32_e32 v1, 0x4f7ffffe, v1
	v_cvt_u32_f32_e32 v1, v1
	s_delay_alu instid0(VALU_DEP_1) | instskip(SKIP_1) | instid1(VALU_DEP_1)
	v_mul_lo_u32 v2, s4, v1
	s_lshl_b64 s[4:5], s[20:21], 1
	v_mul_hi_u32 v2, v1, v2
	s_delay_alu instid0(VALU_DEP_1)
	v_dual_mov_b32 v1, v0 :: v_dual_add_nc_u32 v2, v1, v2
.LBB22_3:                               ; =>This Inner Loop Header: Depth=1
	s_delay_alu instid0(VALU_DEP_1) | instskip(SKIP_1) | instid1(VALU_DEP_2)
	v_sub_nc_u32_e32 v3, 0, v1
	v_ashrrev_i32_e32 v4, 31, v1
	v_max_i32_e32 v3, v1, v3
	s_delay_alu instid0(VALU_DEP_2) | instskip(NEXT) | instid1(VALU_DEP_2)
	v_xor_b32_e32 v4, s21, v4
	v_mul_hi_u32 v5, v3, v2
	s_delay_alu instid0(VALU_DEP_1) | instskip(SKIP_1) | instid1(VALU_DEP_2)
	v_mul_lo_u32 v6, v5, s34
	v_add_nc_u32_e32 v7, 1, v5
	v_sub_nc_u32_e32 v3, v3, v6
	s_delay_alu instid0(VALU_DEP_1) | instskip(SKIP_1) | instid1(VALU_DEP_4)
	v_subrev_nc_u32_e32 v6, s34, v3
	v_cmp_le_u32_e32 vcc_lo, s34, v3
	v_cndmask_b32_e32 v5, v5, v7, vcc_lo
	s_delay_alu instid0(VALU_DEP_1) | instskip(NEXT) | instid1(VALU_DEP_1)
	v_dual_cndmask_b32 v3, v3, v6 :: v_dual_add_nc_u32 v6, 1, v5
	v_cmp_le_u32_e32 vcc_lo, s34, v3
	s_delay_alu instid0(VALU_DEP_2) | instskip(NEXT) | instid1(VALU_DEP_1)
	v_cndmask_b32_e32 v3, v5, v6, vcc_lo
	v_xor_b32_e32 v3, v3, v4
	s_delay_alu instid0(VALU_DEP_1) | instskip(NEXT) | instid1(VALU_DEP_1)
	v_sub_nc_u32_e32 v7, v3, v4
	v_ashrrev_i32_e32 v8, 31, v7
	v_mad_u64_u32 v[3:4], null, s37, v7, v[1:2]
	v_mul_lo_u32 v9, v7, s7
	v_mad_u64_u32 v[5:6], null, v7, s6, 0
	s_delay_alu instid0(VALU_DEP_4) | instskip(SKIP_2) | instid1(VALU_DEP_3)
	v_mul_lo_u32 v7, v8, s6
	v_add_nc_u32_e32 v1, s36, v1
	v_ashrrev_i32_e32 v4, 31, v3
	v_add3_u32 v6, v6, v9, v7
	s_delay_alu instid0(VALU_DEP_2) | instskip(SKIP_1) | instid1(VALU_DEP_3)
	v_lshlrev_b64 v[7:8], 1, v[3:4]
	v_lshlrev_b64 v[3:4], 2, v[3:4]
	;; [unrolled: 1-line block ×3, first 2 shown]
	s_delay_alu instid0(VALU_DEP_3) | instskip(NEXT) | instid1(VALU_DEP_4)
	v_add_co_u32 v7, vcc_lo, s17, v7
	v_add_co_ci_u32_e32 v8, vcc_lo, s33, v8, vcc_lo
	s_delay_alu instid0(VALU_DEP_3) | instskip(NEXT) | instid1(VALU_DEP_4)
	v_add_co_u32 v10, vcc_lo, s30, v5
	v_add_co_ci_u32_e32 v11, vcc_lo, s31, v6, vcc_lo
	s_delay_alu instid0(VALU_DEP_4) | instskip(NEXT) | instid1(VALU_DEP_4)
	v_add_co_u32 v5, vcc_lo, v7, s4
	v_add_co_ci_u32_e32 v6, vcc_lo, s5, v8, vcc_lo
	s_delay_alu instid0(VALU_DEP_4) | instskip(NEXT) | instid1(VALU_DEP_4)
	v_add_co_u32 v3, vcc_lo, v10, v3
	v_add_co_ci_u32_e32 v4, vcc_lo, v11, v4, vcc_lo
	s_clause 0x1
	global_load_u16 v9, v[7:8], off
	global_load_u16 v7, v[5:6], off
	v_add_co_u32 v5, vcc_lo, v3, s26
	v_add_co_ci_u32_e32 v6, vcc_lo, s27, v4, vcc_lo
	s_clause 0x1
	global_load_b32 v8, v[3:4], off
	global_load_b32 v10, v[5:6], off
	v_cmp_le_i32_e32 vcc_lo, s28, v1
	s_or_b32 s35, vcc_lo, s35
	s_waitcnt vmcnt(3)
	v_lshlrev_b32_e32 v9, 16, v9
	s_waitcnt vmcnt(2)
	v_lshlrev_b32_e32 v7, 16, v7
	s_waitcnt vmcnt(1)
	s_delay_alu instid0(VALU_DEP_1) | instskip(SKIP_2) | instid1(VALU_DEP_2)
	v_mul_f32_e32 v11, v8, v7
	s_waitcnt vmcnt(0)
	v_mul_f32_e32 v7, v10, v7
	v_fmac_f32_e32 v11, v10, v9
	s_delay_alu instid0(VALU_DEP_2)
	v_fma_f32 v7, v8, v9, -v7
	s_clause 0x1
	global_store_b32 v[3:4], v7, off
	global_store_b32 v[5:6], v11, off
	s_and_not1_b32 exec_lo, exec_lo, s35
	s_cbranch_execnz .LBB22_3
.LBB22_4:
	s_or_b32 exec_lo, exec_lo, s29
	s_load_b128 s[4:7], s[0:1], 0x68
	s_waitcnt lgkmcnt(0)
	s_ashr_i32 s29, s7, 31
	s_mov_b32 s28, s7
	s_delay_alu instid0(SALU_CYCLE_1) | instskip(SKIP_1) | instid1(SALU_CYCLE_1)
	s_or_b64 s[30:31], s[24:25], s[28:29]
	s_mov_b32 s30, 0
	s_cmp_lg_u64 s[30:31], 0
	s_cbranch_scc0 .LBB22_14
; %bb.5:
	s_add_u32 s34, s28, s29
	s_mov_b32 s26, s29
	s_mov_b32 s27, s29
	s_addc_u32 s35, s29, s29
	s_delay_alu instid0(SALU_CYCLE_1) | instskip(NEXT) | instid1(SALU_CYCLE_1)
	s_xor_b64 s[34:35], s[34:35], s[26:27]
	v_cvt_f32_u32_e32 v1, s34
	v_cvt_f32_u32_e32 v2, s35
	s_sub_u32 s31, 0, s34
	s_subb_u32 s36, 0, s35
	s_delay_alu instid0(VALU_DEP_1) | instskip(NEXT) | instid1(VALU_DEP_1)
	v_fmamk_f32 v1, v2, 0x4f800000, v1
	v_rcp_f32_e32 v1, v1
	s_waitcnt_depctr 0xfff
	v_mul_f32_e32 v1, 0x5f7ffffc, v1
	s_delay_alu instid0(VALU_DEP_1) | instskip(NEXT) | instid1(VALU_DEP_1)
	v_mul_f32_e32 v2, 0x2f800000, v1
	v_trunc_f32_e32 v2, v2
	s_delay_alu instid0(VALU_DEP_1) | instskip(SKIP_1) | instid1(VALU_DEP_2)
	v_fmamk_f32 v1, v2, 0xcf800000, v1
	v_cvt_u32_f32_e32 v2, v2
	v_cvt_u32_f32_e32 v1, v1
	s_delay_alu instid0(VALU_DEP_2) | instskip(NEXT) | instid1(VALU_DEP_2)
	v_readfirstlane_b32 s7, v2
	v_readfirstlane_b32 s21, v1
	s_delay_alu instid0(VALU_DEP_2) | instskip(NEXT) | instid1(VALU_DEP_1)
	s_mul_i32 s37, s31, s7
	s_mul_hi_u32 s39, s31, s21
	s_mul_i32 s38, s36, s21
	s_add_i32 s37, s39, s37
	s_mul_i32 s40, s31, s21
	s_add_i32 s37, s37, s38
	s_mul_hi_u32 s39, s21, s40
	s_mul_hi_u32 s41, s7, s40
	s_mul_i32 s38, s7, s40
	s_mul_hi_u32 s40, s21, s37
	s_mul_i32 s21, s21, s37
	s_mul_hi_u32 s42, s7, s37
	s_add_u32 s21, s39, s21
	s_addc_u32 s39, 0, s40
	s_add_u32 s21, s21, s38
	s_mul_i32 s37, s7, s37
	s_addc_u32 s21, s39, s41
	s_addc_u32 s38, s42, 0
	s_add_u32 s21, s21, s37
	s_addc_u32 s37, 0, s38
	v_add_co_u32 v1, s21, v1, s21
	s_delay_alu instid0(VALU_DEP_1) | instskip(SKIP_1) | instid1(VALU_DEP_1)
	s_cmp_lg_u32 s21, 0
	s_addc_u32 s7, s7, s37
	v_readfirstlane_b32 s21, v1
	s_mul_i32 s37, s31, s7
	s_delay_alu instid0(VALU_DEP_1)
	s_mul_hi_u32 s38, s31, s21
	s_mul_i32 s36, s36, s21
	s_add_i32 s37, s38, s37
	s_mul_i32 s31, s31, s21
	s_add_i32 s37, s37, s36
	s_mul_hi_u32 s38, s7, s31
	s_mul_i32 s39, s7, s31
	s_mul_hi_u32 s31, s21, s31
	s_mul_hi_u32 s40, s21, s37
	s_mul_i32 s21, s21, s37
	s_mul_hi_u32 s36, s7, s37
	s_add_u32 s21, s31, s21
	s_addc_u32 s31, 0, s40
	s_add_u32 s21, s21, s39
	s_mul_i32 s37, s7, s37
	s_addc_u32 s21, s31, s38
	s_addc_u32 s31, s36, 0
	s_add_u32 s21, s21, s37
	s_addc_u32 s31, 0, s31
	v_add_co_u32 v1, s21, v1, s21
	s_delay_alu instid0(VALU_DEP_1) | instskip(SKIP_2) | instid1(VALU_DEP_1)
	s_cmp_lg_u32 s21, 0
	s_addc_u32 s7, s7, s31
	s_ashr_i32 s36, s25, 31
	v_readfirstlane_b32 s21, v1
	s_add_u32 s38, s24, s36
	s_mov_b32 s37, s36
	s_addc_u32 s39, s25, s36
	s_delay_alu instid0(SALU_CYCLE_1) | instskip(NEXT) | instid1(SALU_CYCLE_1)
	s_xor_b64 s[38:39], s[38:39], s[36:37]
	s_mul_i32 s40, s38, s7
	s_mul_hi_u32 s41, s38, s21
	s_mul_hi_u32 s31, s38, s7
	;; [unrolled: 1-line block ×3, first 2 shown]
	s_mul_i32 s21, s39, s21
	s_add_u32 s40, s41, s40
	s_addc_u32 s31, 0, s31
	s_mul_hi_u32 s42, s39, s7
	s_add_u32 s21, s40, s21
	s_mul_i32 s7, s39, s7
	s_addc_u32 s21, s31, s43
	s_addc_u32 s31, s42, 0
	s_add_u32 s7, s21, s7
	s_addc_u32 s21, 0, s31
	s_mul_i32 s42, s34, s7
	s_mul_hi_u32 s31, s34, s7
	s_mul_i32 s41, s34, s21
	v_sub_co_u32 v1, s38, s38, s42
	s_mul_i32 s40, s35, s7
	s_add_i32 s31, s31, s41
	s_delay_alu instid0(SALU_CYCLE_1) | instskip(NEXT) | instid1(VALU_DEP_1)
	s_add_i32 s31, s31, s40
	v_sub_co_u32 v2, s41, v1, s34
	s_sub_i32 s40, s39, s31
	s_cmp_lg_u32 s38, 0
	s_subb_u32 s40, s40, s35
	s_cmp_lg_u32 s41, 0
	v_readfirstlane_b32 s41, v2
	s_subb_u32 s40, s40, 0
	s_delay_alu instid0(SALU_CYCLE_1) | instskip(SKIP_1) | instid1(VALU_DEP_1)
	s_cmp_ge_u32 s40, s35
	s_cselect_b32 s42, -1, 0
	s_cmp_ge_u32 s41, s34
	s_cselect_b32 s41, -1, 0
	s_cmp_eq_u32 s40, s35
	s_cselect_b32 s40, s41, s42
	s_add_u32 s41, s7, 1
	s_addc_u32 s42, s21, 0
	s_add_u32 s43, s7, 2
	s_addc_u32 s44, s21, 0
	s_cmp_lg_u32 s40, 0
	s_cselect_b32 s40, s43, s41
	s_cselect_b32 s41, s44, s42
	s_cmp_lg_u32 s38, 0
	v_readfirstlane_b32 s38, v1
	s_subb_u32 s31, s39, s31
	s_delay_alu instid0(SALU_CYCLE_1) | instskip(SKIP_1) | instid1(VALU_DEP_1)
	s_cmp_ge_u32 s31, s35
	s_cselect_b32 s39, -1, 0
	s_cmp_ge_u32 s38, s34
	s_cselect_b32 s34, -1, 0
	s_cmp_eq_u32 s31, s35
	s_cselect_b32 s31, s34, s39
	s_delay_alu instid0(SALU_CYCLE_1) | instskip(SKIP_3) | instid1(SALU_CYCLE_1)
	s_cmp_lg_u32 s31, 0
	s_cselect_b32 s35, s41, s21
	s_cselect_b32 s34, s40, s7
	s_xor_b64 s[26:27], s[36:37], s[26:27]
	s_xor_b64 s[34:35], s[34:35], s[26:27]
	s_delay_alu instid0(SALU_CYCLE_1)
	s_sub_u32 s26, s34, s26
	s_subb_u32 s27, s35, s27
	s_and_not1_b32 vcc_lo, exec_lo, s30
	s_cbranch_vccnz .LBB22_7
.LBB22_6:
	v_cvt_f32_u32_e32 v1, s28
	s_sub_i32 s21, 0, s28
	s_delay_alu instid0(VALU_DEP_1) | instskip(SKIP_2) | instid1(VALU_DEP_1)
	v_rcp_iflag_f32_e32 v1, v1
	s_waitcnt_depctr 0xfff
	v_mul_f32_e32 v1, 0x4f7ffffe, v1
	v_cvt_u32_f32_e32 v1, v1
	s_delay_alu instid0(VALU_DEP_1) | instskip(NEXT) | instid1(VALU_DEP_1)
	v_readfirstlane_b32 s7, v1
	s_mul_i32 s21, s21, s7
	s_delay_alu instid0(SALU_CYCLE_1) | instskip(NEXT) | instid1(SALU_CYCLE_1)
	s_mul_hi_u32 s21, s7, s21
	s_add_i32 s7, s7, s21
	s_delay_alu instid0(SALU_CYCLE_1) | instskip(NEXT) | instid1(SALU_CYCLE_1)
	s_mul_hi_u32 s7, s24, s7
	s_mul_i32 s21, s7, s28
	s_add_i32 s26, s7, 1
	s_sub_i32 s21, s24, s21
	s_delay_alu instid0(SALU_CYCLE_1)
	s_sub_i32 s27, s21, s28
	s_cmp_ge_u32 s21, s28
	s_cselect_b32 s7, s26, s7
	s_cselect_b32 s21, s27, s21
	s_add_i32 s26, s7, 1
	s_cmp_ge_u32 s21, s28
	s_mov_b32 s27, 0
	s_cselect_b32 s26, s26, s7
.LBB22_7:
	s_delay_alu instid0(SALU_CYCLE_1)
	s_mul_i32 s7, s26, s29
	s_mul_hi_u32 s21, s26, s28
	s_mul_hi_u32 s34, s26, s4
	s_add_i32 s7, s21, s7
	s_mul_i32 s21, s27, s28
	s_mul_i32 s28, s26, s28
	s_add_i32 s7, s7, s21
	s_sub_u32 s30, s24, s28
	s_subb_u32 s31, s25, s7
	s_mul_i32 s35, s27, s4
	s_mul_i32 s28, s26, s4
	s_mul_hi_u32 s27, s30, s5
	s_mul_i32 s31, s31, s5
	s_mul_i32 s24, s30, s5
	s_mov_b32 s36, exec_lo
	v_cmpx_gt_i32_e64 s20, v0
	s_cbranch_execz .LBB22_10
; %bb.8:
	s_load_b32 s37, s[0:1], 0x8c
	s_ashr_i32 s7, s4, 31
	s_ashr_i32 s21, s5, 31
	s_mul_i32 s7, s26, s7
	s_mul_i32 s21, s30, s21
	s_add_i32 s7, s34, s7
	s_add_i32 s21, s27, s21
	;; [unrolled: 1-line block ×4, first 2 shown]
	s_lshl_b64 s[38:39], s[28:29], 1
	s_lshl_b64 s[40:41], s[24:25], 1
	s_ashr_i32 s21, s20, 31
	s_add_u32 s44, s38, s40
	s_addc_u32 s45, s39, s41
	s_add_u32 s25, s44, s18
	s_addc_u32 s29, s45, s19
	s_ashr_i32 s7, s6, 31
	v_lshlrev_b32_e32 v1, 2, v0
	s_lshl_b64 s[38:39], s[6:7], 1
	v_dual_mov_b32 v4, v0 :: v_dual_lshlrev_b32 v3, 1, v0
	s_add_u32 s7, s25, s38
	s_addc_u32 s25, s29, s39
	s_waitcnt lgkmcnt(0)
	s_and_b32 s29, s37, 0xffff
	s_lshl_b64 s[40:41], s[20:21], 1
	s_lshl_b32 s37, s29, 1
	s_add_u32 s22, s22, s40
	s_addc_u32 s23, s23, s41
	s_add_u32 s22, s2, s22
	s_mul_i32 s2, s9, s16
	s_mul_hi_u32 s9, s8, s16
	s_addc_u32 s3, s3, s23
	s_add_i32 s9, s9, s2
	s_mul_i32 s8, s8, s16
	s_mov_b32 s23, 0
	s_lshl_b64 s[42:43], s[8:9], 2
	s_lshl_b64 s[8:9], s[20:21], 2
	s_add_u32 s2, s12, s42
	s_addc_u32 s12, s13, s43
	v_add_co_u32 v1, s2, s2, v1
	s_delay_alu instid0(VALU_DEP_1)
	v_add_co_ci_u32_e64 v2, null, s12, 0, s2
	s_lshl_b32 s12, s29, 2
	s_add_u32 s2, s44, s40
	s_addc_u32 s13, s45, s41
	s_add_u32 s2, s2, s38
	s_addc_u32 s21, s13, s39
	;; [unrolled: 2-line block ×3, first 2 shown]
.LBB22_9:                               ; =>This Inner Loop Header: Depth=1
	v_add_co_u32 v5, s2, s17, v3
	s_delay_alu instid0(VALU_DEP_1) | instskip(SKIP_1) | instid1(VALU_DEP_1)
	v_add_co_ci_u32_e64 v6, null, s33, 0, s2
	v_add_co_u32 v7, s2, s22, v3
	v_add_co_ci_u32_e64 v8, null, s3, 0, s2
	v_add_co_u32 v9, vcc_lo, v1, s8
	v_add_co_ci_u32_e32 v10, vcc_lo, s9, v2, vcc_lo
	global_load_b32 v11, v[1:2], off
	global_load_u16 v12, v[7:8], off
	global_load_u16 v13, v[5:6], off
	global_load_b32 v14, v[9:10], off
	v_add_nc_u32_e32 v4, s29, v4
	v_add_co_u32 v5, s2, s7, v3
	s_add_u32 s17, s17, s37
	v_add_co_ci_u32_e64 v6, null, s25, 0, s2
	v_add_co_u32 v7, s2, s13, v3
	s_addc_u32 s33, s33, 0
	s_add_u32 s22, s22, s37
	v_add_co_ci_u32_e64 v8, null, s21, 0, s2
	s_addc_u32 s3, s3, 0
	v_cmp_le_i32_e32 vcc_lo, s20, v4
	s_add_u32 s13, s13, s37
	s_addc_u32 s21, s21, 0
	s_add_u32 s7, s7, s37
	s_addc_u32 s25, s25, 0
	s_or_b32 s23, vcc_lo, s23
	s_waitcnt vmcnt(2)
	v_lshlrev_b32_e32 v12, 16, v12
	s_waitcnt vmcnt(1)
	v_lshlrev_b32_e32 v13, 16, v13
	s_waitcnt vmcnt(0)
	s_delay_alu instid0(VALU_DEP_2) | instskip(SKIP_1) | instid1(VALU_DEP_2)
	v_mul_f32_e32 v15, v14, v12
	v_mul_f32_e32 v12, v11, v12
	v_fma_f32 v11, v11, v13, -v15
	s_delay_alu instid0(VALU_DEP_2) | instskip(SKIP_2) | instid1(VALU_DEP_1)
	v_fmac_f32_e32 v12, v14, v13
	global_store_b32 v[1:2], v11, off
	v_add_co_u32 v1, s2, v1, s12
	v_add_co_ci_u32_e64 v2, s2, 0, v2, s2
	global_store_b32 v[9:10], v12, off
	global_store_b16 v[5:6], v11, off
	global_store_b16 v[7:8], v12, off
	s_and_not1_b32 exec_lo, exec_lo, s23
	s_cbranch_execnz .LBB22_9
.LBB22_10:
	s_or_b32 exec_lo, exec_lo, s36
	s_delay_alu instid0(SALU_CYCLE_1)
	s_mov_b32 s2, exec_lo
	v_cmpx_gt_i32_e64 s6, v0
	s_cbranch_execz .LBB22_13
; %bb.11:
	s_mul_i32 s3, s16, s11
	s_mul_hi_u32 s7, s16, s10
	s_mul_i32 s2, s16, s10
	s_add_i32 s3, s7, s3
	s_load_b32 s7, s[0:1], 0x8c
	s_lshl_b64 s[2:3], s[2:3], 2
	s_delay_alu instid0(SALU_CYCLE_1) | instskip(SKIP_2) | instid1(SALU_CYCLE_1)
	s_add_u32 s2, s14, s2
	s_addc_u32 s3, s15, s3
	s_ashr_i32 s4, s4, 31
	s_mul_i32 s4, s26, s4
	s_delay_alu instid0(SALU_CYCLE_1) | instskip(NEXT) | instid1(SALU_CYCLE_1)
	s_add_i32 s0, s34, s4
	s_add_i32 s29, s0, s35
	s_delay_alu instid0(SALU_CYCLE_1) | instskip(NEXT) | instid1(SALU_CYCLE_1)
	s_lshl_b64 s[0:1], s[28:29], 1
	s_add_u32 s0, s18, s0
	s_addc_u32 s8, s19, s1
	s_ashr_i32 s1, s5, 31
	s_delay_alu instid0(SALU_CYCLE_1) | instskip(NEXT) | instid1(SALU_CYCLE_1)
	s_mul_i32 s30, s30, s1
	s_add_i32 s1, s27, s30
	s_delay_alu instid0(SALU_CYCLE_1) | instskip(NEXT) | instid1(SALU_CYCLE_1)
	s_add_i32 s25, s1, s31
	s_lshl_b64 s[4:5], s[24:25], 1
	s_delay_alu instid0(SALU_CYCLE_1)
	s_add_u32 s1, s0, s4
	s_addc_u32 s4, s8, s5
	s_waitcnt lgkmcnt(0)
	s_and_b32 s5, s7, 0xffff
	s_mov_b32 s7, 0
	.p2align	6
.LBB22_12:                              ; =>This Inner Loop Header: Depth=1
	v_ashrrev_i32_e32 v1, 31, v0
	s_delay_alu instid0(VALU_DEP_1) | instskip(NEXT) | instid1(VALU_DEP_1)
	v_lshlrev_b64 v[2:3], 2, v[0:1]
	v_add_co_u32 v2, vcc_lo, s2, v2
	s_delay_alu instid0(VALU_DEP_2) | instskip(SKIP_3) | instid1(VALU_DEP_1)
	v_add_co_ci_u32_e32 v3, vcc_lo, s3, v3, vcc_lo
	global_load_u16 v3, v[2:3], off
	v_lshlrev_b64 v[1:2], 1, v[0:1]
	v_add_nc_u32_e32 v0, s5, v0
	v_cmp_le_i32_e32 vcc_lo, s6, v0
	s_delay_alu instid0(VALU_DEP_3) | instskip(NEXT) | instid1(VALU_DEP_1)
	v_add_co_u32 v1, s0, s1, v1
	v_add_co_ci_u32_e64 v2, s0, s4, v2, s0
	s_or_b32 s7, vcc_lo, s7
	s_waitcnt vmcnt(0)
	global_store_b16 v[1:2], v3, off
	s_and_not1_b32 exec_lo, exec_lo, s7
	s_cbranch_execnz .LBB22_12
.LBB22_13:
	s_nop 0
	s_sendmsg sendmsg(MSG_DEALLOC_VGPRS)
	s_endpgm
.LBB22_14:
                                        ; implicit-def: $sgpr26_sgpr27
	s_branch .LBB22_6
	.section	.rodata,"a",@progbits
	.p2align	6, 0x0
	.amdhsa_kernel _ZN4vllm38concat_and_cache_mla_rope_fused_kernelIfN3c108BFloat16ELb1EttLNS_18Fp8KVCacheDataTypeE0EEEvPKlPT_S7_PKS6_PKT0_illlliPT3_S5_iiiiPKf
		.amdhsa_group_segment_fixed_size 0
		.amdhsa_private_segment_fixed_size 0
		.amdhsa_kernarg_size 384
		.amdhsa_user_sgpr_count 15
		.amdhsa_user_sgpr_dispatch_ptr 0
		.amdhsa_user_sgpr_queue_ptr 0
		.amdhsa_user_sgpr_kernarg_segment_ptr 1
		.amdhsa_user_sgpr_dispatch_id 0
		.amdhsa_user_sgpr_private_segment_size 0
		.amdhsa_wavefront_size32 1
		.amdhsa_uses_dynamic_stack 0
		.amdhsa_enable_private_segment 0
		.amdhsa_system_sgpr_workgroup_id_x 1
		.amdhsa_system_sgpr_workgroup_id_y 0
		.amdhsa_system_sgpr_workgroup_id_z 0
		.amdhsa_system_sgpr_workgroup_info 0
		.amdhsa_system_vgpr_workitem_id 0
		.amdhsa_next_free_vgpr 16
		.amdhsa_next_free_sgpr 46
		.amdhsa_reserve_vcc 1
		.amdhsa_float_round_mode_32 0
		.amdhsa_float_round_mode_16_64 0
		.amdhsa_float_denorm_mode_32 3
		.amdhsa_float_denorm_mode_16_64 3
		.amdhsa_dx10_clamp 1
		.amdhsa_ieee_mode 1
		.amdhsa_fp16_overflow 0
		.amdhsa_workgroup_processor_mode 1
		.amdhsa_memory_ordered 1
		.amdhsa_forward_progress 0
		.amdhsa_shared_vgpr_count 0
		.amdhsa_exception_fp_ieee_invalid_op 0
		.amdhsa_exception_fp_denorm_src 0
		.amdhsa_exception_fp_ieee_div_zero 0
		.amdhsa_exception_fp_ieee_overflow 0
		.amdhsa_exception_fp_ieee_underflow 0
		.amdhsa_exception_fp_ieee_inexact 0
		.amdhsa_exception_int_div_zero 0
	.end_amdhsa_kernel
	.section	.text._ZN4vllm38concat_and_cache_mla_rope_fused_kernelIfN3c108BFloat16ELb1EttLNS_18Fp8KVCacheDataTypeE0EEEvPKlPT_S7_PKS6_PKT0_illlliPT3_S5_iiiiPKf,"axG",@progbits,_ZN4vllm38concat_and_cache_mla_rope_fused_kernelIfN3c108BFloat16ELb1EttLNS_18Fp8KVCacheDataTypeE0EEEvPKlPT_S7_PKS6_PKT0_illlliPT3_S5_iiiiPKf,comdat
.Lfunc_end22:
	.size	_ZN4vllm38concat_and_cache_mla_rope_fused_kernelIfN3c108BFloat16ELb1EttLNS_18Fp8KVCacheDataTypeE0EEEvPKlPT_S7_PKS6_PKT0_illlliPT3_S5_iiiiPKf, .Lfunc_end22-_ZN4vllm38concat_and_cache_mla_rope_fused_kernelIfN3c108BFloat16ELb1EttLNS_18Fp8KVCacheDataTypeE0EEEvPKlPT_S7_PKS6_PKT0_illlliPT3_S5_iiiiPKf
                                        ; -- End function
	.section	.AMDGPU.csdata,"",@progbits
; Kernel info:
; codeLenInByte = 2380
; NumSgprs: 48
; NumVgprs: 16
; ScratchSize: 0
; MemoryBound: 0
; FloatMode: 240
; IeeeMode: 1
; LDSByteSize: 0 bytes/workgroup (compile time only)
; SGPRBlocks: 5
; VGPRBlocks: 1
; NumSGPRsForWavesPerEU: 48
; NumVGPRsForWavesPerEU: 16
; Occupancy: 16
; WaveLimiterHint : 1
; COMPUTE_PGM_RSRC2:SCRATCH_EN: 0
; COMPUTE_PGM_RSRC2:USER_SGPR: 15
; COMPUTE_PGM_RSRC2:TRAP_HANDLER: 0
; COMPUTE_PGM_RSRC2:TGID_X_EN: 1
; COMPUTE_PGM_RSRC2:TGID_Y_EN: 0
; COMPUTE_PGM_RSRC2:TGID_Z_EN: 0
; COMPUTE_PGM_RSRC2:TIDIG_COMP_CNT: 0
	.section	.text._ZN4vllm38concat_and_cache_mla_rope_fused_kernelIfN3c108BFloat16ELb0EttLNS_18Fp8KVCacheDataTypeE0EEEvPKlPT_S7_PKS6_PKT0_illlliPT3_S5_iiiiPKf,"axG",@progbits,_ZN4vllm38concat_and_cache_mla_rope_fused_kernelIfN3c108BFloat16ELb0EttLNS_18Fp8KVCacheDataTypeE0EEEvPKlPT_S7_PKS6_PKT0_illlliPT3_S5_iiiiPKf,comdat
	.protected	_ZN4vllm38concat_and_cache_mla_rope_fused_kernelIfN3c108BFloat16ELb0EttLNS_18Fp8KVCacheDataTypeE0EEEvPKlPT_S7_PKS6_PKT0_illlliPT3_S5_iiiiPKf ; -- Begin function _ZN4vllm38concat_and_cache_mla_rope_fused_kernelIfN3c108BFloat16ELb0EttLNS_18Fp8KVCacheDataTypeE0EEEvPKlPT_S7_PKS6_PKT0_illlliPT3_S5_iiiiPKf
	.globl	_ZN4vllm38concat_and_cache_mla_rope_fused_kernelIfN3c108BFloat16ELb0EttLNS_18Fp8KVCacheDataTypeE0EEEvPKlPT_S7_PKS6_PKT0_illlliPT3_S5_iiiiPKf
	.p2align	8
	.type	_ZN4vllm38concat_and_cache_mla_rope_fused_kernelIfN3c108BFloat16ELb0EttLNS_18Fp8KVCacheDataTypeE0EEEvPKlPT_S7_PKS6_PKT0_illlliPT3_S5_iiiiPKf,@function
_ZN4vllm38concat_and_cache_mla_rope_fused_kernelIfN3c108BFloat16ELb0EttLNS_18Fp8KVCacheDataTypeE0EEEvPKlPT_S7_PKS6_PKT0_illlliPT3_S5_iiiiPKf: ; @_ZN4vllm38concat_and_cache_mla_rope_fused_kernelIfN3c108BFloat16ELb0EttLNS_18Fp8KVCacheDataTypeE0EEEvPKlPT_S7_PKS6_PKT0_illlliPT3_S5_iiiiPKf
; %bb.0:
	s_load_b64 s[4:5], s[0:1], 0x60
	s_mov_b32 s16, s15
	s_mov_b32 s17, 0
	s_delay_alu instid0(SALU_CYCLE_1)
	s_lshl_b64 s[2:3], s[16:17], 3
	s_waitcnt lgkmcnt(0)
	s_add_u32 s4, s4, s2
	s_addc_u32 s5, s5, s3
	s_load_b64 s[22:23], s[4:5], 0x0
	s_waitcnt lgkmcnt(0)
	v_cmp_lt_i64_e64 s4, s[22:23], 0
	s_delay_alu instid0(VALU_DEP_1)
	s_and_b32 vcc_lo, exec_lo, s4
	s_cbranch_vccnz .LBB23_13
; %bb.1:
	s_clause 0x3
	s_load_b32 s21, s[0:1], 0x28
	s_load_b64 s[4:5], s[0:1], 0x0
	s_load_b128 s[12:15], s[0:1], 0x10
	s_load_b32 s17, s[0:1], 0x50
	v_lshlrev_b32_e32 v3, 1, v0
	s_waitcnt lgkmcnt(0)
	s_ashr_i32 s26, s21, 31
	s_add_u32 s2, s4, s2
	s_addc_u32 s3, s5, s3
	s_lshr_b32 s20, s21, 31
	s_load_b64 s[24:25], s[2:3], 0x0
	s_clause 0x2
	s_load_b64 s[2:3], s[0:1], 0x20
	s_load_b64 s[18:19], s[0:1], 0x58
	s_load_b256 s[4:11], s[0:1], 0x30
	s_add_i32 s20, s21, s20
	s_delay_alu instid0(SALU_CYCLE_1) | instskip(NEXT) | instid1(SALU_CYCLE_1)
	s_ashr_i32 s20, s20, 1
	s_mul_i32 s17, s20, s17
	s_waitcnt lgkmcnt(0)
	s_mul_i32 s26, s24, s26
	s_mul_hi_u32 s27, s24, s21
	s_mul_i32 s25, s25, s21
	s_add_i32 s26, s27, s26
	s_mul_i32 s24, s24, s21
	s_add_i32 s25, s26, s25
	s_mov_b32 s26, exec_lo
	v_cmpx_gt_i32_e64 s17, v0
	s_cbranch_execz .LBB23_4
; %bb.2:
	s_clause 0x1
	s_load_b64 s[30:31], s[0:1], 0x8
	s_load_b32 s34, s[0:1], 0x8c
	s_lshl_b64 s[28:29], s[24:25], 1
	s_mul_i32 s5, s16, s5
	s_mul_hi_u32 s21, s16, s4
	s_add_u32 s27, s2, s28
	s_mul_i32 s4, s16, s4
	s_addc_u32 s28, s3, s29
	s_add_i32 s5, s21, s5
	s_ashr_i32 s21, s20, 31
	s_lshl_b64 s[4:5], s[4:5], 2
	s_mov_b32 s33, 0
	s_waitcnt lgkmcnt(0)
	s_add_u32 s29, s30, s4
	s_addc_u32 s30, s31, s5
	s_abs_i32 s31, s20
	s_and_b32 s34, s34, 0xffff
	v_cvt_f32_u32_e32 v1, s31
	s_sub_i32 s4, 0, s31
	s_sub_i32 s35, 0, s20
	s_lshl_b32 s37, s34, 1
	s_delay_alu instid0(VALU_DEP_1) | instskip(SKIP_2) | instid1(VALU_DEP_1)
	v_rcp_iflag_f32_e32 v1, v1
	s_waitcnt_depctr 0xfff
	v_mul_f32_e32 v1, 0x4f7ffffe, v1
	v_cvt_u32_f32_e32 v2, v1
	s_delay_alu instid0(VALU_DEP_1) | instskip(SKIP_1) | instid1(SALU_CYCLE_1)
	v_mul_lo_u32 v1, s4, v2
	s_lshl_b32 s4, s20, 1
	s_sub_i32 s36, 0, s4
	s_lshl_b64 s[4:5], s[20:21], 1
	s_delay_alu instid0(VALU_DEP_1) | instskip(NEXT) | instid1(VALU_DEP_1)
	v_mul_hi_u32 v4, v2, v1
	v_dual_mov_b32 v1, v3 :: v_dual_add_nc_u32 v4, v2, v4
	v_mov_b32_e32 v2, v0
.LBB23_3:                               ; =>This Inner Loop Header: Depth=1
	s_delay_alu instid0(VALU_DEP_1) | instskip(SKIP_1) | instid1(VALU_DEP_2)
	v_sub_nc_u32_e32 v5, 0, v2
	v_ashrrev_i32_e32 v6, 31, v2
	v_max_i32_e32 v5, v2, v5
	s_delay_alu instid0(VALU_DEP_2) | instskip(NEXT) | instid1(VALU_DEP_2)
	v_xor_b32_e32 v6, s21, v6
	v_mul_hi_u32 v7, v5, v4
	s_delay_alu instid0(VALU_DEP_1) | instskip(SKIP_1) | instid1(VALU_DEP_2)
	v_mul_lo_u32 v8, v7, s31
	v_add_nc_u32_e32 v9, 1, v7
	v_sub_nc_u32_e32 v5, v5, v8
	s_delay_alu instid0(VALU_DEP_1) | instskip(SKIP_1) | instid1(VALU_DEP_4)
	v_subrev_nc_u32_e32 v8, s31, v5
	v_cmp_le_u32_e32 vcc_lo, s31, v5
	v_cndmask_b32_e32 v7, v7, v9, vcc_lo
	s_delay_alu instid0(VALU_DEP_1) | instskip(NEXT) | instid1(VALU_DEP_1)
	v_dual_cndmask_b32 v5, v5, v8 :: v_dual_add_nc_u32 v8, 1, v7
	v_cmp_le_u32_e32 vcc_lo, s31, v5
	s_delay_alu instid0(VALU_DEP_2) | instskip(NEXT) | instid1(VALU_DEP_1)
	v_cndmask_b32_e32 v5, v7, v8, vcc_lo
	v_xor_b32_e32 v5, v5, v6
	s_delay_alu instid0(VALU_DEP_1) | instskip(NEXT) | instid1(VALU_DEP_1)
	v_sub_nc_u32_e32 v11, v5, v6
	v_mad_u64_u32 v[5:6], null, s35, v11, v[2:3]
	v_ashrrev_i32_e32 v6, 31, v11
	v_mul_lo_u32 v12, v11, s7
	v_mad_u64_u32 v[7:8], null, v11, s6, 0
	v_mad_u64_u32 v[9:10], null, s36, v11, v[1:2]
	s_delay_alu instid0(VALU_DEP_4) | instskip(SKIP_3) | instid1(VALU_DEP_3)
	v_mul_lo_u32 v11, v6, s6
	v_ashrrev_i32_e32 v6, 31, v5
	v_add_nc_u32_e32 v2, s34, v2
	v_add_nc_u32_e32 v1, s37, v1
	v_lshlrev_b64 v[5:6], 1, v[5:6]
	v_ashrrev_i32_e32 v10, 31, v9
	v_add3_u32 v8, v8, v12, v11
	s_delay_alu instid0(VALU_DEP_3) | instskip(NEXT) | instid1(VALU_DEP_2)
	v_add_co_u32 v5, vcc_lo, s27, v5
	v_lshlrev_b64 v[7:8], 2, v[7:8]
	v_add_co_ci_u32_e32 v6, vcc_lo, s28, v6, vcc_lo
	s_delay_alu instid0(VALU_DEP_3) | instskip(SKIP_1) | instid1(VALU_DEP_3)
	v_add_co_u32 v11, vcc_lo, v5, s4
	v_lshlrev_b64 v[9:10], 2, v[9:10]
	v_add_co_ci_u32_e32 v12, vcc_lo, s5, v6, vcc_lo
	v_add_co_u32 v7, vcc_lo, s29, v7
	v_add_co_ci_u32_e32 v8, vcc_lo, s30, v8, vcc_lo
	s_clause 0x1
	global_load_u16 v13, v[5:6], off
	global_load_u16 v11, v[11:12], off
	v_add_co_u32 v5, vcc_lo, v7, v9
	v_add_co_ci_u32_e32 v6, vcc_lo, v8, v10, vcc_lo
	v_cmp_le_i32_e32 vcc_lo, s17, v2
	global_load_b64 v[7:8], v[5:6], off
	s_or_b32 s33, vcc_lo, s33
	s_waitcnt vmcnt(1)
	v_lshlrev_b32_e32 v9, 16, v11
	v_lshlrev_b32_e32 v11, 16, v13
	s_waitcnt vmcnt(0)
	s_delay_alu instid0(VALU_DEP_2) | instskip(SKIP_1) | instid1(VALU_DEP_2)
	v_mul_f32_e32 v12, v8, v9
	v_mul_f32_e32 v10, v7, v9
	v_fma_f32 v9, v7, v11, -v12
	s_delay_alu instid0(VALU_DEP_2)
	v_fmac_f32_e32 v10, v8, v11
	global_store_b64 v[5:6], v[9:10], off
	s_and_not1_b32 exec_lo, exec_lo, s33
	s_cbranch_execnz .LBB23_3
.LBB23_4:
	s_or_b32 exec_lo, exec_lo, s26
	s_load_b128 s[4:7], s[0:1], 0x68
	s_waitcnt lgkmcnt(0)
	s_ashr_i32 s27, s7, 31
	s_mov_b32 s26, s7
	s_delay_alu instid0(SALU_CYCLE_1) | instskip(SKIP_1) | instid1(SALU_CYCLE_1)
	s_or_b64 s[30:31], s[22:23], s[26:27]
	s_mov_b32 s30, 0
	s_cmp_lg_u64 s[30:31], 0
	s_cbranch_scc0 .LBB23_14
; %bb.5:
	s_add_u32 s34, s26, s27
	s_mov_b32 s28, s27
	s_mov_b32 s29, s27
	s_addc_u32 s35, s27, s27
	s_delay_alu instid0(SALU_CYCLE_1) | instskip(NEXT) | instid1(SALU_CYCLE_1)
	s_xor_b64 s[34:35], s[34:35], s[28:29]
	v_cvt_f32_u32_e32 v1, s34
	v_cvt_f32_u32_e32 v2, s35
	s_sub_u32 s21, 0, s34
	s_subb_u32 s31, 0, s35
	s_delay_alu instid0(VALU_DEP_1) | instskip(NEXT) | instid1(VALU_DEP_1)
	v_fmamk_f32 v1, v2, 0x4f800000, v1
	v_rcp_f32_e32 v1, v1
	s_waitcnt_depctr 0xfff
	v_mul_f32_e32 v1, 0x5f7ffffc, v1
	s_delay_alu instid0(VALU_DEP_1) | instskip(NEXT) | instid1(VALU_DEP_1)
	v_mul_f32_e32 v2, 0x2f800000, v1
	v_trunc_f32_e32 v2, v2
	s_delay_alu instid0(VALU_DEP_1) | instskip(SKIP_1) | instid1(VALU_DEP_2)
	v_fmamk_f32 v1, v2, 0xcf800000, v1
	v_cvt_u32_f32_e32 v2, v2
	v_cvt_u32_f32_e32 v1, v1
	s_delay_alu instid0(VALU_DEP_2) | instskip(NEXT) | instid1(VALU_DEP_2)
	v_readfirstlane_b32 s7, v2
	v_readfirstlane_b32 s17, v1
	s_delay_alu instid0(VALU_DEP_2) | instskip(NEXT) | instid1(VALU_DEP_1)
	s_mul_i32 s33, s21, s7
	s_mul_hi_u32 s37, s21, s17
	s_mul_i32 s36, s31, s17
	s_add_i32 s33, s37, s33
	s_mul_i32 s38, s21, s17
	s_add_i32 s33, s33, s36
	s_mul_hi_u32 s37, s17, s38
	s_mul_hi_u32 s39, s7, s38
	s_mul_i32 s36, s7, s38
	s_mul_hi_u32 s38, s17, s33
	s_mul_i32 s17, s17, s33
	s_mul_hi_u32 s40, s7, s33
	s_add_u32 s17, s37, s17
	s_addc_u32 s37, 0, s38
	s_add_u32 s17, s17, s36
	s_mul_i32 s33, s7, s33
	s_addc_u32 s17, s37, s39
	s_addc_u32 s36, s40, 0
	s_add_u32 s17, s17, s33
	s_addc_u32 s33, 0, s36
	v_add_co_u32 v1, s17, v1, s17
	s_delay_alu instid0(VALU_DEP_1) | instskip(SKIP_1) | instid1(VALU_DEP_1)
	s_cmp_lg_u32 s17, 0
	s_addc_u32 s7, s7, s33
	v_readfirstlane_b32 s17, v1
	s_mul_i32 s33, s21, s7
	s_delay_alu instid0(VALU_DEP_1)
	s_mul_hi_u32 s36, s21, s17
	s_mul_i32 s31, s31, s17
	s_add_i32 s33, s36, s33
	s_mul_i32 s21, s21, s17
	s_add_i32 s33, s33, s31
	s_mul_hi_u32 s36, s7, s21
	s_mul_i32 s37, s7, s21
	s_mul_hi_u32 s21, s17, s21
	s_mul_hi_u32 s38, s17, s33
	s_mul_i32 s17, s17, s33
	s_mul_hi_u32 s31, s7, s33
	s_add_u32 s17, s21, s17
	s_addc_u32 s21, 0, s38
	s_add_u32 s17, s17, s37
	s_mul_i32 s33, s7, s33
	s_addc_u32 s17, s21, s36
	s_addc_u32 s21, s31, 0
	s_add_u32 s17, s17, s33
	s_addc_u32 s21, 0, s21
	v_add_co_u32 v1, s17, v1, s17
	s_delay_alu instid0(VALU_DEP_1) | instskip(SKIP_2) | instid1(VALU_DEP_1)
	s_cmp_lg_u32 s17, 0
	s_addc_u32 s7, s7, s21
	s_ashr_i32 s36, s23, 31
	v_readfirstlane_b32 s17, v1
	s_add_u32 s38, s22, s36
	s_mov_b32 s37, s36
	s_addc_u32 s39, s23, s36
	s_delay_alu instid0(SALU_CYCLE_1) | instskip(NEXT) | instid1(SALU_CYCLE_1)
	s_xor_b64 s[38:39], s[38:39], s[36:37]
	s_mul_i32 s31, s38, s7
	s_mul_hi_u32 s33, s38, s17
	s_mul_hi_u32 s21, s38, s7
	;; [unrolled: 1-line block ×3, first 2 shown]
	s_mul_i32 s17, s39, s17
	s_add_u32 s31, s33, s31
	s_addc_u32 s21, 0, s21
	s_mul_hi_u32 s40, s39, s7
	s_add_u32 s17, s31, s17
	s_mul_i32 s7, s39, s7
	s_addc_u32 s17, s21, s41
	s_addc_u32 s21, s40, 0
	s_add_u32 s7, s17, s7
	s_addc_u32 s17, 0, s21
	s_mul_hi_u32 s21, s34, s7
	s_mul_i32 s33, s34, s17
	s_mul_i32 s40, s34, s7
	s_add_i32 s21, s21, s33
	v_sub_co_u32 v1, s33, s38, s40
	s_mul_i32 s31, s35, s7
	s_delay_alu instid0(SALU_CYCLE_1) | instskip(NEXT) | instid1(VALU_DEP_1)
	s_add_i32 s21, s21, s31
	v_sub_co_u32 v2, s38, v1, s34
	s_sub_i32 s31, s39, s21
	s_cmp_lg_u32 s33, 0
	s_subb_u32 s31, s31, s35
	s_cmp_lg_u32 s38, 0
	v_readfirstlane_b32 s38, v2
	s_subb_u32 s31, s31, 0
	s_delay_alu instid0(SALU_CYCLE_1) | instskip(SKIP_1) | instid1(VALU_DEP_1)
	s_cmp_ge_u32 s31, s35
	s_cselect_b32 s40, -1, 0
	s_cmp_ge_u32 s38, s34
	s_cselect_b32 s38, -1, 0
	s_cmp_eq_u32 s31, s35
	s_cselect_b32 s31, s38, s40
	s_add_u32 s38, s7, 1
	s_addc_u32 s40, s17, 0
	s_add_u32 s41, s7, 2
	s_addc_u32 s42, s17, 0
	s_cmp_lg_u32 s31, 0
	s_cselect_b32 s31, s41, s38
	s_cselect_b32 s38, s42, s40
	s_cmp_lg_u32 s33, 0
	v_readfirstlane_b32 s33, v1
	s_subb_u32 s21, s39, s21
	s_delay_alu instid0(SALU_CYCLE_1) | instskip(SKIP_1) | instid1(VALU_DEP_1)
	s_cmp_ge_u32 s21, s35
	s_cselect_b32 s39, -1, 0
	s_cmp_ge_u32 s33, s34
	s_cselect_b32 s33, -1, 0
	s_cmp_eq_u32 s21, s35
	s_cselect_b32 s21, s33, s39
	s_delay_alu instid0(SALU_CYCLE_1) | instskip(SKIP_3) | instid1(SALU_CYCLE_1)
	s_cmp_lg_u32 s21, 0
	s_cselect_b32 s35, s38, s17
	s_cselect_b32 s34, s31, s7
	s_xor_b64 s[28:29], s[36:37], s[28:29]
	s_xor_b64 s[34:35], s[34:35], s[28:29]
	s_delay_alu instid0(SALU_CYCLE_1)
	s_sub_u32 s28, s34, s28
	s_subb_u32 s29, s35, s29
	s_and_not1_b32 vcc_lo, exec_lo, s30
	s_cbranch_vccnz .LBB23_7
.LBB23_6:
	v_cvt_f32_u32_e32 v1, s26
	s_sub_i32 s17, 0, s26
	s_mov_b32 s29, 0
	s_delay_alu instid0(VALU_DEP_1) | instskip(SKIP_2) | instid1(VALU_DEP_1)
	v_rcp_iflag_f32_e32 v1, v1
	s_waitcnt_depctr 0xfff
	v_mul_f32_e32 v1, 0x4f7ffffe, v1
	v_cvt_u32_f32_e32 v1, v1
	s_delay_alu instid0(VALU_DEP_1) | instskip(NEXT) | instid1(VALU_DEP_1)
	v_readfirstlane_b32 s7, v1
	s_mul_i32 s17, s17, s7
	s_delay_alu instid0(SALU_CYCLE_1) | instskip(NEXT) | instid1(SALU_CYCLE_1)
	s_mul_hi_u32 s17, s7, s17
	s_add_i32 s7, s7, s17
	s_delay_alu instid0(SALU_CYCLE_1) | instskip(NEXT) | instid1(SALU_CYCLE_1)
	s_mul_hi_u32 s7, s22, s7
	s_mul_i32 s17, s7, s26
	s_add_i32 s21, s7, 1
	s_sub_i32 s17, s22, s17
	s_delay_alu instid0(SALU_CYCLE_1)
	s_sub_i32 s28, s17, s26
	s_cmp_ge_u32 s17, s26
	s_cselect_b32 s7, s21, s7
	s_cselect_b32 s17, s28, s17
	s_add_i32 s21, s7, 1
	s_cmp_ge_u32 s17, s26
	s_cselect_b32 s28, s21, s7
.LBB23_7:
	s_delay_alu instid0(SALU_CYCLE_1)
	s_mul_i32 s7, s28, s27
	s_mul_hi_u32 s17, s28, s26
	s_mul_i32 s21, s28, s26
	s_add_i32 s7, s17, s7
	s_mul_i32 s17, s29, s26
	s_mul_hi_u32 s31, s28, s4
	s_add_i32 s7, s7, s17
	s_sub_u32 s17, s22, s21
	s_subb_u32 s30, s23, s7
	s_mul_i32 s33, s29, s4
	s_mul_i32 s26, s28, s4
	s_mul_hi_u32 s29, s17, s5
	s_mul_i32 s30, s30, s5
	s_mul_i32 s22, s17, s5
	s_mov_b32 s34, exec_lo
	v_cmpx_gt_i32_e64 s20, v0
	s_cbranch_execz .LBB23_10
; %bb.8:
	s_load_b32 s23, s[0:1], 0x8c
	s_lshl_b64 s[36:37], s[24:25], 1
	s_ashr_i32 s21, s20, 31
	s_ashr_i32 s27, s4, 31
	;; [unrolled: 1-line block ×4, first 2 shown]
	s_mul_i32 s9, s9, s16
	s_mul_hi_u32 s25, s8, s16
	s_mul_i32 s38, s8, s16
	v_dual_mov_b32 v7, v0 :: v_dual_lshlrev_b32 v4, 3, v0
	s_mul_i32 s27, s28, s27
	s_mul_i32 s35, s17, s35
	v_lshlrev_b32_e32 v5, 2, v0
	s_waitcnt lgkmcnt(0)
	s_and_b32 s24, s23, 0xffff
	s_add_u32 s2, s2, s36
	s_addc_u32 s23, s3, s37
	s_add_i32 s39, s25, s9
	v_add_co_u32 v1, s2, s2, v3
	s_lshl_b64 s[36:37], s[38:39], 2
	s_lshl_b32 s3, s24, 1
	s_lshl_b64 s[8:9], s[20:21], 1
	v_add_co_ci_u32_e64 v2, null, s23, 0, s2
	s_add_u32 s2, s12, s36
	s_addc_u32 s12, s13, s37
	v_add_co_u32 v3, s2, s2, v4
	s_add_i32 s13, s31, s27
	v_add_co_ci_u32_e64 v4, null, s12, 0, s2
	s_add_i32 s2, s29, s35
	s_add_i32 s27, s13, s33
	;; [unrolled: 1-line block ×3, first 2 shown]
	s_lshl_b64 s[36:37], s[26:27], 1
	s_lshl_b64 s[38:39], s[22:23], 1
	s_lshl_b32 s12, s24, 3
	s_add_u32 s2, s36, s38
	s_addc_u32 s13, s37, s39
	s_lshl_b64 s[36:37], s[6:7], 1
	v_add_co_u32 v3, vcc_lo, v3, 4
	s_add_u32 s7, s18, s36
	s_addc_u32 s21, s19, s37
	s_add_u32 s2, s7, s2
	s_addc_u32 s7, s21, s13
	v_add_co_u32 v5, s2, s2, v5
	v_add_co_ci_u32_e32 v4, vcc_lo, 0, v4, vcc_lo
	v_add_co_ci_u32_e64 v6, null, s7, 0, s2
	s_mov_b32 s7, 0
	s_lshl_b32 s13, s24, 2
	s_set_inst_prefetch_distance 0x1
	.p2align	6
.LBB23_9:                               ; =>This Inner Loop Header: Depth=1
	v_add_co_u32 v8, vcc_lo, v1, s8
	v_add_co_ci_u32_e32 v9, vcc_lo, s9, v2, vcc_lo
	s_clause 0x1
	global_load_u16 v10, v[1:2], off
	global_load_u16 v11, v[8:9], off
	global_load_b64 v[8:9], v[3:4], off offset:-4
	v_add_co_u32 v1, vcc_lo, v1, s3
	v_add_co_ci_u32_e32 v2, vcc_lo, 0, v2, vcc_lo
	s_waitcnt vmcnt(1)
	v_lshlrev_b32_e32 v11, 16, v11
	v_lshlrev_b32_e32 v12, 16, v10
	s_waitcnt vmcnt(0)
	s_delay_alu instid0(VALU_DEP_1) | instskip(NEXT) | instid1(VALU_DEP_3)
	v_dual_mul_f32 v10, v9, v12 :: v_dual_add_nc_u32 v7, s24, v7
	v_mul_f32_e32 v9, v9, v11
	s_delay_alu instid0(VALU_DEP_2) | instskip(NEXT) | instid1(VALU_DEP_3)
	v_cmp_le_i32_e32 vcc_lo, s20, v7
	v_fmac_f32_e32 v10, v8, v11
	s_delay_alu instid0(VALU_DEP_3) | instskip(SKIP_1) | instid1(VALU_DEP_1)
	v_fma_f32 v9, v8, v12, -v9
	s_or_b32 s7, vcc_lo, s7
	v_perm_b32 v8, v10, v9, 0x5040100
	global_store_b64 v[3:4], v[9:10], off offset:-4
	v_add_co_u32 v3, s2, v3, s12
	s_delay_alu instid0(VALU_DEP_1) | instskip(SKIP_2) | instid1(VALU_DEP_1)
	v_add_co_ci_u32_e64 v4, s2, 0, v4, s2
	global_store_b32 v[5:6], v8, off
	v_add_co_u32 v5, s2, v5, s13
	v_add_co_ci_u32_e64 v6, s2, 0, v6, s2
	s_and_not1_b32 exec_lo, exec_lo, s7
	s_cbranch_execnz .LBB23_9
.LBB23_10:
	s_set_inst_prefetch_distance 0x2
	s_or_b32 exec_lo, exec_lo, s34
	s_delay_alu instid0(SALU_CYCLE_1)
	s_mov_b32 s2, exec_lo
	v_cmpx_gt_i32_e64 s6, v0
	s_cbranch_execz .LBB23_13
; %bb.11:
	s_mul_i32 s3, s16, s11
	s_mul_hi_u32 s7, s16, s10
	s_mul_i32 s2, s16, s10
	s_add_i32 s3, s7, s3
	s_load_b32 s7, s[0:1], 0x8c
	s_lshl_b64 s[2:3], s[2:3], 2
	s_delay_alu instid0(SALU_CYCLE_1) | instskip(SKIP_2) | instid1(SALU_CYCLE_1)
	s_add_u32 s2, s14, s2
	s_addc_u32 s3, s15, s3
	s_ashr_i32 s4, s4, 31
	s_mul_i32 s4, s28, s4
	s_delay_alu instid0(SALU_CYCLE_1) | instskip(NEXT) | instid1(SALU_CYCLE_1)
	s_add_i32 s0, s31, s4
	s_add_i32 s27, s0, s33
	s_delay_alu instid0(SALU_CYCLE_1) | instskip(NEXT) | instid1(SALU_CYCLE_1)
	s_lshl_b64 s[0:1], s[26:27], 1
	s_add_u32 s0, s18, s0
	s_addc_u32 s8, s19, s1
	s_ashr_i32 s1, s5, 31
	s_delay_alu instid0(SALU_CYCLE_1) | instskip(NEXT) | instid1(SALU_CYCLE_1)
	s_mul_i32 s17, s17, s1
	s_add_i32 s1, s29, s17
	s_delay_alu instid0(SALU_CYCLE_1) | instskip(NEXT) | instid1(SALU_CYCLE_1)
	s_add_i32 s23, s1, s30
	s_lshl_b64 s[4:5], s[22:23], 1
	s_delay_alu instid0(SALU_CYCLE_1)
	s_add_u32 s1, s0, s4
	s_addc_u32 s4, s8, s5
	s_waitcnt lgkmcnt(0)
	s_and_b32 s5, s7, 0xffff
	s_mov_b32 s7, 0
	.p2align	6
.LBB23_12:                              ; =>This Inner Loop Header: Depth=1
	v_ashrrev_i32_e32 v1, 31, v0
	s_delay_alu instid0(VALU_DEP_1) | instskip(NEXT) | instid1(VALU_DEP_1)
	v_lshlrev_b64 v[2:3], 2, v[0:1]
	v_add_co_u32 v2, vcc_lo, s2, v2
	s_delay_alu instid0(VALU_DEP_2) | instskip(SKIP_3) | instid1(VALU_DEP_1)
	v_add_co_ci_u32_e32 v3, vcc_lo, s3, v3, vcc_lo
	global_load_u16 v3, v[2:3], off
	v_lshlrev_b64 v[1:2], 1, v[0:1]
	v_add_nc_u32_e32 v0, s5, v0
	v_cmp_le_i32_e32 vcc_lo, s6, v0
	s_delay_alu instid0(VALU_DEP_3) | instskip(NEXT) | instid1(VALU_DEP_1)
	v_add_co_u32 v1, s0, s1, v1
	v_add_co_ci_u32_e64 v2, s0, s4, v2, s0
	s_or_b32 s7, vcc_lo, s7
	s_waitcnt vmcnt(0)
	global_store_b16 v[1:2], v3, off
	s_and_not1_b32 exec_lo, exec_lo, s7
	s_cbranch_execnz .LBB23_12
.LBB23_13:
	s_nop 0
	s_sendmsg sendmsg(MSG_DEALLOC_VGPRS)
	s_endpgm
.LBB23_14:
                                        ; implicit-def: $sgpr28_sgpr29
	s_branch .LBB23_6
	.section	.rodata,"a",@progbits
	.p2align	6, 0x0
	.amdhsa_kernel _ZN4vllm38concat_and_cache_mla_rope_fused_kernelIfN3c108BFloat16ELb0EttLNS_18Fp8KVCacheDataTypeE0EEEvPKlPT_S7_PKS6_PKT0_illlliPT3_S5_iiiiPKf
		.amdhsa_group_segment_fixed_size 0
		.amdhsa_private_segment_fixed_size 0
		.amdhsa_kernarg_size 384
		.amdhsa_user_sgpr_count 15
		.amdhsa_user_sgpr_dispatch_ptr 0
		.amdhsa_user_sgpr_queue_ptr 0
		.amdhsa_user_sgpr_kernarg_segment_ptr 1
		.amdhsa_user_sgpr_dispatch_id 0
		.amdhsa_user_sgpr_private_segment_size 0
		.amdhsa_wavefront_size32 1
		.amdhsa_uses_dynamic_stack 0
		.amdhsa_enable_private_segment 0
		.amdhsa_system_sgpr_workgroup_id_x 1
		.amdhsa_system_sgpr_workgroup_id_y 0
		.amdhsa_system_sgpr_workgroup_id_z 0
		.amdhsa_system_sgpr_workgroup_info 0
		.amdhsa_system_vgpr_workitem_id 0
		.amdhsa_next_free_vgpr 14
		.amdhsa_next_free_sgpr 43
		.amdhsa_reserve_vcc 1
		.amdhsa_float_round_mode_32 0
		.amdhsa_float_round_mode_16_64 0
		.amdhsa_float_denorm_mode_32 3
		.amdhsa_float_denorm_mode_16_64 3
		.amdhsa_dx10_clamp 1
		.amdhsa_ieee_mode 1
		.amdhsa_fp16_overflow 0
		.amdhsa_workgroup_processor_mode 1
		.amdhsa_memory_ordered 1
		.amdhsa_forward_progress 0
		.amdhsa_shared_vgpr_count 0
		.amdhsa_exception_fp_ieee_invalid_op 0
		.amdhsa_exception_fp_denorm_src 0
		.amdhsa_exception_fp_ieee_div_zero 0
		.amdhsa_exception_fp_ieee_overflow 0
		.amdhsa_exception_fp_ieee_underflow 0
		.amdhsa_exception_fp_ieee_inexact 0
		.amdhsa_exception_int_div_zero 0
	.end_amdhsa_kernel
	.section	.text._ZN4vllm38concat_and_cache_mla_rope_fused_kernelIfN3c108BFloat16ELb0EttLNS_18Fp8KVCacheDataTypeE0EEEvPKlPT_S7_PKS6_PKT0_illlliPT3_S5_iiiiPKf,"axG",@progbits,_ZN4vllm38concat_and_cache_mla_rope_fused_kernelIfN3c108BFloat16ELb0EttLNS_18Fp8KVCacheDataTypeE0EEEvPKlPT_S7_PKS6_PKT0_illlliPT3_S5_iiiiPKf,comdat
.Lfunc_end23:
	.size	_ZN4vllm38concat_and_cache_mla_rope_fused_kernelIfN3c108BFloat16ELb0EttLNS_18Fp8KVCacheDataTypeE0EEEvPKlPT_S7_PKS6_PKT0_illlliPT3_S5_iiiiPKf, .Lfunc_end23-_ZN4vllm38concat_and_cache_mla_rope_fused_kernelIfN3c108BFloat16ELb0EttLNS_18Fp8KVCacheDataTypeE0EEEvPKlPT_S7_PKS6_PKT0_illlliPT3_S5_iiiiPKf
                                        ; -- End function
	.section	.AMDGPU.csdata,"",@progbits
; Kernel info:
; codeLenInByte = 2292
; NumSgprs: 45
; NumVgprs: 14
; ScratchSize: 0
; MemoryBound: 0
; FloatMode: 240
; IeeeMode: 1
; LDSByteSize: 0 bytes/workgroup (compile time only)
; SGPRBlocks: 5
; VGPRBlocks: 1
; NumSGPRsForWavesPerEU: 45
; NumVGPRsForWavesPerEU: 14
; Occupancy: 16
; WaveLimiterHint : 1
; COMPUTE_PGM_RSRC2:SCRATCH_EN: 0
; COMPUTE_PGM_RSRC2:USER_SGPR: 15
; COMPUTE_PGM_RSRC2:TRAP_HANDLER: 0
; COMPUTE_PGM_RSRC2:TGID_X_EN: 1
; COMPUTE_PGM_RSRC2:TGID_Y_EN: 0
; COMPUTE_PGM_RSRC2:TGID_Z_EN: 0
; COMPUTE_PGM_RSRC2:TIDIG_COMP_CNT: 0
	.section	.text._ZN4vllm38concat_and_cache_mla_rope_fused_kernelIN3c104HalfEfLb1EttLNS_18Fp8KVCacheDataTypeE0EEEvPKlPT_S7_PKS6_PKT0_illlliPT3_S5_iiiiPKf,"axG",@progbits,_ZN4vllm38concat_and_cache_mla_rope_fused_kernelIN3c104HalfEfLb1EttLNS_18Fp8KVCacheDataTypeE0EEEvPKlPT_S7_PKS6_PKT0_illlliPT3_S5_iiiiPKf,comdat
	.protected	_ZN4vllm38concat_and_cache_mla_rope_fused_kernelIN3c104HalfEfLb1EttLNS_18Fp8KVCacheDataTypeE0EEEvPKlPT_S7_PKS6_PKT0_illlliPT3_S5_iiiiPKf ; -- Begin function _ZN4vllm38concat_and_cache_mla_rope_fused_kernelIN3c104HalfEfLb1EttLNS_18Fp8KVCacheDataTypeE0EEEvPKlPT_S7_PKS6_PKT0_illlliPT3_S5_iiiiPKf
	.globl	_ZN4vllm38concat_and_cache_mla_rope_fused_kernelIN3c104HalfEfLb1EttLNS_18Fp8KVCacheDataTypeE0EEEvPKlPT_S7_PKS6_PKT0_illlliPT3_S5_iiiiPKf
	.p2align	8
	.type	_ZN4vllm38concat_and_cache_mla_rope_fused_kernelIN3c104HalfEfLb1EttLNS_18Fp8KVCacheDataTypeE0EEEvPKlPT_S7_PKS6_PKT0_illlliPT3_S5_iiiiPKf,@function
_ZN4vllm38concat_and_cache_mla_rope_fused_kernelIN3c104HalfEfLb1EttLNS_18Fp8KVCacheDataTypeE0EEEvPKlPT_S7_PKS6_PKT0_illlliPT3_S5_iiiiPKf: ; @_ZN4vllm38concat_and_cache_mla_rope_fused_kernelIN3c104HalfEfLb1EttLNS_18Fp8KVCacheDataTypeE0EEEvPKlPT_S7_PKS6_PKT0_illlliPT3_S5_iiiiPKf
; %bb.0:
	s_load_b64 s[6:7], s[0:1], 0x60
	s_mov_b32 s2, s15
	s_mov_b32 s3, 0
	s_delay_alu instid0(SALU_CYCLE_1)
	s_lshl_b64 s[4:5], s[2:3], 3
	s_waitcnt lgkmcnt(0)
	s_add_u32 s6, s6, s4
	s_addc_u32 s7, s7, s5
	s_load_b64 s[24:25], s[6:7], 0x0
	s_waitcnt lgkmcnt(0)
	v_cmp_lt_i64_e64 s3, s[24:25], 0
	s_delay_alu instid0(VALU_DEP_1)
	s_and_b32 vcc_lo, exec_lo, s3
	s_cbranch_vccnz .LBB24_13
; %bb.1:
	s_clause 0x3
	s_load_b32 s19, s[0:1], 0x28
	s_load_b64 s[6:7], s[0:1], 0x0
	s_load_b128 s[12:15], s[0:1], 0x10
	s_load_b32 s3, s[0:1], 0x50
	s_mov_b32 s28, exec_lo
	s_waitcnt lgkmcnt(0)
	s_ashr_i32 s26, s19, 31
	s_add_u32 s4, s6, s4
	s_addc_u32 s5, s7, s5
	s_lshr_b32 s18, s19, 31
	s_load_b64 s[22:23], s[4:5], 0x0
	s_clause 0x2
	s_load_b64 s[20:21], s[0:1], 0x20
	s_load_b64 s[16:17], s[0:1], 0x58
	s_load_b256 s[4:11], s[0:1], 0x30
	s_add_i32 s18, s19, s18
	s_delay_alu instid0(SALU_CYCLE_1) | instskip(NEXT) | instid1(SALU_CYCLE_1)
	s_ashr_i32 s18, s18, 1
	s_mul_i32 s3, s18, s3
	s_waitcnt lgkmcnt(0)
	s_mul_i32 s26, s22, s26
	s_mul_hi_u32 s27, s22, s19
	s_mul_i32 s23, s23, s19
	s_add_i32 s26, s27, s26
	s_mul_i32 s22, s22, s19
	s_add_i32 s23, s26, s23
	v_cmpx_gt_i32_e64 s3, v0
	s_cbranch_execz .LBB24_4
; %bb.2:
	s_clause 0x1
	s_load_b64 s[26:27], s[0:1], 0x8
	s_load_b32 s36, s[0:1], 0x8c
	s_lshl_b64 s[30:31], s[22:23], 2
	s_mul_i32 s5, s2, s5
	s_mul_hi_u32 s19, s2, s4
	s_add_u32 s29, s20, s30
	s_mul_i32 s4, s2, s4
	s_addc_u32 s30, s21, s31
	s_add_i32 s5, s19, s5
	s_ashr_i32 s19, s18, 31
	s_lshl_b64 s[4:5], s[4:5], 1
	s_mov_b32 s35, 0
	s_waitcnt lgkmcnt(0)
	s_add_u32 s31, s26, s4
	s_addc_u32 s33, s27, s5
	s_abs_i32 s34, s18
	s_and_b32 s36, s36, 0xffff
	v_cvt_f32_u32_e32 v1, s34
	s_sub_i32 s4, 0, s34
	s_sub_i32 s37, 0, s18
	s_lshl_b64 s[26:27], s[18:19], 1
	s_delay_alu instid0(VALU_DEP_1) | instskip(SKIP_2) | instid1(VALU_DEP_1)
	v_rcp_iflag_f32_e32 v1, v1
	s_waitcnt_depctr 0xfff
	v_mul_f32_e32 v1, 0x4f7ffffe, v1
	v_cvt_u32_f32_e32 v1, v1
	s_delay_alu instid0(VALU_DEP_1) | instskip(SKIP_1) | instid1(VALU_DEP_1)
	v_mul_lo_u32 v2, s4, v1
	s_lshl_b64 s[4:5], s[18:19], 2
	v_mul_hi_u32 v2, v1, v2
	s_delay_alu instid0(VALU_DEP_1)
	v_dual_mov_b32 v1, v0 :: v_dual_add_nc_u32 v2, v1, v2
.LBB24_3:                               ; =>This Inner Loop Header: Depth=1
	s_delay_alu instid0(VALU_DEP_1) | instskip(SKIP_1) | instid1(VALU_DEP_2)
	v_sub_nc_u32_e32 v3, 0, v1
	v_ashrrev_i32_e32 v4, 31, v1
	v_max_i32_e32 v3, v1, v3
	s_delay_alu instid0(VALU_DEP_2) | instskip(NEXT) | instid1(VALU_DEP_2)
	v_xor_b32_e32 v4, s19, v4
	v_mul_hi_u32 v5, v3, v2
	s_delay_alu instid0(VALU_DEP_1) | instskip(SKIP_1) | instid1(VALU_DEP_2)
	v_mul_lo_u32 v6, v5, s34
	v_add_nc_u32_e32 v7, 1, v5
	v_sub_nc_u32_e32 v3, v3, v6
	s_delay_alu instid0(VALU_DEP_1) | instskip(SKIP_1) | instid1(VALU_DEP_4)
	v_subrev_nc_u32_e32 v6, s34, v3
	v_cmp_le_u32_e32 vcc_lo, s34, v3
	v_cndmask_b32_e32 v5, v5, v7, vcc_lo
	s_delay_alu instid0(VALU_DEP_1) | instskip(NEXT) | instid1(VALU_DEP_1)
	v_dual_cndmask_b32 v3, v3, v6 :: v_dual_add_nc_u32 v6, 1, v5
	v_cmp_le_u32_e32 vcc_lo, s34, v3
	s_delay_alu instid0(VALU_DEP_2) | instskip(NEXT) | instid1(VALU_DEP_1)
	v_cndmask_b32_e32 v3, v5, v6, vcc_lo
	v_xor_b32_e32 v3, v3, v4
	s_delay_alu instid0(VALU_DEP_1) | instskip(NEXT) | instid1(VALU_DEP_1)
	v_sub_nc_u32_e32 v7, v3, v4
	v_ashrrev_i32_e32 v8, 31, v7
	v_mad_u64_u32 v[3:4], null, s37, v7, v[1:2]
	v_mul_lo_u32 v9, v7, s7
	v_mad_u64_u32 v[5:6], null, v7, s6, 0
	s_delay_alu instid0(VALU_DEP_4) | instskip(SKIP_2) | instid1(VALU_DEP_3)
	v_mul_lo_u32 v7, v8, s6
	v_add_nc_u32_e32 v1, s36, v1
	v_ashrrev_i32_e32 v4, 31, v3
	v_add3_u32 v6, v6, v9, v7
	s_delay_alu instid0(VALU_DEP_2) | instskip(SKIP_1) | instid1(VALU_DEP_3)
	v_lshlrev_b64 v[7:8], 2, v[3:4]
	v_lshlrev_b64 v[3:4], 1, v[3:4]
	;; [unrolled: 1-line block ×3, first 2 shown]
	s_delay_alu instid0(VALU_DEP_3) | instskip(NEXT) | instid1(VALU_DEP_4)
	v_add_co_u32 v7, vcc_lo, s29, v7
	v_add_co_ci_u32_e32 v8, vcc_lo, s30, v8, vcc_lo
	s_delay_alu instid0(VALU_DEP_3) | instskip(NEXT) | instid1(VALU_DEP_4)
	v_add_co_u32 v10, vcc_lo, s31, v5
	v_add_co_ci_u32_e32 v11, vcc_lo, s33, v6, vcc_lo
	s_delay_alu instid0(VALU_DEP_4) | instskip(NEXT) | instid1(VALU_DEP_4)
	v_add_co_u32 v5, vcc_lo, v7, s4
	v_add_co_ci_u32_e32 v6, vcc_lo, s5, v8, vcc_lo
	s_delay_alu instid0(VALU_DEP_4) | instskip(NEXT) | instid1(VALU_DEP_4)
	v_add_co_u32 v3, vcc_lo, v10, v3
	v_add_co_ci_u32_e32 v4, vcc_lo, v11, v4, vcc_lo
	s_clause 0x1
	global_load_b32 v9, v[7:8], off
	global_load_b32 v7, v[5:6], off
	v_add_co_u32 v5, vcc_lo, v3, s26
	v_add_co_ci_u32_e32 v6, vcc_lo, s27, v4, vcc_lo
	s_clause 0x1
	global_load_u16 v8, v[3:4], off
	global_load_u16 v10, v[5:6], off
	v_cmp_le_i32_e32 vcc_lo, s3, v1
	s_or_b32 s35, vcc_lo, s35
	s_waitcnt vmcnt(3)
	v_cvt_f16_f32_e32 v9, v9
	s_waitcnt vmcnt(2)
	v_cvt_f16_f32_e32 v7, v7
	s_waitcnt vmcnt(0)
	s_delay_alu instid0(VALU_DEP_1) | instskip(SKIP_1) | instid1(VALU_DEP_2)
	v_mul_f16_e32 v11, v10, v7
	v_mul_f16_e32 v10, v10, v9
	v_fma_f16 v9, v8, v9, -v11
	s_delay_alu instid0(VALU_DEP_2)
	v_fmac_f16_e32 v10, v8, v7
	s_clause 0x1
	global_store_b16 v[3:4], v9, off
	global_store_b16 v[5:6], v10, off
	s_and_not1_b32 exec_lo, exec_lo, s35
	s_cbranch_execnz .LBB24_3
.LBB24_4:
	s_or_b32 exec_lo, exec_lo, s28
	s_load_b128 s[4:7], s[0:1], 0x68
	s_waitcnt lgkmcnt(0)
	s_ashr_i32 s29, s7, 31
	s_mov_b32 s28, s7
	s_delay_alu instid0(SALU_CYCLE_1) | instskip(SKIP_1) | instid1(SALU_CYCLE_1)
	s_or_b64 s[30:31], s[24:25], s[28:29]
	s_mov_b32 s30, 0
	s_cmp_lg_u64 s[30:31], 0
	s_cbranch_scc0 .LBB24_14
; %bb.5:
	s_add_u32 s34, s28, s29
	s_mov_b32 s26, s29
	s_mov_b32 s27, s29
	s_addc_u32 s35, s29, s29
	s_delay_alu instid0(SALU_CYCLE_1) | instskip(NEXT) | instid1(SALU_CYCLE_1)
	s_xor_b64 s[34:35], s[34:35], s[26:27]
	v_cvt_f32_u32_e32 v1, s34
	v_cvt_f32_u32_e32 v2, s35
	s_sub_u32 s19, 0, s34
	s_subb_u32 s31, 0, s35
	s_delay_alu instid0(VALU_DEP_1) | instskip(NEXT) | instid1(VALU_DEP_1)
	v_fmamk_f32 v1, v2, 0x4f800000, v1
	v_rcp_f32_e32 v1, v1
	s_waitcnt_depctr 0xfff
	v_mul_f32_e32 v1, 0x5f7ffffc, v1
	s_delay_alu instid0(VALU_DEP_1) | instskip(NEXT) | instid1(VALU_DEP_1)
	v_mul_f32_e32 v2, 0x2f800000, v1
	v_trunc_f32_e32 v2, v2
	s_delay_alu instid0(VALU_DEP_1) | instskip(SKIP_1) | instid1(VALU_DEP_2)
	v_fmamk_f32 v1, v2, 0xcf800000, v1
	v_cvt_u32_f32_e32 v2, v2
	v_cvt_u32_f32_e32 v1, v1
	s_delay_alu instid0(VALU_DEP_2) | instskip(NEXT) | instid1(VALU_DEP_2)
	v_readfirstlane_b32 s3, v2
	v_readfirstlane_b32 s7, v1
	s_delay_alu instid0(VALU_DEP_2) | instskip(NEXT) | instid1(VALU_DEP_1)
	s_mul_i32 s33, s19, s3
	s_mul_hi_u32 s37, s19, s7
	s_mul_i32 s36, s31, s7
	s_add_i32 s33, s37, s33
	s_mul_i32 s38, s19, s7
	s_add_i32 s33, s33, s36
	s_mul_hi_u32 s37, s7, s38
	s_mul_hi_u32 s39, s3, s38
	s_mul_i32 s36, s3, s38
	s_mul_hi_u32 s38, s7, s33
	s_mul_i32 s7, s7, s33
	s_mul_hi_u32 s40, s3, s33
	s_add_u32 s7, s37, s7
	s_addc_u32 s37, 0, s38
	s_add_u32 s7, s7, s36
	s_mul_i32 s33, s3, s33
	s_addc_u32 s7, s37, s39
	s_addc_u32 s36, s40, 0
	s_add_u32 s7, s7, s33
	s_addc_u32 s33, 0, s36
	v_add_co_u32 v1, s7, v1, s7
	s_delay_alu instid0(VALU_DEP_1) | instskip(SKIP_1) | instid1(VALU_DEP_1)
	s_cmp_lg_u32 s7, 0
	s_addc_u32 s3, s3, s33
	v_readfirstlane_b32 s7, v1
	s_mul_i32 s33, s19, s3
	s_delay_alu instid0(VALU_DEP_1)
	s_mul_hi_u32 s36, s19, s7
	s_mul_i32 s31, s31, s7
	s_add_i32 s33, s36, s33
	s_mul_i32 s19, s19, s7
	s_add_i32 s33, s33, s31
	s_mul_hi_u32 s36, s3, s19
	s_mul_i32 s37, s3, s19
	s_mul_hi_u32 s19, s7, s19
	s_mul_hi_u32 s38, s7, s33
	s_mul_i32 s7, s7, s33
	s_mul_hi_u32 s31, s3, s33
	s_add_u32 s7, s19, s7
	s_addc_u32 s19, 0, s38
	s_add_u32 s7, s7, s37
	s_mul_i32 s33, s3, s33
	s_addc_u32 s7, s19, s36
	s_addc_u32 s19, s31, 0
	s_add_u32 s7, s7, s33
	s_addc_u32 s19, 0, s19
	v_add_co_u32 v1, s7, v1, s7
	s_delay_alu instid0(VALU_DEP_1) | instskip(SKIP_2) | instid1(VALU_DEP_1)
	s_cmp_lg_u32 s7, 0
	s_addc_u32 s3, s3, s19
	s_ashr_i32 s36, s25, 31
	v_readfirstlane_b32 s7, v1
	s_add_u32 s38, s24, s36
	s_mov_b32 s37, s36
	s_addc_u32 s39, s25, s36
	s_delay_alu instid0(SALU_CYCLE_1) | instskip(NEXT) | instid1(SALU_CYCLE_1)
	s_xor_b64 s[38:39], s[38:39], s[36:37]
	s_mul_i32 s31, s38, s3
	s_mul_hi_u32 s33, s38, s7
	s_mul_hi_u32 s19, s38, s3
	;; [unrolled: 1-line block ×3, first 2 shown]
	s_mul_i32 s7, s39, s7
	s_add_u32 s31, s33, s31
	s_addc_u32 s19, 0, s19
	s_mul_hi_u32 s40, s39, s3
	s_add_u32 s7, s31, s7
	s_mul_i32 s3, s39, s3
	s_addc_u32 s7, s19, s41
	s_addc_u32 s19, s40, 0
	s_add_u32 s3, s7, s3
	s_addc_u32 s7, 0, s19
	s_mul_hi_u32 s19, s34, s3
	s_mul_i32 s33, s34, s7
	s_mul_i32 s40, s34, s3
	s_add_i32 s19, s19, s33
	v_sub_co_u32 v1, s33, s38, s40
	s_mul_i32 s31, s35, s3
	s_delay_alu instid0(SALU_CYCLE_1) | instskip(NEXT) | instid1(VALU_DEP_1)
	s_add_i32 s19, s19, s31
	v_sub_co_u32 v2, s38, v1, s34
	s_sub_i32 s31, s39, s19
	s_cmp_lg_u32 s33, 0
	s_subb_u32 s31, s31, s35
	s_cmp_lg_u32 s38, 0
	v_readfirstlane_b32 s38, v2
	s_subb_u32 s31, s31, 0
	s_delay_alu instid0(SALU_CYCLE_1) | instskip(SKIP_1) | instid1(VALU_DEP_1)
	s_cmp_ge_u32 s31, s35
	s_cselect_b32 s40, -1, 0
	s_cmp_ge_u32 s38, s34
	s_cselect_b32 s38, -1, 0
	s_cmp_eq_u32 s31, s35
	s_cselect_b32 s31, s38, s40
	s_add_u32 s38, s3, 1
	s_addc_u32 s40, s7, 0
	s_add_u32 s41, s3, 2
	s_addc_u32 s42, s7, 0
	s_cmp_lg_u32 s31, 0
	s_cselect_b32 s31, s41, s38
	s_cselect_b32 s38, s42, s40
	s_cmp_lg_u32 s33, 0
	v_readfirstlane_b32 s33, v1
	s_subb_u32 s19, s39, s19
	s_delay_alu instid0(SALU_CYCLE_1) | instskip(SKIP_1) | instid1(VALU_DEP_1)
	s_cmp_ge_u32 s19, s35
	s_cselect_b32 s39, -1, 0
	s_cmp_ge_u32 s33, s34
	s_cselect_b32 s33, -1, 0
	s_cmp_eq_u32 s19, s35
	s_cselect_b32 s19, s33, s39
	s_delay_alu instid0(SALU_CYCLE_1) | instskip(SKIP_3) | instid1(SALU_CYCLE_1)
	s_cmp_lg_u32 s19, 0
	s_cselect_b32 s35, s38, s7
	s_cselect_b32 s34, s31, s3
	s_xor_b64 s[26:27], s[36:37], s[26:27]
	s_xor_b64 s[34:35], s[34:35], s[26:27]
	s_delay_alu instid0(SALU_CYCLE_1)
	s_sub_u32 s26, s34, s26
	s_subb_u32 s27, s35, s27
	s_and_not1_b32 vcc_lo, exec_lo, s30
	s_cbranch_vccnz .LBB24_7
.LBB24_6:
	v_cvt_f32_u32_e32 v1, s28
	s_sub_i32 s7, 0, s28
	s_mov_b32 s27, 0
	s_delay_alu instid0(VALU_DEP_1) | instskip(SKIP_2) | instid1(VALU_DEP_1)
	v_rcp_iflag_f32_e32 v1, v1
	s_waitcnt_depctr 0xfff
	v_mul_f32_e32 v1, 0x4f7ffffe, v1
	v_cvt_u32_f32_e32 v1, v1
	s_delay_alu instid0(VALU_DEP_1) | instskip(NEXT) | instid1(VALU_DEP_1)
	v_readfirstlane_b32 s3, v1
	s_mul_i32 s7, s7, s3
	s_delay_alu instid0(SALU_CYCLE_1) | instskip(NEXT) | instid1(SALU_CYCLE_1)
	s_mul_hi_u32 s7, s3, s7
	s_add_i32 s3, s3, s7
	s_delay_alu instid0(SALU_CYCLE_1) | instskip(NEXT) | instid1(SALU_CYCLE_1)
	s_mul_hi_u32 s3, s24, s3
	s_mul_i32 s7, s3, s28
	s_add_i32 s19, s3, 1
	s_sub_i32 s7, s24, s7
	s_delay_alu instid0(SALU_CYCLE_1)
	s_sub_i32 s26, s7, s28
	s_cmp_ge_u32 s7, s28
	s_cselect_b32 s3, s19, s3
	s_cselect_b32 s7, s26, s7
	s_add_i32 s19, s3, 1
	s_cmp_ge_u32 s7, s28
	s_cselect_b32 s26, s19, s3
.LBB24_7:
	s_delay_alu instid0(SALU_CYCLE_1)
	s_mul_i32 s3, s26, s29
	s_mul_hi_u32 s7, s26, s28
	s_mul_i32 s19, s26, s28
	s_add_i32 s3, s7, s3
	s_mul_i32 s7, s27, s28
	s_mul_hi_u32 s31, s26, s4
	s_add_i32 s7, s3, s7
	s_sub_u32 s3, s24, s19
	s_subb_u32 s30, s25, s7
	s_mul_i32 s33, s27, s4
	s_mul_i32 s28, s26, s4
	s_mul_hi_u32 s27, s3, s5
	s_mul_i32 s30, s30, s5
	s_mul_i32 s24, s3, s5
	s_mov_b32 s34, exec_lo
	v_cmpx_gt_i32_e64 s18, v0
	s_cbranch_execz .LBB24_10
; %bb.8:
	s_mul_i32 s7, s2, s9
	s_mul_hi_u32 s9, s2, s8
	s_mul_i32 s8, s2, s8
	s_add_i32 s9, s9, s7
	s_ashr_i32 s19, s18, 31
	s_lshl_b64 s[38:39], s[8:9], 1
	s_load_b32 s37, s[0:1], 0x8c
	s_add_u32 s35, s12, s38
	s_addc_u32 s36, s13, s39
	s_ashr_i32 s7, s4, 31
	s_ashr_i32 s8, s5, 31
	s_mul_i32 s7, s26, s7
	s_mul_i32 s8, s3, s8
	s_add_i32 s7, s31, s7
	s_add_i32 s8, s27, s8
	;; [unrolled: 1-line block ×4, first 2 shown]
	s_lshl_b64 s[8:9], s[28:29], 1
	s_lshl_b64 s[40:41], s[24:25], 1
	v_dual_mov_b32 v4, v0 :: v_dual_lshlrev_b32 v1, 2, v0
	s_add_u32 s44, s8, s40
	s_addc_u32 s45, s9, s41
	s_add_u32 s8, s44, s16
	s_addc_u32 s9, s45, s17
	s_ashr_i32 s7, s6, 31
	v_lshlrev_b32_e32 v3, 1, v0
	s_lshl_b64 s[40:41], s[6:7], 1
	s_delay_alu instid0(SALU_CYCLE_1)
	s_add_u32 s7, s8, s40
	s_addc_u32 s25, s9, s41
	s_lshl_b64 s[8:9], s[22:23], 2
	s_waitcnt lgkmcnt(0)
	s_and_b32 s29, s37, 0xffff
	s_add_u32 s8, s20, s8
	s_addc_u32 s9, s21, s9
	v_add_co_u32 v1, s8, s8, v1
	s_lshl_b64 s[42:43], s[18:19], 1
	v_add_co_ci_u32_e64 v2, null, s9, 0, s8
	s_lshl_b32 s20, s29, 2
	s_lshl_b64 s[8:9], s[18:19], 2
	s_add_u32 s19, s38, s42
	s_addc_u32 s21, s39, s43
	s_add_u32 s12, s12, s19
	s_addc_u32 s13, s13, s21
	s_lshl_b32 s19, s29, 1
	s_add_u32 s21, s44, s42
	s_addc_u32 s23, s45, s43
	s_add_u32 s21, s21, s40
	s_addc_u32 s23, s23, s41
	s_add_u32 s21, s16, s21
	s_mov_b32 s22, 0
	s_addc_u32 s23, s17, s23
.LBB24_9:                               ; =>This Inner Loop Header: Depth=1
	v_add_co_u32 v7, s37, s35, v3
	v_add_co_u32 v5, vcc_lo, v1, s8
	v_add_co_ci_u32_e64 v8, null, s36, 0, s37
	v_add_co_u32 v9, s37, s12, v3
	v_add_co_ci_u32_e32 v6, vcc_lo, s9, v2, vcc_lo
	v_add_co_ci_u32_e64 v10, null, s13, 0, s37
	s_clause 0x1
	global_load_b32 v13, v[1:2], off
	global_load_b32 v14, v[5:6], off
	global_load_u16 v15, v[9:10], off
	global_load_u16 v16, v[7:8], off
	v_add_nc_u32_e32 v4, s29, v4
	v_add_co_u32 v1, vcc_lo, v1, s20
	s_add_u32 s12, s12, s19
	v_add_co_u32 v5, s37, s7, v3
	s_addc_u32 s13, s13, 0
	v_add_co_ci_u32_e32 v2, vcc_lo, 0, v2, vcc_lo
	s_add_u32 s35, s35, s19
	v_add_co_ci_u32_e64 v6, null, s25, 0, s37
	v_add_co_u32 v11, s37, s21, v3
	s_addc_u32 s36, s36, 0
	v_cmp_le_i32_e32 vcc_lo, s18, v4
	s_add_u32 s21, s21, s19
	v_add_co_ci_u32_e64 v12, null, s23, 0, s37
	s_addc_u32 s23, s23, 0
	s_add_u32 s7, s7, s19
	s_addc_u32 s25, s25, 0
	s_or_b32 s22, vcc_lo, s22
	s_waitcnt vmcnt(3)
	v_cvt_f16_f32_e32 v13, v13
	s_waitcnt vmcnt(2)
	v_cvt_f16_f32_e32 v14, v14
	s_waitcnt vmcnt(1)
	s_delay_alu instid0(VALU_DEP_2) | instskip(NEXT) | instid1(VALU_DEP_2)
	v_mul_f16_e32 v17, v15, v13
	v_mul_f16_e32 v15, v15, v14
	s_waitcnt vmcnt(0)
	s_delay_alu instid0(VALU_DEP_2) | instskip(NEXT) | instid1(VALU_DEP_2)
	v_fmac_f16_e32 v17, v16, v14
	v_fma_f16 v13, v16, v13, -v15
	global_store_b16 v[7:8], v13, off
	global_store_b16 v[9:10], v17, off
	;; [unrolled: 1-line block ×4, first 2 shown]
	s_and_not1_b32 exec_lo, exec_lo, s22
	s_cbranch_execnz .LBB24_9
.LBB24_10:
	s_or_b32 exec_lo, exec_lo, s34
	s_delay_alu instid0(SALU_CYCLE_1)
	s_mov_b32 s7, exec_lo
	v_cmpx_gt_i32_e64 s6, v0
	s_cbranch_execz .LBB24_13
; %bb.11:
	s_mul_i32 s7, s2, s11
	s_mul_hi_u32 s9, s2, s10
	s_mul_i32 s8, s2, s10
	s_add_i32 s9, s9, s7
	s_delay_alu instid0(SALU_CYCLE_1) | instskip(NEXT) | instid1(SALU_CYCLE_1)
	s_lshl_b64 s[8:9], s[8:9], 1
	s_add_u32 s2, s14, s8
	s_addc_u32 s7, s15, s9
	s_ashr_i32 s4, s4, 31
	s_load_b32 s8, s[0:1], 0x8c
	s_mul_i32 s4, s26, s4
	s_delay_alu instid0(SALU_CYCLE_1) | instskip(NEXT) | instid1(SALU_CYCLE_1)
	s_add_i32 s0, s31, s4
	s_add_i32 s29, s0, s33
	s_delay_alu instid0(SALU_CYCLE_1) | instskip(NEXT) | instid1(SALU_CYCLE_1)
	s_lshl_b64 s[0:1], s[28:29], 1
	s_add_u32 s0, s16, s0
	s_addc_u32 s9, s17, s1
	s_ashr_i32 s1, s5, 31
	s_delay_alu instid0(SALU_CYCLE_1) | instskip(NEXT) | instid1(SALU_CYCLE_1)
	s_mul_i32 s3, s3, s1
	s_add_i32 s1, s27, s3
	s_delay_alu instid0(SALU_CYCLE_1) | instskip(NEXT) | instid1(SALU_CYCLE_1)
	s_add_i32 s25, s1, s30
	s_lshl_b64 s[4:5], s[24:25], 1
	s_delay_alu instid0(SALU_CYCLE_1)
	s_add_u32 s1, s0, s4
	s_addc_u32 s3, s9, s5
	s_waitcnt lgkmcnt(0)
	s_and_b32 s4, s8, 0xffff
	s_mov_b32 s5, 0
	.p2align	6
.LBB24_12:                              ; =>This Inner Loop Header: Depth=1
	v_ashrrev_i32_e32 v1, 31, v0
	s_delay_alu instid0(VALU_DEP_1) | instskip(SKIP_1) | instid1(VALU_DEP_2)
	v_lshlrev_b64 v[1:2], 1, v[0:1]
	v_add_nc_u32_e32 v0, s4, v0
	v_add_co_u32 v3, vcc_lo, s2, v1
	s_delay_alu instid0(VALU_DEP_3) | instskip(NEXT) | instid1(VALU_DEP_3)
	v_add_co_ci_u32_e32 v4, vcc_lo, s7, v2, vcc_lo
	v_cmp_le_i32_e32 vcc_lo, s6, v0
	v_add_co_u32 v1, s0, s1, v1
	global_load_u16 v3, v[3:4], off
	v_add_co_ci_u32_e64 v2, s0, s3, v2, s0
	s_or_b32 s5, vcc_lo, s5
	s_waitcnt vmcnt(0)
	global_store_b16 v[1:2], v3, off
	s_and_not1_b32 exec_lo, exec_lo, s5
	s_cbranch_execnz .LBB24_12
.LBB24_13:
	s_nop 0
	s_sendmsg sendmsg(MSG_DEALLOC_VGPRS)
	s_endpgm
.LBB24_14:
                                        ; implicit-def: $sgpr26_sgpr27
	s_branch .LBB24_6
	.section	.rodata,"a",@progbits
	.p2align	6, 0x0
	.amdhsa_kernel _ZN4vllm38concat_and_cache_mla_rope_fused_kernelIN3c104HalfEfLb1EttLNS_18Fp8KVCacheDataTypeE0EEEvPKlPT_S7_PKS6_PKT0_illlliPT3_S5_iiiiPKf
		.amdhsa_group_segment_fixed_size 0
		.amdhsa_private_segment_fixed_size 0
		.amdhsa_kernarg_size 384
		.amdhsa_user_sgpr_count 15
		.amdhsa_user_sgpr_dispatch_ptr 0
		.amdhsa_user_sgpr_queue_ptr 0
		.amdhsa_user_sgpr_kernarg_segment_ptr 1
		.amdhsa_user_sgpr_dispatch_id 0
		.amdhsa_user_sgpr_private_segment_size 0
		.amdhsa_wavefront_size32 1
		.amdhsa_uses_dynamic_stack 0
		.amdhsa_enable_private_segment 0
		.amdhsa_system_sgpr_workgroup_id_x 1
		.amdhsa_system_sgpr_workgroup_id_y 0
		.amdhsa_system_sgpr_workgroup_id_z 0
		.amdhsa_system_sgpr_workgroup_info 0
		.amdhsa_system_vgpr_workitem_id 0
		.amdhsa_next_free_vgpr 18
		.amdhsa_next_free_sgpr 46
		.amdhsa_reserve_vcc 1
		.amdhsa_float_round_mode_32 0
		.amdhsa_float_round_mode_16_64 0
		.amdhsa_float_denorm_mode_32 3
		.amdhsa_float_denorm_mode_16_64 3
		.amdhsa_dx10_clamp 1
		.amdhsa_ieee_mode 1
		.amdhsa_fp16_overflow 0
		.amdhsa_workgroup_processor_mode 1
		.amdhsa_memory_ordered 1
		.amdhsa_forward_progress 0
		.amdhsa_shared_vgpr_count 0
		.amdhsa_exception_fp_ieee_invalid_op 0
		.amdhsa_exception_fp_denorm_src 0
		.amdhsa_exception_fp_ieee_div_zero 0
		.amdhsa_exception_fp_ieee_overflow 0
		.amdhsa_exception_fp_ieee_underflow 0
		.amdhsa_exception_fp_ieee_inexact 0
		.amdhsa_exception_int_div_zero 0
	.end_amdhsa_kernel
	.section	.text._ZN4vllm38concat_and_cache_mla_rope_fused_kernelIN3c104HalfEfLb1EttLNS_18Fp8KVCacheDataTypeE0EEEvPKlPT_S7_PKS6_PKT0_illlliPT3_S5_iiiiPKf,"axG",@progbits,_ZN4vllm38concat_and_cache_mla_rope_fused_kernelIN3c104HalfEfLb1EttLNS_18Fp8KVCacheDataTypeE0EEEvPKlPT_S7_PKS6_PKT0_illlliPT3_S5_iiiiPKf,comdat
.Lfunc_end24:
	.size	_ZN4vllm38concat_and_cache_mla_rope_fused_kernelIN3c104HalfEfLb1EttLNS_18Fp8KVCacheDataTypeE0EEEvPKlPT_S7_PKS6_PKT0_illlliPT3_S5_iiiiPKf, .Lfunc_end24-_ZN4vllm38concat_and_cache_mla_rope_fused_kernelIN3c104HalfEfLb1EttLNS_18Fp8KVCacheDataTypeE0EEEvPKlPT_S7_PKS6_PKT0_illlliPT3_S5_iiiiPKf
                                        ; -- End function
	.section	.AMDGPU.csdata,"",@progbits
; Kernel info:
; codeLenInByte = 2368
; NumSgprs: 48
; NumVgprs: 18
; ScratchSize: 0
; MemoryBound: 0
; FloatMode: 240
; IeeeMode: 1
; LDSByteSize: 0 bytes/workgroup (compile time only)
; SGPRBlocks: 5
; VGPRBlocks: 2
; NumSGPRsForWavesPerEU: 48
; NumVGPRsForWavesPerEU: 18
; Occupancy: 16
; WaveLimiterHint : 1
; COMPUTE_PGM_RSRC2:SCRATCH_EN: 0
; COMPUTE_PGM_RSRC2:USER_SGPR: 15
; COMPUTE_PGM_RSRC2:TRAP_HANDLER: 0
; COMPUTE_PGM_RSRC2:TGID_X_EN: 1
; COMPUTE_PGM_RSRC2:TGID_Y_EN: 0
; COMPUTE_PGM_RSRC2:TGID_Z_EN: 0
; COMPUTE_PGM_RSRC2:TIDIG_COMP_CNT: 0
	.section	.text._ZN4vllm38concat_and_cache_mla_rope_fused_kernelIN3c104HalfEfLb0EttLNS_18Fp8KVCacheDataTypeE0EEEvPKlPT_S7_PKS6_PKT0_illlliPT3_S5_iiiiPKf,"axG",@progbits,_ZN4vllm38concat_and_cache_mla_rope_fused_kernelIN3c104HalfEfLb0EttLNS_18Fp8KVCacheDataTypeE0EEEvPKlPT_S7_PKS6_PKT0_illlliPT3_S5_iiiiPKf,comdat
	.protected	_ZN4vllm38concat_and_cache_mla_rope_fused_kernelIN3c104HalfEfLb0EttLNS_18Fp8KVCacheDataTypeE0EEEvPKlPT_S7_PKS6_PKT0_illlliPT3_S5_iiiiPKf ; -- Begin function _ZN4vllm38concat_and_cache_mla_rope_fused_kernelIN3c104HalfEfLb0EttLNS_18Fp8KVCacheDataTypeE0EEEvPKlPT_S7_PKS6_PKT0_illlliPT3_S5_iiiiPKf
	.globl	_ZN4vllm38concat_and_cache_mla_rope_fused_kernelIN3c104HalfEfLb0EttLNS_18Fp8KVCacheDataTypeE0EEEvPKlPT_S7_PKS6_PKT0_illlliPT3_S5_iiiiPKf
	.p2align	8
	.type	_ZN4vllm38concat_and_cache_mla_rope_fused_kernelIN3c104HalfEfLb0EttLNS_18Fp8KVCacheDataTypeE0EEEvPKlPT_S7_PKS6_PKT0_illlliPT3_S5_iiiiPKf,@function
_ZN4vllm38concat_and_cache_mla_rope_fused_kernelIN3c104HalfEfLb0EttLNS_18Fp8KVCacheDataTypeE0EEEvPKlPT_S7_PKS6_PKT0_illlliPT3_S5_iiiiPKf: ; @_ZN4vllm38concat_and_cache_mla_rope_fused_kernelIN3c104HalfEfLb0EttLNS_18Fp8KVCacheDataTypeE0EEEvPKlPT_S7_PKS6_PKT0_illlliPT3_S5_iiiiPKf
; %bb.0:
	s_load_b64 s[6:7], s[0:1], 0x60
	s_mov_b32 s2, s15
	s_mov_b32 s3, 0
	s_delay_alu instid0(SALU_CYCLE_1)
	s_lshl_b64 s[4:5], s[2:3], 3
	s_waitcnt lgkmcnt(0)
	s_add_u32 s6, s6, s4
	s_addc_u32 s7, s7, s5
	s_load_b64 s[22:23], s[6:7], 0x0
	s_waitcnt lgkmcnt(0)
	v_cmp_lt_i64_e64 s3, s[22:23], 0
	s_delay_alu instid0(VALU_DEP_1)
	s_and_b32 vcc_lo, exec_lo, s3
	s_cbranch_vccnz .LBB25_13
; %bb.1:
	s_clause 0x3
	s_load_b32 s19, s[0:1], 0x28
	s_load_b64 s[6:7], s[0:1], 0x0
	s_load_b128 s[12:15], s[0:1], 0x10
	s_load_b32 s3, s[0:1], 0x50
	s_waitcnt lgkmcnt(0)
	s_ashr_i32 s26, s19, 31
	s_add_u32 s4, s6, s4
	s_addc_u32 s5, s7, s5
	s_lshr_b32 s18, s19, 31
	s_load_b64 s[24:25], s[4:5], 0x0
	s_clause 0x2
	s_load_b64 s[20:21], s[0:1], 0x20
	s_load_b64 s[16:17], s[0:1], 0x58
	s_load_b256 s[4:11], s[0:1], 0x30
	s_add_i32 s18, s19, s18
	s_delay_alu instid0(SALU_CYCLE_1) | instskip(NEXT) | instid1(SALU_CYCLE_1)
	s_ashr_i32 s18, s18, 1
	s_mul_i32 s3, s18, s3
	s_waitcnt lgkmcnt(0)
	s_mul_i32 s26, s24, s26
	s_mul_hi_u32 s27, s24, s19
	s_mul_i32 s25, s25, s19
	s_add_i32 s26, s27, s26
	s_mul_i32 s24, s24, s19
	s_add_i32 s25, s26, s25
	s_mov_b32 s26, exec_lo
	v_cmpx_gt_i32_e64 s3, v0
	s_cbranch_execz .LBB25_4
; %bb.2:
	s_clause 0x1
	s_load_b64 s[30:31], s[0:1], 0x8
	s_load_b32 s34, s[0:1], 0x8c
	s_lshl_b64 s[28:29], s[24:25], 2
	s_mul_i32 s5, s2, s5
	s_mul_hi_u32 s19, s2, s4
	s_add_u32 s27, s20, s28
	s_mul_i32 s4, s2, s4
	s_addc_u32 s28, s21, s29
	s_add_i32 s5, s19, s5
	s_ashr_i32 s19, s18, 31
	s_lshl_b64 s[4:5], s[4:5], 1
	s_mov_b32 s33, 0
	s_waitcnt lgkmcnt(0)
	s_add_u32 s29, s30, s4
	s_addc_u32 s30, s31, s5
	s_abs_i32 s31, s18
	s_and_b32 s34, s34, 0xffff
	v_cvt_f32_u32_e32 v1, s31
	s_sub_i32 s4, 0, s31
	s_sub_i32 s35, 0, s18
	s_lshl_b32 s37, s34, 1
	s_delay_alu instid0(VALU_DEP_1) | instskip(SKIP_2) | instid1(VALU_DEP_1)
	v_rcp_iflag_f32_e32 v1, v1
	s_waitcnt_depctr 0xfff
	v_mul_f32_e32 v1, 0x4f7ffffe, v1
	v_cvt_u32_f32_e32 v2, v1
	s_delay_alu instid0(VALU_DEP_1) | instskip(SKIP_1) | instid1(SALU_CYCLE_1)
	v_mul_lo_u32 v1, s4, v2
	s_lshl_b32 s4, s18, 1
	s_sub_i32 s36, 0, s4
	s_lshl_b64 s[4:5], s[18:19], 2
	s_delay_alu instid0(VALU_DEP_1) | instskip(SKIP_1) | instid1(VALU_DEP_2)
	v_mul_hi_u32 v3, v2, v1
	v_lshlrev_b32_e32 v1, 1, v0
	v_dual_mov_b32 v2, v0 :: v_dual_add_nc_u32 v3, v2, v3
.LBB25_3:                               ; =>This Inner Loop Header: Depth=1
	s_delay_alu instid0(VALU_DEP_1) | instskip(SKIP_1) | instid1(VALU_DEP_2)
	v_sub_nc_u32_e32 v4, 0, v2
	v_ashrrev_i32_e32 v5, 31, v2
	v_max_i32_e32 v4, v2, v4
	s_delay_alu instid0(VALU_DEP_2) | instskip(NEXT) | instid1(VALU_DEP_2)
	v_xor_b32_e32 v5, s19, v5
	v_mul_hi_u32 v6, v4, v3
	s_delay_alu instid0(VALU_DEP_1) | instskip(SKIP_1) | instid1(VALU_DEP_2)
	v_mul_lo_u32 v7, v6, s31
	v_add_nc_u32_e32 v8, 1, v6
	v_sub_nc_u32_e32 v4, v4, v7
	s_delay_alu instid0(VALU_DEP_1) | instskip(SKIP_1) | instid1(VALU_DEP_4)
	v_subrev_nc_u32_e32 v7, s31, v4
	v_cmp_le_u32_e32 vcc_lo, s31, v4
	v_cndmask_b32_e32 v6, v6, v8, vcc_lo
	s_delay_alu instid0(VALU_DEP_1) | instskip(NEXT) | instid1(VALU_DEP_1)
	v_dual_cndmask_b32 v4, v4, v7 :: v_dual_add_nc_u32 v7, 1, v6
	v_cmp_le_u32_e32 vcc_lo, s31, v4
	s_delay_alu instid0(VALU_DEP_2) | instskip(NEXT) | instid1(VALU_DEP_1)
	v_cndmask_b32_e32 v4, v6, v7, vcc_lo
	v_xor_b32_e32 v4, v4, v5
	s_delay_alu instid0(VALU_DEP_1) | instskip(NEXT) | instid1(VALU_DEP_1)
	v_sub_nc_u32_e32 v10, v4, v5
	v_mad_u64_u32 v[4:5], null, s35, v10, v[2:3]
	v_ashrrev_i32_e32 v5, 31, v10
	v_mul_lo_u32 v11, v10, s7
	v_mad_u64_u32 v[6:7], null, v10, s6, 0
	v_mad_u64_u32 v[8:9], null, s36, v10, v[1:2]
	s_delay_alu instid0(VALU_DEP_4) | instskip(SKIP_3) | instid1(VALU_DEP_3)
	v_mul_lo_u32 v10, v5, s6
	v_ashrrev_i32_e32 v5, 31, v4
	v_add_nc_u32_e32 v2, s34, v2
	v_add_nc_u32_e32 v1, s37, v1
	v_lshlrev_b64 v[4:5], 2, v[4:5]
	v_ashrrev_i32_e32 v9, 31, v8
	v_add3_u32 v7, v7, v11, v10
	s_delay_alu instid0(VALU_DEP_3) | instskip(NEXT) | instid1(VALU_DEP_2)
	v_add_co_u32 v4, vcc_lo, s27, v4
	v_lshlrev_b64 v[6:7], 1, v[6:7]
	v_add_co_ci_u32_e32 v5, vcc_lo, s28, v5, vcc_lo
	v_lshlrev_b64 v[8:9], 1, v[8:9]
	s_delay_alu instid0(VALU_DEP_3) | instskip(NEXT) | instid1(VALU_DEP_4)
	v_add_co_u32 v10, vcc_lo, s29, v6
	v_add_co_ci_u32_e32 v11, vcc_lo, s30, v7, vcc_lo
	v_add_co_u32 v6, vcc_lo, v4, s4
	v_add_co_ci_u32_e32 v7, vcc_lo, s5, v5, vcc_lo
	s_delay_alu instid0(VALU_DEP_4) | instskip(NEXT) | instid1(VALU_DEP_4)
	v_add_co_u32 v8, vcc_lo, v10, v8
	v_add_co_ci_u32_e32 v9, vcc_lo, v11, v9, vcc_lo
	s_clause 0x1
	global_load_b32 v4, v[4:5], off
	global_load_b32 v5, v[6:7], off
	;; [unrolled: 1-line block ×3, first 2 shown]
	v_cmp_le_i32_e32 vcc_lo, s3, v2
	s_or_b32 s33, vcc_lo, s33
	s_waitcnt vmcnt(2)
	v_cvt_f16_f32_e32 v4, v4
	s_waitcnt vmcnt(1)
	v_cvt_f16_f32_e32 v5, v5
	s_waitcnt vmcnt(0)
	v_lshrrev_b32_e32 v7, 16, v6
	s_delay_alu instid0(VALU_DEP_1) | instskip(SKIP_1) | instid1(VALU_DEP_2)
	v_mul_f16_e32 v10, v7, v5
	v_mul_f16_e32 v7, v7, v4
	v_fma_f16 v4, v6, v4, -v10
	s_delay_alu instid0(VALU_DEP_2) | instskip(NEXT) | instid1(VALU_DEP_1)
	v_fmac_f16_e32 v7, v6, v5
	v_pack_b32_f16 v4, v4, v7
	global_store_b32 v[8:9], v4, off
	s_and_not1_b32 exec_lo, exec_lo, s33
	s_cbranch_execnz .LBB25_3
.LBB25_4:
	s_or_b32 exec_lo, exec_lo, s26
	s_load_b128 s[4:7], s[0:1], 0x68
	s_waitcnt lgkmcnt(0)
	s_ashr_i32 s27, s7, 31
	s_mov_b32 s26, s7
	s_delay_alu instid0(SALU_CYCLE_1) | instskip(SKIP_1) | instid1(SALU_CYCLE_1)
	s_or_b64 s[30:31], s[22:23], s[26:27]
	s_mov_b32 s30, 0
	s_cmp_lg_u64 s[30:31], 0
	s_cbranch_scc0 .LBB25_14
; %bb.5:
	s_add_u32 s34, s26, s27
	s_mov_b32 s28, s27
	s_mov_b32 s29, s27
	s_addc_u32 s35, s27, s27
	s_delay_alu instid0(SALU_CYCLE_1) | instskip(NEXT) | instid1(SALU_CYCLE_1)
	s_xor_b64 s[34:35], s[34:35], s[28:29]
	v_cvt_f32_u32_e32 v1, s34
	v_cvt_f32_u32_e32 v2, s35
	s_sub_u32 s19, 0, s34
	s_subb_u32 s31, 0, s35
	s_delay_alu instid0(VALU_DEP_1) | instskip(NEXT) | instid1(VALU_DEP_1)
	v_fmamk_f32 v1, v2, 0x4f800000, v1
	v_rcp_f32_e32 v1, v1
	s_waitcnt_depctr 0xfff
	v_mul_f32_e32 v1, 0x5f7ffffc, v1
	s_delay_alu instid0(VALU_DEP_1) | instskip(NEXT) | instid1(VALU_DEP_1)
	v_mul_f32_e32 v2, 0x2f800000, v1
	v_trunc_f32_e32 v2, v2
	s_delay_alu instid0(VALU_DEP_1) | instskip(SKIP_1) | instid1(VALU_DEP_2)
	v_fmamk_f32 v1, v2, 0xcf800000, v1
	v_cvt_u32_f32_e32 v2, v2
	v_cvt_u32_f32_e32 v1, v1
	s_delay_alu instid0(VALU_DEP_2) | instskip(NEXT) | instid1(VALU_DEP_2)
	v_readfirstlane_b32 s3, v2
	v_readfirstlane_b32 s7, v1
	s_delay_alu instid0(VALU_DEP_2) | instskip(NEXT) | instid1(VALU_DEP_1)
	s_mul_i32 s33, s19, s3
	s_mul_hi_u32 s37, s19, s7
	s_mul_i32 s36, s31, s7
	s_add_i32 s33, s37, s33
	s_mul_i32 s38, s19, s7
	s_add_i32 s33, s33, s36
	s_mul_hi_u32 s37, s7, s38
	s_mul_hi_u32 s39, s3, s38
	s_mul_i32 s36, s3, s38
	s_mul_hi_u32 s38, s7, s33
	s_mul_i32 s7, s7, s33
	s_mul_hi_u32 s40, s3, s33
	s_add_u32 s7, s37, s7
	s_addc_u32 s37, 0, s38
	s_add_u32 s7, s7, s36
	s_mul_i32 s33, s3, s33
	s_addc_u32 s7, s37, s39
	s_addc_u32 s36, s40, 0
	s_add_u32 s7, s7, s33
	s_addc_u32 s33, 0, s36
	v_add_co_u32 v1, s7, v1, s7
	s_delay_alu instid0(VALU_DEP_1) | instskip(SKIP_1) | instid1(VALU_DEP_1)
	s_cmp_lg_u32 s7, 0
	s_addc_u32 s3, s3, s33
	v_readfirstlane_b32 s7, v1
	s_mul_i32 s33, s19, s3
	s_delay_alu instid0(VALU_DEP_1)
	s_mul_hi_u32 s36, s19, s7
	s_mul_i32 s31, s31, s7
	s_add_i32 s33, s36, s33
	s_mul_i32 s19, s19, s7
	s_add_i32 s33, s33, s31
	s_mul_hi_u32 s36, s3, s19
	s_mul_i32 s37, s3, s19
	s_mul_hi_u32 s19, s7, s19
	s_mul_hi_u32 s38, s7, s33
	s_mul_i32 s7, s7, s33
	s_mul_hi_u32 s31, s3, s33
	s_add_u32 s7, s19, s7
	s_addc_u32 s19, 0, s38
	s_add_u32 s7, s7, s37
	s_mul_i32 s33, s3, s33
	s_addc_u32 s7, s19, s36
	s_addc_u32 s19, s31, 0
	s_add_u32 s7, s7, s33
	s_addc_u32 s19, 0, s19
	v_add_co_u32 v1, s7, v1, s7
	s_delay_alu instid0(VALU_DEP_1) | instskip(SKIP_2) | instid1(VALU_DEP_1)
	s_cmp_lg_u32 s7, 0
	s_addc_u32 s3, s3, s19
	s_ashr_i32 s36, s23, 31
	v_readfirstlane_b32 s7, v1
	s_add_u32 s38, s22, s36
	s_mov_b32 s37, s36
	s_addc_u32 s39, s23, s36
	s_delay_alu instid0(SALU_CYCLE_1) | instskip(NEXT) | instid1(SALU_CYCLE_1)
	s_xor_b64 s[38:39], s[38:39], s[36:37]
	s_mul_i32 s31, s38, s3
	s_mul_hi_u32 s33, s38, s7
	s_mul_hi_u32 s19, s38, s3
	;; [unrolled: 1-line block ×3, first 2 shown]
	s_mul_i32 s7, s39, s7
	s_add_u32 s31, s33, s31
	s_addc_u32 s19, 0, s19
	s_mul_hi_u32 s40, s39, s3
	s_add_u32 s7, s31, s7
	s_mul_i32 s3, s39, s3
	s_addc_u32 s7, s19, s41
	s_addc_u32 s19, s40, 0
	s_add_u32 s3, s7, s3
	s_addc_u32 s7, 0, s19
	s_mul_hi_u32 s19, s34, s3
	s_mul_i32 s33, s34, s7
	s_mul_i32 s40, s34, s3
	s_add_i32 s19, s19, s33
	v_sub_co_u32 v1, s33, s38, s40
	s_mul_i32 s31, s35, s3
	s_delay_alu instid0(SALU_CYCLE_1) | instskip(NEXT) | instid1(VALU_DEP_1)
	s_add_i32 s19, s19, s31
	v_sub_co_u32 v2, s38, v1, s34
	s_sub_i32 s31, s39, s19
	s_cmp_lg_u32 s33, 0
	s_subb_u32 s31, s31, s35
	s_cmp_lg_u32 s38, 0
	v_readfirstlane_b32 s38, v2
	s_subb_u32 s31, s31, 0
	s_delay_alu instid0(SALU_CYCLE_1) | instskip(SKIP_1) | instid1(VALU_DEP_1)
	s_cmp_ge_u32 s31, s35
	s_cselect_b32 s40, -1, 0
	s_cmp_ge_u32 s38, s34
	s_cselect_b32 s38, -1, 0
	s_cmp_eq_u32 s31, s35
	s_cselect_b32 s31, s38, s40
	s_add_u32 s38, s3, 1
	s_addc_u32 s40, s7, 0
	s_add_u32 s41, s3, 2
	s_addc_u32 s42, s7, 0
	s_cmp_lg_u32 s31, 0
	s_cselect_b32 s31, s41, s38
	s_cselect_b32 s38, s42, s40
	s_cmp_lg_u32 s33, 0
	v_readfirstlane_b32 s33, v1
	s_subb_u32 s19, s39, s19
	s_delay_alu instid0(SALU_CYCLE_1) | instskip(SKIP_1) | instid1(VALU_DEP_1)
	s_cmp_ge_u32 s19, s35
	s_cselect_b32 s39, -1, 0
	s_cmp_ge_u32 s33, s34
	s_cselect_b32 s33, -1, 0
	s_cmp_eq_u32 s19, s35
	s_cselect_b32 s19, s33, s39
	s_delay_alu instid0(SALU_CYCLE_1) | instskip(SKIP_3) | instid1(SALU_CYCLE_1)
	s_cmp_lg_u32 s19, 0
	s_cselect_b32 s35, s38, s7
	s_cselect_b32 s34, s31, s3
	s_xor_b64 s[28:29], s[36:37], s[28:29]
	s_xor_b64 s[34:35], s[34:35], s[28:29]
	s_delay_alu instid0(SALU_CYCLE_1)
	s_sub_u32 s28, s34, s28
	s_subb_u32 s29, s35, s29
	s_and_not1_b32 vcc_lo, exec_lo, s30
	s_cbranch_vccnz .LBB25_7
.LBB25_6:
	v_cvt_f32_u32_e32 v1, s26
	s_sub_i32 s7, 0, s26
	s_mov_b32 s29, 0
	s_delay_alu instid0(VALU_DEP_1) | instskip(SKIP_2) | instid1(VALU_DEP_1)
	v_rcp_iflag_f32_e32 v1, v1
	s_waitcnt_depctr 0xfff
	v_mul_f32_e32 v1, 0x4f7ffffe, v1
	v_cvt_u32_f32_e32 v1, v1
	s_delay_alu instid0(VALU_DEP_1) | instskip(NEXT) | instid1(VALU_DEP_1)
	v_readfirstlane_b32 s3, v1
	s_mul_i32 s7, s7, s3
	s_delay_alu instid0(SALU_CYCLE_1) | instskip(NEXT) | instid1(SALU_CYCLE_1)
	s_mul_hi_u32 s7, s3, s7
	s_add_i32 s3, s3, s7
	s_delay_alu instid0(SALU_CYCLE_1) | instskip(NEXT) | instid1(SALU_CYCLE_1)
	s_mul_hi_u32 s3, s22, s3
	s_mul_i32 s7, s3, s26
	s_add_i32 s19, s3, 1
	s_sub_i32 s7, s22, s7
	s_delay_alu instid0(SALU_CYCLE_1)
	s_sub_i32 s28, s7, s26
	s_cmp_ge_u32 s7, s26
	s_cselect_b32 s3, s19, s3
	s_cselect_b32 s7, s28, s7
	s_add_i32 s19, s3, 1
	s_cmp_ge_u32 s7, s26
	s_cselect_b32 s28, s19, s3
.LBB25_7:
	s_delay_alu instid0(SALU_CYCLE_1)
	s_mul_i32 s3, s28, s27
	s_mul_hi_u32 s7, s28, s26
	s_mul_i32 s19, s28, s26
	s_add_i32 s3, s7, s3
	s_mul_i32 s7, s29, s26
	s_mul_hi_u32 s31, s28, s4
	s_add_i32 s7, s3, s7
	s_sub_u32 s3, s22, s19
	s_subb_u32 s30, s23, s7
	s_mul_i32 s33, s29, s4
	s_mul_i32 s26, s28, s4
	s_mul_hi_u32 s29, s3, s5
	s_mul_i32 s30, s30, s5
	s_mul_i32 s22, s3, s5
	s_mov_b32 s34, exec_lo
	v_cmpx_gt_i32_e64 s18, v0
	s_cbranch_execz .LBB25_10
; %bb.8:
	s_load_b32 s23, s[0:1], 0x8c
	s_ashr_i32 s27, s4, 31
	s_ashr_i32 s35, s5, 31
	s_lshl_b64 s[36:37], s[24:25], 2
	s_ashr_i32 s19, s18, 31
	s_ashr_i32 s7, s6, 31
	s_mul_i32 s25, s28, s27
	s_mul_i32 s27, s3, s35
	v_lshlrev_b32_e32 v7, 2, v0
	s_mul_i32 s9, s9, s2
	v_mov_b32_e32 v9, v0
	s_waitcnt lgkmcnt(0)
	s_and_b32 s24, s23, 0xffff
	s_add_u32 s35, s20, s36
	s_addc_u32 s21, s21, s37
	s_lshl_b64 s[36:37], s[18:19], 2
	s_add_i32 s19, s31, s25
	s_add_i32 s23, s29, s27
	;; [unrolled: 1-line block ×4, first 2 shown]
	s_lshl_b64 s[38:39], s[26:27], 1
	s_lshl_b64 s[40:41], s[22:23], 1
	v_add_co_u32 v1, s19, s35, v7
	s_lshl_b32 s20, s24, 2
	v_add_co_ci_u32_e64 v2, null, s21, 0, s19
	s_add_u32 s19, s38, s40
	s_addc_u32 s21, s39, s41
	s_lshl_b64 s[38:39], s[6:7], 1
	v_add_co_u32 v3, vcc_lo, v1, s36
	s_add_u32 s7, s16, s38
	s_addc_u32 s23, s17, s39
	s_add_u32 s7, s7, s19
	s_mul_hi_u32 s19, s8, s2
	s_addc_u32 s21, s23, s21
	s_add_i32 s9, s19, s9
	s_mul_i32 s8, s8, s2
	v_add_co_u32 v5, s7, s7, v7
	s_lshl_b64 s[8:9], s[8:9], 1
	v_add_co_ci_u32_e64 v6, null, s21, 0, s7
	s_add_u32 s7, s12, s8
	v_add_co_ci_u32_e32 v4, vcc_lo, s37, v2, vcc_lo
	v_add_co_u32 v5, vcc_lo, v5, 2
	s_addc_u32 s8, s13, s9
	v_add_co_u32 v7, s7, s7, v7
	v_add_co_ci_u32_e32 v6, vcc_lo, 0, v6, vcc_lo
	v_add_co_ci_u32_e64 v8, null, s8, 0, s7
	s_mov_b32 s7, 0
	s_mov_b64 s[8:9], 0
	s_set_inst_prefetch_distance 0x1
	.p2align	6
.LBB25_9:                               ; =>This Inner Loop Header: Depth=1
	v_add_co_u32 v10, vcc_lo, v3, s8
	v_add_co_ci_u32_e32 v11, vcc_lo, s9, v4, vcc_lo
	v_add_co_u32 v12, vcc_lo, v7, s8
	v_add_co_ci_u32_e32 v13, vcc_lo, s9, v8, vcc_lo
	;; [unrolled: 2-line block ×3, first 2 shown]
	global_load_b32 v10, v[10:11], off
	global_load_b32 v11, v[12:13], off
	;; [unrolled: 1-line block ×3, first 2 shown]
	v_add_nc_u32_e32 v9, s24, v9
	s_waitcnt vmcnt(2)
	v_cvt_f16_f32_e32 v15, v10
	s_waitcnt vmcnt(1)
	v_lshrrev_b32_e32 v10, 16, v11
	s_waitcnt vmcnt(0)
	v_cvt_f16_f32_e32 v14, v14
	s_delay_alu instid0(VALU_DEP_2) | instskip(NEXT) | instid1(VALU_DEP_2)
	v_mul_f16_e32 v16, v10, v15
	v_mul_f16_e32 v17, v10, v14
	v_add_co_u32 v10, vcc_lo, v5, s8
	s_add_u32 s8, s8, s20
	s_delay_alu instid0(VALU_DEP_3) | instskip(NEXT) | instid1(VALU_DEP_3)
	v_fma_f16 v14, v11, v14, -v16
	v_fmac_f16_e32 v17, v11, v15
	v_add_co_ci_u32_e32 v11, vcc_lo, s9, v6, vcc_lo
	v_cmp_le_i32_e32 vcc_lo, s18, v9
	s_addc_u32 s9, s9, 0
	s_delay_alu instid0(VALU_DEP_3) | instskip(SKIP_3) | instid1(SALU_CYCLE_1)
	v_pack_b32_f16 v14, v14, v17
	global_store_b32 v[12:13], v14, off
	global_store_b32 v[10:11], v14, off offset:-2
	s_or_b32 s7, vcc_lo, s7
	s_and_not1_b32 exec_lo, exec_lo, s7
	s_cbranch_execnz .LBB25_9
.LBB25_10:
	s_set_inst_prefetch_distance 0x2
	s_or_b32 exec_lo, exec_lo, s34
	s_delay_alu instid0(SALU_CYCLE_1)
	s_mov_b32 s7, exec_lo
	v_cmpx_gt_i32_e64 s6, v0
	s_cbranch_execz .LBB25_13
; %bb.11:
	s_mul_i32 s7, s2, s11
	s_mul_hi_u32 s9, s2, s10
	s_mul_i32 s8, s2, s10
	s_add_i32 s9, s9, s7
	s_delay_alu instid0(SALU_CYCLE_1) | instskip(NEXT) | instid1(SALU_CYCLE_1)
	s_lshl_b64 s[8:9], s[8:9], 1
	s_add_u32 s2, s14, s8
	s_addc_u32 s7, s15, s9
	s_ashr_i32 s4, s4, 31
	s_load_b32 s8, s[0:1], 0x8c
	s_mul_i32 s4, s28, s4
	s_delay_alu instid0(SALU_CYCLE_1) | instskip(NEXT) | instid1(SALU_CYCLE_1)
	s_add_i32 s0, s31, s4
	s_add_i32 s27, s0, s33
	s_delay_alu instid0(SALU_CYCLE_1) | instskip(NEXT) | instid1(SALU_CYCLE_1)
	s_lshl_b64 s[0:1], s[26:27], 1
	s_add_u32 s0, s16, s0
	s_addc_u32 s9, s17, s1
	s_ashr_i32 s1, s5, 31
	s_delay_alu instid0(SALU_CYCLE_1) | instskip(NEXT) | instid1(SALU_CYCLE_1)
	s_mul_i32 s3, s3, s1
	s_add_i32 s1, s29, s3
	s_delay_alu instid0(SALU_CYCLE_1) | instskip(NEXT) | instid1(SALU_CYCLE_1)
	s_add_i32 s23, s1, s30
	s_lshl_b64 s[4:5], s[22:23], 1
	s_delay_alu instid0(SALU_CYCLE_1)
	s_add_u32 s1, s0, s4
	s_addc_u32 s3, s9, s5
	s_waitcnt lgkmcnt(0)
	s_and_b32 s4, s8, 0xffff
	s_mov_b32 s5, 0
	.p2align	6
.LBB25_12:                              ; =>This Inner Loop Header: Depth=1
	v_ashrrev_i32_e32 v1, 31, v0
	s_delay_alu instid0(VALU_DEP_1) | instskip(SKIP_1) | instid1(VALU_DEP_2)
	v_lshlrev_b64 v[1:2], 1, v[0:1]
	v_add_nc_u32_e32 v0, s4, v0
	v_add_co_u32 v3, vcc_lo, s2, v1
	s_delay_alu instid0(VALU_DEP_3) | instskip(NEXT) | instid1(VALU_DEP_3)
	v_add_co_ci_u32_e32 v4, vcc_lo, s7, v2, vcc_lo
	v_cmp_le_i32_e32 vcc_lo, s6, v0
	v_add_co_u32 v1, s0, s1, v1
	global_load_u16 v3, v[3:4], off
	v_add_co_ci_u32_e64 v2, s0, s3, v2, s0
	s_or_b32 s5, vcc_lo, s5
	s_waitcnt vmcnt(0)
	global_store_b16 v[1:2], v3, off
	s_and_not1_b32 exec_lo, exec_lo, s5
	s_cbranch_execnz .LBB25_12
.LBB25_13:
	s_nop 0
	s_sendmsg sendmsg(MSG_DEALLOC_VGPRS)
	s_endpgm
.LBB25_14:
                                        ; implicit-def: $sgpr28_sgpr29
	s_branch .LBB25_6
	.section	.rodata,"a",@progbits
	.p2align	6, 0x0
	.amdhsa_kernel _ZN4vllm38concat_and_cache_mla_rope_fused_kernelIN3c104HalfEfLb0EttLNS_18Fp8KVCacheDataTypeE0EEEvPKlPT_S7_PKS6_PKT0_illlliPT3_S5_iiiiPKf
		.amdhsa_group_segment_fixed_size 0
		.amdhsa_private_segment_fixed_size 0
		.amdhsa_kernarg_size 384
		.amdhsa_user_sgpr_count 15
		.amdhsa_user_sgpr_dispatch_ptr 0
		.amdhsa_user_sgpr_queue_ptr 0
		.amdhsa_user_sgpr_kernarg_segment_ptr 1
		.amdhsa_user_sgpr_dispatch_id 0
		.amdhsa_user_sgpr_private_segment_size 0
		.amdhsa_wavefront_size32 1
		.amdhsa_uses_dynamic_stack 0
		.amdhsa_enable_private_segment 0
		.amdhsa_system_sgpr_workgroup_id_x 1
		.amdhsa_system_sgpr_workgroup_id_y 0
		.amdhsa_system_sgpr_workgroup_id_z 0
		.amdhsa_system_sgpr_workgroup_info 0
		.amdhsa_system_vgpr_workitem_id 0
		.amdhsa_next_free_vgpr 18
		.amdhsa_next_free_sgpr 43
		.amdhsa_reserve_vcc 1
		.amdhsa_float_round_mode_32 0
		.amdhsa_float_round_mode_16_64 0
		.amdhsa_float_denorm_mode_32 3
		.amdhsa_float_denorm_mode_16_64 3
		.amdhsa_dx10_clamp 1
		.amdhsa_ieee_mode 1
		.amdhsa_fp16_overflow 0
		.amdhsa_workgroup_processor_mode 1
		.amdhsa_memory_ordered 1
		.amdhsa_forward_progress 0
		.amdhsa_shared_vgpr_count 0
		.amdhsa_exception_fp_ieee_invalid_op 0
		.amdhsa_exception_fp_denorm_src 0
		.amdhsa_exception_fp_ieee_div_zero 0
		.amdhsa_exception_fp_ieee_overflow 0
		.amdhsa_exception_fp_ieee_underflow 0
		.amdhsa_exception_fp_ieee_inexact 0
		.amdhsa_exception_int_div_zero 0
	.end_amdhsa_kernel
	.section	.text._ZN4vllm38concat_and_cache_mla_rope_fused_kernelIN3c104HalfEfLb0EttLNS_18Fp8KVCacheDataTypeE0EEEvPKlPT_S7_PKS6_PKT0_illlliPT3_S5_iiiiPKf,"axG",@progbits,_ZN4vllm38concat_and_cache_mla_rope_fused_kernelIN3c104HalfEfLb0EttLNS_18Fp8KVCacheDataTypeE0EEEvPKlPT_S7_PKS6_PKT0_illlliPT3_S5_iiiiPKf,comdat
.Lfunc_end25:
	.size	_ZN4vllm38concat_and_cache_mla_rope_fused_kernelIN3c104HalfEfLb0EttLNS_18Fp8KVCacheDataTypeE0EEEvPKlPT_S7_PKS6_PKT0_illlliPT3_S5_iiiiPKf, .Lfunc_end25-_ZN4vllm38concat_and_cache_mla_rope_fused_kernelIN3c104HalfEfLb0EttLNS_18Fp8KVCacheDataTypeE0EEEvPKlPT_S7_PKS6_PKT0_illlliPT3_S5_iiiiPKf
                                        ; -- End function
	.section	.AMDGPU.csdata,"",@progbits
; Kernel info:
; codeLenInByte = 2296
; NumSgprs: 45
; NumVgprs: 18
; ScratchSize: 0
; MemoryBound: 0
; FloatMode: 240
; IeeeMode: 1
; LDSByteSize: 0 bytes/workgroup (compile time only)
; SGPRBlocks: 5
; VGPRBlocks: 2
; NumSGPRsForWavesPerEU: 45
; NumVGPRsForWavesPerEU: 18
; Occupancy: 16
; WaveLimiterHint : 1
; COMPUTE_PGM_RSRC2:SCRATCH_EN: 0
; COMPUTE_PGM_RSRC2:USER_SGPR: 15
; COMPUTE_PGM_RSRC2:TRAP_HANDLER: 0
; COMPUTE_PGM_RSRC2:TGID_X_EN: 1
; COMPUTE_PGM_RSRC2:TGID_Y_EN: 0
; COMPUTE_PGM_RSRC2:TGID_Z_EN: 0
; COMPUTE_PGM_RSRC2:TIDIG_COMP_CNT: 0
	.section	.text._ZN4vllm38concat_and_cache_mla_rope_fused_kernelIN3c104HalfES2_Lb1EttLNS_18Fp8KVCacheDataTypeE0EEEvPKlPT_S7_PKS6_PKT0_illlliPT3_S5_iiiiPKf,"axG",@progbits,_ZN4vllm38concat_and_cache_mla_rope_fused_kernelIN3c104HalfES2_Lb1EttLNS_18Fp8KVCacheDataTypeE0EEEvPKlPT_S7_PKS6_PKT0_illlliPT3_S5_iiiiPKf,comdat
	.protected	_ZN4vllm38concat_and_cache_mla_rope_fused_kernelIN3c104HalfES2_Lb1EttLNS_18Fp8KVCacheDataTypeE0EEEvPKlPT_S7_PKS6_PKT0_illlliPT3_S5_iiiiPKf ; -- Begin function _ZN4vllm38concat_and_cache_mla_rope_fused_kernelIN3c104HalfES2_Lb1EttLNS_18Fp8KVCacheDataTypeE0EEEvPKlPT_S7_PKS6_PKT0_illlliPT3_S5_iiiiPKf
	.globl	_ZN4vllm38concat_and_cache_mla_rope_fused_kernelIN3c104HalfES2_Lb1EttLNS_18Fp8KVCacheDataTypeE0EEEvPKlPT_S7_PKS6_PKT0_illlliPT3_S5_iiiiPKf
	.p2align	8
	.type	_ZN4vllm38concat_and_cache_mla_rope_fused_kernelIN3c104HalfES2_Lb1EttLNS_18Fp8KVCacheDataTypeE0EEEvPKlPT_S7_PKS6_PKT0_illlliPT3_S5_iiiiPKf,@function
_ZN4vllm38concat_and_cache_mla_rope_fused_kernelIN3c104HalfES2_Lb1EttLNS_18Fp8KVCacheDataTypeE0EEEvPKlPT_S7_PKS6_PKT0_illlliPT3_S5_iiiiPKf: ; @_ZN4vllm38concat_and_cache_mla_rope_fused_kernelIN3c104HalfES2_Lb1EttLNS_18Fp8KVCacheDataTypeE0EEEvPKlPT_S7_PKS6_PKT0_illlliPT3_S5_iiiiPKf
; %bb.0:
	s_load_b64 s[6:7], s[0:1], 0x60
	s_mov_b32 s2, s15
	s_mov_b32 s3, 0
	s_delay_alu instid0(SALU_CYCLE_1)
	s_lshl_b64 s[4:5], s[2:3], 3
	s_waitcnt lgkmcnt(0)
	s_add_u32 s6, s6, s4
	s_addc_u32 s7, s7, s5
	s_load_b64 s[24:25], s[6:7], 0x0
	s_waitcnt lgkmcnt(0)
	v_cmp_lt_i64_e64 s3, s[24:25], 0
	s_delay_alu instid0(VALU_DEP_1)
	s_and_b32 vcc_lo, exec_lo, s3
	s_cbranch_vccnz .LBB26_13
; %bb.1:
	s_clause 0x2
	s_load_b32 s26, s[0:1], 0x28
	s_load_b64 s[6:7], s[0:1], 0x0
	s_load_b128 s[12:15], s[0:1], 0x10
	s_waitcnt lgkmcnt(0)
	s_ashr_i32 s3, s26, 31
	s_add_u32 s4, s6, s4
	s_addc_u32 s5, s7, s5
	s_load_b64 s[18:19], s[4:5], 0x0
	s_clause 0x3
	s_load_b64 s[20:21], s[0:1], 0x20
	s_load_b32 s27, s[0:1], 0x50
	s_load_b64 s[16:17], s[0:1], 0x58
	s_load_b256 s[4:11], s[0:1], 0x30
	s_waitcnt lgkmcnt(0)
	s_mul_i32 s3, s18, s3
	s_mul_hi_u32 s22, s18, s26
	s_mul_i32 s19, s19, s26
	s_add_i32 s3, s22, s3
	s_mul_i32 s18, s18, s26
	s_add_i32 s19, s3, s19
	s_delay_alu instid0(SALU_CYCLE_1) | instskip(NEXT) | instid1(SALU_CYCLE_1)
	s_lshl_b64 s[22:23], s[18:19], 1
	s_add_u32 s3, s20, s22
	s_addc_u32 s33, s21, s23
	s_lshr_b32 s18, s26, 31
	s_delay_alu instid0(SALU_CYCLE_1) | instskip(NEXT) | instid1(SALU_CYCLE_1)
	s_add_i32 s26, s26, s18
	s_ashr_i32 s18, s26, 1
	s_delay_alu instid0(SALU_CYCLE_1)
	s_mul_i32 s26, s18, s27
	s_mov_b32 s27, exec_lo
	v_cmpx_gt_i32_e64 s26, v0
	s_cbranch_execz .LBB26_4
; %bb.2:
	s_clause 0x1
	s_load_b64 s[28:29], s[0:1], 0x8
	s_load_b32 s31, s[0:1], 0x8c
	s_mul_i32 s5, s2, s5
	s_mul_hi_u32 s19, s2, s4
	s_mul_i32 s4, s2, s4
	s_add_i32 s5, s19, s5
	s_ashr_i32 s19, s18, 31
	s_lshl_b64 s[4:5], s[4:5], 1
	s_mov_b32 s34, 0
	s_waitcnt lgkmcnt(0)
	s_add_u32 s28, s28, s4
	s_addc_u32 s29, s29, s5
	s_abs_i32 s30, s18
	s_and_b32 s31, s31, 0xffff
	v_cvt_f32_u32_e32 v1, s30
	s_sub_i32 s4, 0, s30
	s_sub_i32 s35, 0, s18
	s_delay_alu instid0(VALU_DEP_1) | instskip(SKIP_2) | instid1(VALU_DEP_1)
	v_rcp_iflag_f32_e32 v1, v1
	s_waitcnt_depctr 0xfff
	v_mul_f32_e32 v1, 0x4f7ffffe, v1
	v_cvt_u32_f32_e32 v1, v1
	s_delay_alu instid0(VALU_DEP_1) | instskip(SKIP_1) | instid1(VALU_DEP_1)
	v_mul_lo_u32 v2, s4, v1
	s_lshl_b64 s[4:5], s[18:19], 1
	v_mul_hi_u32 v2, v1, v2
	s_delay_alu instid0(VALU_DEP_1)
	v_dual_mov_b32 v1, v0 :: v_dual_add_nc_u32 v2, v1, v2
.LBB26_3:                               ; =>This Inner Loop Header: Depth=1
	s_delay_alu instid0(VALU_DEP_1) | instskip(SKIP_1) | instid1(VALU_DEP_2)
	v_sub_nc_u32_e32 v3, 0, v1
	v_ashrrev_i32_e32 v4, 31, v1
	v_max_i32_e32 v3, v1, v3
	s_delay_alu instid0(VALU_DEP_2) | instskip(NEXT) | instid1(VALU_DEP_2)
	v_xor_b32_e32 v4, s19, v4
	v_mul_hi_u32 v5, v3, v2
	s_delay_alu instid0(VALU_DEP_1) | instskip(SKIP_1) | instid1(VALU_DEP_2)
	v_mul_lo_u32 v6, v5, s30
	v_add_nc_u32_e32 v7, 1, v5
	v_sub_nc_u32_e32 v3, v3, v6
	s_delay_alu instid0(VALU_DEP_1) | instskip(SKIP_1) | instid1(VALU_DEP_4)
	v_subrev_nc_u32_e32 v6, s30, v3
	v_cmp_le_u32_e32 vcc_lo, s30, v3
	v_cndmask_b32_e32 v5, v5, v7, vcc_lo
	s_delay_alu instid0(VALU_DEP_1) | instskip(NEXT) | instid1(VALU_DEP_1)
	v_dual_cndmask_b32 v3, v3, v6 :: v_dual_add_nc_u32 v6, 1, v5
	v_cmp_le_u32_e32 vcc_lo, s30, v3
	s_delay_alu instid0(VALU_DEP_2) | instskip(NEXT) | instid1(VALU_DEP_1)
	v_cndmask_b32_e32 v3, v5, v6, vcc_lo
	v_xor_b32_e32 v3, v3, v4
	s_delay_alu instid0(VALU_DEP_1) | instskip(NEXT) | instid1(VALU_DEP_1)
	v_sub_nc_u32_e32 v7, v3, v4
	v_ashrrev_i32_e32 v8, 31, v7
	v_mad_u64_u32 v[3:4], null, s35, v7, v[1:2]
	v_mul_lo_u32 v9, v7, s7
	v_mad_u64_u32 v[5:6], null, v7, s6, 0
	s_delay_alu instid0(VALU_DEP_4) | instskip(SKIP_2) | instid1(VALU_DEP_3)
	v_mul_lo_u32 v7, v8, s6
	v_add_nc_u32_e32 v1, s31, v1
	v_ashrrev_i32_e32 v4, 31, v3
	v_add3_u32 v6, v6, v9, v7
	s_delay_alu instid0(VALU_DEP_2) | instskip(NEXT) | instid1(VALU_DEP_2)
	v_lshlrev_b64 v[3:4], 1, v[3:4]
	v_lshlrev_b64 v[5:6], 1, v[5:6]
	s_delay_alu instid0(VALU_DEP_2) | instskip(NEXT) | instid1(VALU_DEP_3)
	v_add_co_u32 v7, vcc_lo, s3, v3
	v_add_co_ci_u32_e32 v8, vcc_lo, s33, v4, vcc_lo
	s_delay_alu instid0(VALU_DEP_3) | instskip(NEXT) | instid1(VALU_DEP_4)
	v_add_co_u32 v9, vcc_lo, s28, v5
	v_add_co_ci_u32_e32 v10, vcc_lo, s29, v6, vcc_lo
	s_delay_alu instid0(VALU_DEP_4) | instskip(NEXT) | instid1(VALU_DEP_4)
	v_add_co_u32 v5, vcc_lo, v7, s4
	v_add_co_ci_u32_e32 v6, vcc_lo, s5, v8, vcc_lo
	s_delay_alu instid0(VALU_DEP_4) | instskip(NEXT) | instid1(VALU_DEP_4)
	v_add_co_u32 v3, vcc_lo, v9, v3
	v_add_co_ci_u32_e32 v4, vcc_lo, v10, v4, vcc_lo
	s_delay_alu instid0(VALU_DEP_2) | instskip(NEXT) | instid1(VALU_DEP_2)
	v_add_co_u32 v9, vcc_lo, v3, s4
	v_add_co_ci_u32_e32 v10, vcc_lo, s5, v4, vcc_lo
	s_clause 0x1
	global_load_u16 v7, v[7:8], off
	global_load_u16 v5, v[5:6], off
	s_clause 0x1
	global_load_u16 v6, v[3:4], off
	global_load_u16 v8, v[9:10], off
	v_cmp_le_i32_e32 vcc_lo, s26, v1
	s_or_b32 s34, vcc_lo, s34
	s_waitcnt vmcnt(0)
	v_mul_f16_e32 v11, v5, v8
	v_mul_f16_e32 v8, v7, v8
	s_delay_alu instid0(VALU_DEP_2) | instskip(NEXT) | instid1(VALU_DEP_2)
	v_fma_f16 v7, v7, v6, -v11
	v_fmac_f16_e32 v8, v5, v6
	s_clause 0x1
	global_store_b16 v[3:4], v7, off
	global_store_b16 v[9:10], v8, off
	s_and_not1_b32 exec_lo, exec_lo, s34
	s_cbranch_execnz .LBB26_3
.LBB26_4:
	s_or_b32 exec_lo, exec_lo, s27
	s_load_b128 s[4:7], s[0:1], 0x68
	s_waitcnt lgkmcnt(0)
	s_ashr_i32 s29, s7, 31
	s_mov_b32 s28, s7
	s_delay_alu instid0(SALU_CYCLE_1) | instskip(SKIP_1) | instid1(SALU_CYCLE_1)
	s_or_b64 s[30:31], s[24:25], s[28:29]
	s_mov_b32 s30, 0
	s_cmp_lg_u64 s[30:31], 0
	s_cbranch_scc0 .LBB26_14
; %bb.5:
	s_add_u32 s34, s28, s29
	s_mov_b32 s26, s29
	s_mov_b32 s27, s29
	s_addc_u32 s35, s29, s29
	s_delay_alu instid0(SALU_CYCLE_1) | instskip(NEXT) | instid1(SALU_CYCLE_1)
	s_xor_b64 s[34:35], s[34:35], s[26:27]
	v_cvt_f32_u32_e32 v1, s34
	v_cvt_f32_u32_e32 v2, s35
	s_sub_u32 s31, 0, s34
	s_subb_u32 s36, 0, s35
	s_delay_alu instid0(VALU_DEP_1) | instskip(NEXT) | instid1(VALU_DEP_1)
	v_fmamk_f32 v1, v2, 0x4f800000, v1
	v_rcp_f32_e32 v1, v1
	s_waitcnt_depctr 0xfff
	v_mul_f32_e32 v1, 0x5f7ffffc, v1
	s_delay_alu instid0(VALU_DEP_1) | instskip(NEXT) | instid1(VALU_DEP_1)
	v_mul_f32_e32 v2, 0x2f800000, v1
	v_trunc_f32_e32 v2, v2
	s_delay_alu instid0(VALU_DEP_1) | instskip(SKIP_1) | instid1(VALU_DEP_2)
	v_fmamk_f32 v1, v2, 0xcf800000, v1
	v_cvt_u32_f32_e32 v2, v2
	v_cvt_u32_f32_e32 v1, v1
	s_delay_alu instid0(VALU_DEP_2) | instskip(NEXT) | instid1(VALU_DEP_2)
	v_readfirstlane_b32 s7, v2
	v_readfirstlane_b32 s19, v1
	s_delay_alu instid0(VALU_DEP_2) | instskip(NEXT) | instid1(VALU_DEP_1)
	s_mul_i32 s37, s31, s7
	s_mul_hi_u32 s39, s31, s19
	s_mul_i32 s38, s36, s19
	s_add_i32 s37, s39, s37
	s_mul_i32 s40, s31, s19
	s_add_i32 s37, s37, s38
	s_mul_hi_u32 s39, s19, s40
	s_mul_hi_u32 s41, s7, s40
	s_mul_i32 s38, s7, s40
	s_mul_hi_u32 s40, s19, s37
	s_mul_i32 s19, s19, s37
	s_mul_hi_u32 s42, s7, s37
	s_add_u32 s19, s39, s19
	s_addc_u32 s39, 0, s40
	s_add_u32 s19, s19, s38
	s_mul_i32 s37, s7, s37
	s_addc_u32 s19, s39, s41
	s_addc_u32 s38, s42, 0
	s_add_u32 s19, s19, s37
	s_addc_u32 s37, 0, s38
	v_add_co_u32 v1, s19, v1, s19
	s_delay_alu instid0(VALU_DEP_1) | instskip(SKIP_1) | instid1(VALU_DEP_1)
	s_cmp_lg_u32 s19, 0
	s_addc_u32 s7, s7, s37
	v_readfirstlane_b32 s19, v1
	s_mul_i32 s37, s31, s7
	s_delay_alu instid0(VALU_DEP_1)
	s_mul_hi_u32 s38, s31, s19
	s_mul_i32 s36, s36, s19
	s_add_i32 s37, s38, s37
	s_mul_i32 s31, s31, s19
	s_add_i32 s37, s37, s36
	s_mul_hi_u32 s38, s7, s31
	s_mul_i32 s39, s7, s31
	s_mul_hi_u32 s31, s19, s31
	s_mul_hi_u32 s40, s19, s37
	s_mul_i32 s19, s19, s37
	s_mul_hi_u32 s36, s7, s37
	s_add_u32 s19, s31, s19
	s_addc_u32 s31, 0, s40
	s_add_u32 s19, s19, s39
	s_mul_i32 s37, s7, s37
	s_addc_u32 s19, s31, s38
	s_addc_u32 s31, s36, 0
	s_add_u32 s19, s19, s37
	s_addc_u32 s31, 0, s31
	v_add_co_u32 v1, s19, v1, s19
	s_delay_alu instid0(VALU_DEP_1) | instskip(SKIP_2) | instid1(VALU_DEP_1)
	s_cmp_lg_u32 s19, 0
	s_addc_u32 s7, s7, s31
	s_ashr_i32 s36, s25, 31
	v_readfirstlane_b32 s19, v1
	s_add_u32 s38, s24, s36
	s_mov_b32 s37, s36
	s_addc_u32 s39, s25, s36
	s_delay_alu instid0(SALU_CYCLE_1) | instskip(NEXT) | instid1(SALU_CYCLE_1)
	s_xor_b64 s[38:39], s[38:39], s[36:37]
	s_mul_i32 s40, s38, s7
	s_mul_hi_u32 s41, s38, s19
	s_mul_hi_u32 s31, s38, s7
	;; [unrolled: 1-line block ×3, first 2 shown]
	s_mul_i32 s19, s39, s19
	s_add_u32 s40, s41, s40
	s_addc_u32 s31, 0, s31
	s_mul_hi_u32 s42, s39, s7
	s_add_u32 s19, s40, s19
	s_mul_i32 s7, s39, s7
	s_addc_u32 s19, s31, s43
	s_addc_u32 s31, s42, 0
	s_add_u32 s7, s19, s7
	s_addc_u32 s19, 0, s31
	s_mul_i32 s42, s34, s7
	s_mul_hi_u32 s31, s34, s7
	s_mul_i32 s41, s34, s19
	v_sub_co_u32 v1, s38, s38, s42
	s_mul_i32 s40, s35, s7
	s_add_i32 s31, s31, s41
	s_delay_alu instid0(SALU_CYCLE_1) | instskip(NEXT) | instid1(VALU_DEP_1)
	s_add_i32 s31, s31, s40
	v_sub_co_u32 v2, s41, v1, s34
	s_sub_i32 s40, s39, s31
	s_cmp_lg_u32 s38, 0
	s_subb_u32 s40, s40, s35
	s_cmp_lg_u32 s41, 0
	v_readfirstlane_b32 s41, v2
	s_subb_u32 s40, s40, 0
	s_delay_alu instid0(SALU_CYCLE_1) | instskip(SKIP_1) | instid1(VALU_DEP_1)
	s_cmp_ge_u32 s40, s35
	s_cselect_b32 s42, -1, 0
	s_cmp_ge_u32 s41, s34
	s_cselect_b32 s41, -1, 0
	s_cmp_eq_u32 s40, s35
	s_cselect_b32 s40, s41, s42
	s_add_u32 s41, s7, 1
	s_addc_u32 s42, s19, 0
	s_add_u32 s43, s7, 2
	s_addc_u32 s44, s19, 0
	s_cmp_lg_u32 s40, 0
	s_cselect_b32 s40, s43, s41
	s_cselect_b32 s41, s44, s42
	s_cmp_lg_u32 s38, 0
	v_readfirstlane_b32 s38, v1
	s_subb_u32 s31, s39, s31
	s_delay_alu instid0(SALU_CYCLE_1) | instskip(SKIP_1) | instid1(VALU_DEP_1)
	s_cmp_ge_u32 s31, s35
	s_cselect_b32 s39, -1, 0
	s_cmp_ge_u32 s38, s34
	s_cselect_b32 s34, -1, 0
	s_cmp_eq_u32 s31, s35
	s_cselect_b32 s31, s34, s39
	s_delay_alu instid0(SALU_CYCLE_1) | instskip(SKIP_3) | instid1(SALU_CYCLE_1)
	s_cmp_lg_u32 s31, 0
	s_cselect_b32 s35, s41, s19
	s_cselect_b32 s34, s40, s7
	s_xor_b64 s[26:27], s[36:37], s[26:27]
	s_xor_b64 s[34:35], s[34:35], s[26:27]
	s_delay_alu instid0(SALU_CYCLE_1)
	s_sub_u32 s26, s34, s26
	s_subb_u32 s27, s35, s27
	s_and_not1_b32 vcc_lo, exec_lo, s30
	s_cbranch_vccnz .LBB26_7
.LBB26_6:
	v_cvt_f32_u32_e32 v1, s28
	s_sub_i32 s19, 0, s28
	s_delay_alu instid0(VALU_DEP_1) | instskip(SKIP_2) | instid1(VALU_DEP_1)
	v_rcp_iflag_f32_e32 v1, v1
	s_waitcnt_depctr 0xfff
	v_mul_f32_e32 v1, 0x4f7ffffe, v1
	v_cvt_u32_f32_e32 v1, v1
	s_delay_alu instid0(VALU_DEP_1) | instskip(NEXT) | instid1(VALU_DEP_1)
	v_readfirstlane_b32 s7, v1
	s_mul_i32 s19, s19, s7
	s_delay_alu instid0(SALU_CYCLE_1) | instskip(NEXT) | instid1(SALU_CYCLE_1)
	s_mul_hi_u32 s19, s7, s19
	s_add_i32 s7, s7, s19
	s_delay_alu instid0(SALU_CYCLE_1) | instskip(NEXT) | instid1(SALU_CYCLE_1)
	s_mul_hi_u32 s7, s24, s7
	s_mul_i32 s19, s7, s28
	s_add_i32 s26, s7, 1
	s_sub_i32 s19, s24, s19
	s_delay_alu instid0(SALU_CYCLE_1)
	s_sub_i32 s27, s19, s28
	s_cmp_ge_u32 s19, s28
	s_cselect_b32 s7, s26, s7
	s_cselect_b32 s19, s27, s19
	s_add_i32 s26, s7, 1
	s_cmp_ge_u32 s19, s28
	s_mov_b32 s27, 0
	s_cselect_b32 s26, s26, s7
.LBB26_7:
	s_delay_alu instid0(SALU_CYCLE_1)
	s_mul_i32 s7, s26, s29
	s_mul_hi_u32 s19, s26, s28
	s_mul_hi_u32 s34, s26, s4
	s_add_i32 s7, s19, s7
	s_mul_i32 s19, s27, s28
	s_mul_i32 s28, s26, s28
	s_add_i32 s7, s7, s19
	s_sub_u32 s30, s24, s28
	s_subb_u32 s31, s25, s7
	s_mul_i32 s35, s27, s4
	s_mul_i32 s28, s26, s4
	s_mul_hi_u32 s27, s30, s5
	s_mul_i32 s31, s31, s5
	s_mul_i32 s24, s30, s5
	s_mov_b32 s36, exec_lo
	v_cmpx_gt_i32_e64 s18, v0
	s_cbranch_execz .LBB26_10
; %bb.8:
	s_mul_i32 s7, s2, s9
	s_mul_hi_u32 s9, s2, s8
	s_mul_i32 s8, s2, s8
	s_add_i32 s9, s9, s7
	s_ashr_i32 s19, s18, 31
	s_lshl_b64 s[38:39], s[8:9], 1
	s_load_b32 s37, s[0:1], 0x8c
	s_add_u32 s8, s12, s38
	s_addc_u32 s9, s13, s39
	s_ashr_i32 s7, s4, 31
	s_ashr_i32 s25, s5, 31
	s_mul_i32 s7, s26, s7
	s_mul_i32 s25, s30, s25
	s_add_i32 s7, s34, s7
	s_add_i32 s25, s27, s25
	;; [unrolled: 1-line block ×4, first 2 shown]
	s_lshl_b64 s[40:41], s[28:29], 1
	s_lshl_b64 s[42:43], s[24:25], 1
	v_dual_mov_b32 v2, v0 :: v_dual_lshlrev_b32 v1, 1, v0
	s_add_u32 s44, s40, s42
	s_addc_u32 s45, s41, s43
	s_add_u32 s25, s44, s16
	s_addc_u32 s29, s45, s17
	s_ashr_i32 s7, s6, 31
	s_delay_alu instid0(SALU_CYCLE_1) | instskip(NEXT) | instid1(SALU_CYCLE_1)
	s_lshl_b64 s[40:41], s[6:7], 1
	s_add_u32 s7, s25, s40
	s_addc_u32 s25, s29, s41
	s_waitcnt lgkmcnt(0)
	s_and_b32 s29, s37, 0xffff
	s_lshl_b64 s[42:43], s[18:19], 1
	s_lshl_b32 s19, s29, 1
	s_add_u32 s22, s22, s42
	s_addc_u32 s23, s23, s43
	s_add_u32 s20, s20, s22
	s_addc_u32 s21, s21, s23
	;; [unrolled: 2-line block ×6, first 2 shown]
	s_add_u32 s22, s16, s22
	s_mov_b32 s37, 0
	s_addc_u32 s23, s17, s23
.LBB26_9:                               ; =>This Inner Loop Header: Depth=1
	v_add_co_u32 v3, s38, s3, v1
	s_delay_alu instid0(VALU_DEP_1) | instskip(SKIP_1) | instid1(VALU_DEP_1)
	v_add_co_ci_u32_e64 v4, null, s33, 0, s38
	v_add_co_u32 v5, s38, s20, v1
	v_add_co_ci_u32_e64 v6, null, s21, 0, s38
	v_add_co_u32 v7, s38, s12, v1
	s_delay_alu instid0(VALU_DEP_1) | instskip(SKIP_1) | instid1(VALU_DEP_1)
	v_add_co_ci_u32_e64 v8, null, s13, 0, s38
	v_add_co_u32 v9, s38, s8, v1
	v_add_co_ci_u32_e64 v10, null, s9, 0, s38
	global_load_u16 v11, v[5:6], off
	global_load_u16 v12, v[7:8], off
	;; [unrolled: 1-line block ×4, first 2 shown]
	s_add_u32 s3, s3, s19
	s_addc_u32 s33, s33, 0
	v_add_nc_u32_e32 v2, s29, v2
	s_add_u32 s20, s20, s19
	s_addc_u32 s21, s21, 0
	s_add_u32 s12, s12, s19
	v_add_co_u32 v3, s38, s7, v1
	s_addc_u32 s13, s13, 0
	s_add_u32 s8, s8, s19
	v_add_co_ci_u32_e64 v4, null, s25, 0, s38
	v_add_co_u32 v5, s38, s22, v1
	v_cmp_le_i32_e32 vcc_lo, s18, v2
	s_addc_u32 s9, s9, 0
	s_add_u32 s22, s22, s19
	v_add_co_ci_u32_e64 v6, null, s23, 0, s38
	s_addc_u32 s23, s23, 0
	s_add_u32 s7, s7, s19
	s_addc_u32 s25, s25, 0
	s_or_b32 s37, vcc_lo, s37
	s_waitcnt vmcnt(2)
	v_mul_f16_e32 v15, v11, v12
	s_waitcnt vmcnt(1)
	v_mul_f16_e32 v12, v13, v12
	s_waitcnt vmcnt(0)
	s_delay_alu instid0(VALU_DEP_2) | instskip(NEXT) | instid1(VALU_DEP_2)
	v_fma_f16 v13, v13, v14, -v15
	v_fmac_f16_e32 v12, v11, v14
	global_store_b16 v[9:10], v13, off
	global_store_b16 v[7:8], v12, off
	;; [unrolled: 1-line block ×4, first 2 shown]
	s_and_not1_b32 exec_lo, exec_lo, s37
	s_cbranch_execnz .LBB26_9
.LBB26_10:
	s_or_b32 exec_lo, exec_lo, s36
	s_delay_alu instid0(SALU_CYCLE_1)
	s_mov_b32 s3, exec_lo
	v_cmpx_gt_i32_e64 s6, v0
	s_cbranch_execz .LBB26_13
; %bb.11:
	s_mul_i32 s3, s2, s11
	s_mul_hi_u32 s7, s2, s10
	s_mul_i32 s2, s2, s10
	s_add_i32 s3, s7, s3
	s_load_b32 s7, s[0:1], 0x8c
	s_lshl_b64 s[2:3], s[2:3], 1
	s_delay_alu instid0(SALU_CYCLE_1) | instskip(SKIP_2) | instid1(SALU_CYCLE_1)
	s_add_u32 s2, s14, s2
	s_addc_u32 s3, s15, s3
	s_ashr_i32 s4, s4, 31
	s_mul_i32 s4, s26, s4
	s_delay_alu instid0(SALU_CYCLE_1) | instskip(NEXT) | instid1(SALU_CYCLE_1)
	s_add_i32 s0, s34, s4
	s_add_i32 s29, s0, s35
	s_delay_alu instid0(SALU_CYCLE_1) | instskip(NEXT) | instid1(SALU_CYCLE_1)
	s_lshl_b64 s[0:1], s[28:29], 1
	s_add_u32 s0, s16, s0
	s_addc_u32 s8, s17, s1
	s_ashr_i32 s1, s5, 31
	s_delay_alu instid0(SALU_CYCLE_1) | instskip(NEXT) | instid1(SALU_CYCLE_1)
	s_mul_i32 s30, s30, s1
	s_add_i32 s1, s27, s30
	s_delay_alu instid0(SALU_CYCLE_1) | instskip(NEXT) | instid1(SALU_CYCLE_1)
	s_add_i32 s25, s1, s31
	s_lshl_b64 s[4:5], s[24:25], 1
	s_delay_alu instid0(SALU_CYCLE_1)
	s_add_u32 s1, s0, s4
	s_addc_u32 s4, s8, s5
	s_waitcnt lgkmcnt(0)
	s_and_b32 s5, s7, 0xffff
	s_mov_b32 s7, 0
	.p2align	6
.LBB26_12:                              ; =>This Inner Loop Header: Depth=1
	v_ashrrev_i32_e32 v1, 31, v0
	s_delay_alu instid0(VALU_DEP_1) | instskip(SKIP_1) | instid1(VALU_DEP_2)
	v_lshlrev_b64 v[1:2], 1, v[0:1]
	v_add_nc_u32_e32 v0, s5, v0
	v_add_co_u32 v3, vcc_lo, s2, v1
	s_delay_alu instid0(VALU_DEP_3) | instskip(NEXT) | instid1(VALU_DEP_3)
	v_add_co_ci_u32_e32 v4, vcc_lo, s3, v2, vcc_lo
	v_cmp_le_i32_e32 vcc_lo, s6, v0
	v_add_co_u32 v1, s0, s1, v1
	global_load_u16 v3, v[3:4], off
	v_add_co_ci_u32_e64 v2, s0, s4, v2, s0
	s_or_b32 s7, vcc_lo, s7
	s_waitcnt vmcnt(0)
	global_store_b16 v[1:2], v3, off
	s_and_not1_b32 exec_lo, exec_lo, s7
	s_cbranch_execnz .LBB26_12
.LBB26_13:
	s_nop 0
	s_sendmsg sendmsg(MSG_DEALLOC_VGPRS)
	s_endpgm
.LBB26_14:
                                        ; implicit-def: $sgpr26_sgpr27
	s_branch .LBB26_6
	.section	.rodata,"a",@progbits
	.p2align	6, 0x0
	.amdhsa_kernel _ZN4vllm38concat_and_cache_mla_rope_fused_kernelIN3c104HalfES2_Lb1EttLNS_18Fp8KVCacheDataTypeE0EEEvPKlPT_S7_PKS6_PKT0_illlliPT3_S5_iiiiPKf
		.amdhsa_group_segment_fixed_size 0
		.amdhsa_private_segment_fixed_size 0
		.amdhsa_kernarg_size 384
		.amdhsa_user_sgpr_count 15
		.amdhsa_user_sgpr_dispatch_ptr 0
		.amdhsa_user_sgpr_queue_ptr 0
		.amdhsa_user_sgpr_kernarg_segment_ptr 1
		.amdhsa_user_sgpr_dispatch_id 0
		.amdhsa_user_sgpr_private_segment_size 0
		.amdhsa_wavefront_size32 1
		.amdhsa_uses_dynamic_stack 0
		.amdhsa_enable_private_segment 0
		.amdhsa_system_sgpr_workgroup_id_x 1
		.amdhsa_system_sgpr_workgroup_id_y 0
		.amdhsa_system_sgpr_workgroup_id_z 0
		.amdhsa_system_sgpr_workgroup_info 0
		.amdhsa_system_vgpr_workitem_id 0
		.amdhsa_next_free_vgpr 16
		.amdhsa_next_free_sgpr 46
		.amdhsa_reserve_vcc 1
		.amdhsa_float_round_mode_32 0
		.amdhsa_float_round_mode_16_64 0
		.amdhsa_float_denorm_mode_32 3
		.amdhsa_float_denorm_mode_16_64 3
		.amdhsa_dx10_clamp 1
		.amdhsa_ieee_mode 1
		.amdhsa_fp16_overflow 0
		.amdhsa_workgroup_processor_mode 1
		.amdhsa_memory_ordered 1
		.amdhsa_forward_progress 0
		.amdhsa_shared_vgpr_count 0
		.amdhsa_exception_fp_ieee_invalid_op 0
		.amdhsa_exception_fp_denorm_src 0
		.amdhsa_exception_fp_ieee_div_zero 0
		.amdhsa_exception_fp_ieee_overflow 0
		.amdhsa_exception_fp_ieee_underflow 0
		.amdhsa_exception_fp_ieee_inexact 0
		.amdhsa_exception_int_div_zero 0
	.end_amdhsa_kernel
	.section	.text._ZN4vllm38concat_and_cache_mla_rope_fused_kernelIN3c104HalfES2_Lb1EttLNS_18Fp8KVCacheDataTypeE0EEEvPKlPT_S7_PKS6_PKT0_illlliPT3_S5_iiiiPKf,"axG",@progbits,_ZN4vllm38concat_and_cache_mla_rope_fused_kernelIN3c104HalfES2_Lb1EttLNS_18Fp8KVCacheDataTypeE0EEEvPKlPT_S7_PKS6_PKT0_illlliPT3_S5_iiiiPKf,comdat
.Lfunc_end26:
	.size	_ZN4vllm38concat_and_cache_mla_rope_fused_kernelIN3c104HalfES2_Lb1EttLNS_18Fp8KVCacheDataTypeE0EEEvPKlPT_S7_PKS6_PKT0_illlliPT3_S5_iiiiPKf, .Lfunc_end26-_ZN4vllm38concat_and_cache_mla_rope_fused_kernelIN3c104HalfES2_Lb1EttLNS_18Fp8KVCacheDataTypeE0EEEvPKlPT_S7_PKS6_PKT0_illlliPT3_S5_iiiiPKf
                                        ; -- End function
	.section	.AMDGPU.csdata,"",@progbits
; Kernel info:
; codeLenInByte = 2336
; NumSgprs: 48
; NumVgprs: 16
; ScratchSize: 0
; MemoryBound: 0
; FloatMode: 240
; IeeeMode: 1
; LDSByteSize: 0 bytes/workgroup (compile time only)
; SGPRBlocks: 5
; VGPRBlocks: 1
; NumSGPRsForWavesPerEU: 48
; NumVGPRsForWavesPerEU: 16
; Occupancy: 16
; WaveLimiterHint : 1
; COMPUTE_PGM_RSRC2:SCRATCH_EN: 0
; COMPUTE_PGM_RSRC2:USER_SGPR: 15
; COMPUTE_PGM_RSRC2:TRAP_HANDLER: 0
; COMPUTE_PGM_RSRC2:TGID_X_EN: 1
; COMPUTE_PGM_RSRC2:TGID_Y_EN: 0
; COMPUTE_PGM_RSRC2:TGID_Z_EN: 0
; COMPUTE_PGM_RSRC2:TIDIG_COMP_CNT: 0
	.section	.text._ZN4vllm38concat_and_cache_mla_rope_fused_kernelIN3c104HalfES2_Lb0EttLNS_18Fp8KVCacheDataTypeE0EEEvPKlPT_S7_PKS6_PKT0_illlliPT3_S5_iiiiPKf,"axG",@progbits,_ZN4vllm38concat_and_cache_mla_rope_fused_kernelIN3c104HalfES2_Lb0EttLNS_18Fp8KVCacheDataTypeE0EEEvPKlPT_S7_PKS6_PKT0_illlliPT3_S5_iiiiPKf,comdat
	.protected	_ZN4vllm38concat_and_cache_mla_rope_fused_kernelIN3c104HalfES2_Lb0EttLNS_18Fp8KVCacheDataTypeE0EEEvPKlPT_S7_PKS6_PKT0_illlliPT3_S5_iiiiPKf ; -- Begin function _ZN4vllm38concat_and_cache_mla_rope_fused_kernelIN3c104HalfES2_Lb0EttLNS_18Fp8KVCacheDataTypeE0EEEvPKlPT_S7_PKS6_PKT0_illlliPT3_S5_iiiiPKf
	.globl	_ZN4vllm38concat_and_cache_mla_rope_fused_kernelIN3c104HalfES2_Lb0EttLNS_18Fp8KVCacheDataTypeE0EEEvPKlPT_S7_PKS6_PKT0_illlliPT3_S5_iiiiPKf
	.p2align	8
	.type	_ZN4vllm38concat_and_cache_mla_rope_fused_kernelIN3c104HalfES2_Lb0EttLNS_18Fp8KVCacheDataTypeE0EEEvPKlPT_S7_PKS6_PKT0_illlliPT3_S5_iiiiPKf,@function
_ZN4vllm38concat_and_cache_mla_rope_fused_kernelIN3c104HalfES2_Lb0EttLNS_18Fp8KVCacheDataTypeE0EEEvPKlPT_S7_PKS6_PKT0_illlliPT3_S5_iiiiPKf: ; @_ZN4vllm38concat_and_cache_mla_rope_fused_kernelIN3c104HalfES2_Lb0EttLNS_18Fp8KVCacheDataTypeE0EEEvPKlPT_S7_PKS6_PKT0_illlliPT3_S5_iiiiPKf
; %bb.0:
	s_load_b64 s[6:7], s[0:1], 0x60
	s_mov_b32 s2, s15
	s_mov_b32 s3, 0
	s_delay_alu instid0(SALU_CYCLE_1)
	s_lshl_b64 s[4:5], s[2:3], 3
	s_waitcnt lgkmcnt(0)
	s_add_u32 s6, s6, s4
	s_addc_u32 s7, s7, s5
	s_load_b64 s[22:23], s[6:7], 0x0
	s_waitcnt lgkmcnt(0)
	v_cmp_lt_i64_e64 s3, s[22:23], 0
	s_delay_alu instid0(VALU_DEP_1)
	s_and_b32 vcc_lo, exec_lo, s3
	s_cbranch_vccnz .LBB27_13
; %bb.1:
	s_clause 0x3
	s_load_b32 s19, s[0:1], 0x28
	s_load_b64 s[6:7], s[0:1], 0x0
	s_load_b128 s[12:15], s[0:1], 0x10
	s_load_b32 s3, s[0:1], 0x50
	v_lshlrev_b32_e32 v3, 1, v0
	s_waitcnt lgkmcnt(0)
	s_ashr_i32 s26, s19, 31
	s_add_u32 s4, s6, s4
	s_addc_u32 s5, s7, s5
	s_lshr_b32 s18, s19, 31
	s_load_b64 s[24:25], s[4:5], 0x0
	s_clause 0x2
	s_load_b64 s[20:21], s[0:1], 0x20
	s_load_b64 s[16:17], s[0:1], 0x58
	s_load_b256 s[4:11], s[0:1], 0x30
	s_add_i32 s18, s19, s18
	s_delay_alu instid0(SALU_CYCLE_1) | instskip(NEXT) | instid1(SALU_CYCLE_1)
	s_ashr_i32 s18, s18, 1
	s_mul_i32 s3, s18, s3
	s_waitcnt lgkmcnt(0)
	s_mul_i32 s26, s24, s26
	s_mul_hi_u32 s27, s24, s19
	s_mul_i32 s25, s25, s19
	s_add_i32 s26, s27, s26
	s_mul_i32 s24, s24, s19
	s_add_i32 s25, s26, s25
	s_mov_b32 s26, exec_lo
	v_cmpx_gt_i32_e64 s3, v0
	s_cbranch_execz .LBB27_4
; %bb.2:
	s_clause 0x1
	s_load_b64 s[30:31], s[0:1], 0x8
	s_load_b32 s34, s[0:1], 0x8c
	s_lshl_b64 s[28:29], s[24:25], 1
	s_mul_i32 s5, s2, s5
	s_mul_hi_u32 s19, s2, s4
	s_add_u32 s27, s20, s28
	s_mul_i32 s4, s2, s4
	s_addc_u32 s28, s21, s29
	s_add_i32 s5, s19, s5
	s_ashr_i32 s19, s18, 31
	s_lshl_b64 s[4:5], s[4:5], 1
	s_mov_b32 s33, 0
	s_waitcnt lgkmcnt(0)
	s_add_u32 s29, s30, s4
	s_addc_u32 s30, s31, s5
	s_abs_i32 s31, s18
	s_and_b32 s34, s34, 0xffff
	v_cvt_f32_u32_e32 v1, s31
	s_sub_i32 s4, 0, s31
	s_sub_i32 s35, 0, s18
	s_lshl_b32 s37, s34, 1
	s_delay_alu instid0(VALU_DEP_1) | instskip(SKIP_2) | instid1(VALU_DEP_1)
	v_rcp_iflag_f32_e32 v1, v1
	s_waitcnt_depctr 0xfff
	v_mul_f32_e32 v1, 0x4f7ffffe, v1
	v_cvt_u32_f32_e32 v2, v1
	s_delay_alu instid0(VALU_DEP_1) | instskip(SKIP_1) | instid1(SALU_CYCLE_1)
	v_mul_lo_u32 v1, s4, v2
	s_lshl_b32 s4, s18, 1
	s_sub_i32 s36, 0, s4
	s_lshl_b64 s[4:5], s[18:19], 1
	s_delay_alu instid0(VALU_DEP_1) | instskip(NEXT) | instid1(VALU_DEP_1)
	v_mul_hi_u32 v4, v2, v1
	v_dual_mov_b32 v1, v3 :: v_dual_add_nc_u32 v4, v2, v4
	v_mov_b32_e32 v2, v0
.LBB27_3:                               ; =>This Inner Loop Header: Depth=1
	s_delay_alu instid0(VALU_DEP_1) | instskip(SKIP_1) | instid1(VALU_DEP_2)
	v_sub_nc_u32_e32 v5, 0, v2
	v_ashrrev_i32_e32 v6, 31, v2
	v_max_i32_e32 v5, v2, v5
	s_delay_alu instid0(VALU_DEP_2) | instskip(NEXT) | instid1(VALU_DEP_2)
	v_xor_b32_e32 v6, s19, v6
	v_mul_hi_u32 v7, v5, v4
	s_delay_alu instid0(VALU_DEP_1) | instskip(SKIP_1) | instid1(VALU_DEP_2)
	v_mul_lo_u32 v8, v7, s31
	v_add_nc_u32_e32 v9, 1, v7
	v_sub_nc_u32_e32 v5, v5, v8
	s_delay_alu instid0(VALU_DEP_1) | instskip(SKIP_1) | instid1(VALU_DEP_4)
	v_subrev_nc_u32_e32 v8, s31, v5
	v_cmp_le_u32_e32 vcc_lo, s31, v5
	v_cndmask_b32_e32 v7, v7, v9, vcc_lo
	s_delay_alu instid0(VALU_DEP_1) | instskip(NEXT) | instid1(VALU_DEP_1)
	v_dual_cndmask_b32 v5, v5, v8 :: v_dual_add_nc_u32 v8, 1, v7
	v_cmp_le_u32_e32 vcc_lo, s31, v5
	s_delay_alu instid0(VALU_DEP_2) | instskip(NEXT) | instid1(VALU_DEP_1)
	v_cndmask_b32_e32 v5, v7, v8, vcc_lo
	v_xor_b32_e32 v5, v5, v6
	s_delay_alu instid0(VALU_DEP_1) | instskip(NEXT) | instid1(VALU_DEP_1)
	v_sub_nc_u32_e32 v11, v5, v6
	v_mad_u64_u32 v[5:6], null, s35, v11, v[2:3]
	v_ashrrev_i32_e32 v6, 31, v11
	v_mul_lo_u32 v12, v11, s7
	v_mad_u64_u32 v[7:8], null, v11, s6, 0
	v_mad_u64_u32 v[9:10], null, s36, v11, v[1:2]
	s_delay_alu instid0(VALU_DEP_4) | instskip(SKIP_3) | instid1(VALU_DEP_3)
	v_mul_lo_u32 v11, v6, s6
	v_ashrrev_i32_e32 v6, 31, v5
	v_add_nc_u32_e32 v2, s34, v2
	v_add_nc_u32_e32 v1, s37, v1
	v_lshlrev_b64 v[5:6], 1, v[5:6]
	v_ashrrev_i32_e32 v10, 31, v9
	v_add3_u32 v8, v8, v12, v11
	s_delay_alu instid0(VALU_DEP_3) | instskip(NEXT) | instid1(VALU_DEP_2)
	v_add_co_u32 v5, vcc_lo, s27, v5
	v_lshlrev_b64 v[7:8], 1, v[7:8]
	s_delay_alu instid0(VALU_DEP_4) | instskip(SKIP_1) | instid1(VALU_DEP_3)
	v_lshlrev_b64 v[9:10], 1, v[9:10]
	v_add_co_ci_u32_e32 v6, vcc_lo, s28, v6, vcc_lo
	v_add_co_u32 v7, vcc_lo, s29, v7
	s_delay_alu instid0(VALU_DEP_4) | instskip(NEXT) | instid1(VALU_DEP_2)
	v_add_co_ci_u32_e32 v8, vcc_lo, s30, v8, vcc_lo
	v_add_co_u32 v7, vcc_lo, v7, v9
	s_delay_alu instid0(VALU_DEP_2)
	v_add_co_ci_u32_e32 v8, vcc_lo, v8, v10, vcc_lo
	v_add_co_u32 v9, vcc_lo, v5, s4
	v_add_co_ci_u32_e32 v10, vcc_lo, s5, v6, vcc_lo
	global_load_b32 v11, v[7:8], off
	s_clause 0x1
	global_load_u16 v5, v[5:6], off
	global_load_u16 v6, v[9:10], off
	v_cmp_le_i32_e32 vcc_lo, s3, v2
	s_or_b32 s33, vcc_lo, s33
	s_waitcnt vmcnt(2)
	v_lshrrev_b32_e32 v9, 16, v11
	s_waitcnt vmcnt(0)
	s_delay_alu instid0(VALU_DEP_1) | instskip(SKIP_1) | instid1(VALU_DEP_2)
	v_mul_f16_e32 v10, v6, v9
	v_mul_f16_e32 v9, v5, v9
	v_fma_f16 v5, v5, v11, -v10
	s_delay_alu instid0(VALU_DEP_2) | instskip(NEXT) | instid1(VALU_DEP_1)
	v_fmac_f16_e32 v9, v6, v11
	v_pack_b32_f16 v5, v5, v9
	global_store_b32 v[7:8], v5, off
	s_and_not1_b32 exec_lo, exec_lo, s33
	s_cbranch_execnz .LBB27_3
.LBB27_4:
	s_or_b32 exec_lo, exec_lo, s26
	s_load_b128 s[4:7], s[0:1], 0x68
	s_waitcnt lgkmcnt(0)
	s_ashr_i32 s27, s7, 31
	s_mov_b32 s26, s7
	s_delay_alu instid0(SALU_CYCLE_1) | instskip(SKIP_1) | instid1(SALU_CYCLE_1)
	s_or_b64 s[30:31], s[22:23], s[26:27]
	s_mov_b32 s30, 0
	s_cmp_lg_u64 s[30:31], 0
	s_cbranch_scc0 .LBB27_14
; %bb.5:
	s_add_u32 s34, s26, s27
	s_mov_b32 s28, s27
	s_mov_b32 s29, s27
	s_addc_u32 s35, s27, s27
	s_delay_alu instid0(SALU_CYCLE_1) | instskip(NEXT) | instid1(SALU_CYCLE_1)
	s_xor_b64 s[34:35], s[34:35], s[28:29]
	v_cvt_f32_u32_e32 v1, s34
	v_cvt_f32_u32_e32 v2, s35
	s_sub_u32 s19, 0, s34
	s_subb_u32 s31, 0, s35
	s_delay_alu instid0(VALU_DEP_1) | instskip(NEXT) | instid1(VALU_DEP_1)
	v_fmamk_f32 v1, v2, 0x4f800000, v1
	v_rcp_f32_e32 v1, v1
	s_waitcnt_depctr 0xfff
	v_mul_f32_e32 v1, 0x5f7ffffc, v1
	s_delay_alu instid0(VALU_DEP_1) | instskip(NEXT) | instid1(VALU_DEP_1)
	v_mul_f32_e32 v2, 0x2f800000, v1
	v_trunc_f32_e32 v2, v2
	s_delay_alu instid0(VALU_DEP_1) | instskip(SKIP_1) | instid1(VALU_DEP_2)
	v_fmamk_f32 v1, v2, 0xcf800000, v1
	v_cvt_u32_f32_e32 v2, v2
	v_cvt_u32_f32_e32 v1, v1
	s_delay_alu instid0(VALU_DEP_2) | instskip(NEXT) | instid1(VALU_DEP_2)
	v_readfirstlane_b32 s3, v2
	v_readfirstlane_b32 s7, v1
	s_delay_alu instid0(VALU_DEP_2) | instskip(NEXT) | instid1(VALU_DEP_1)
	s_mul_i32 s33, s19, s3
	s_mul_hi_u32 s37, s19, s7
	s_mul_i32 s36, s31, s7
	s_add_i32 s33, s37, s33
	s_mul_i32 s38, s19, s7
	s_add_i32 s33, s33, s36
	s_mul_hi_u32 s37, s7, s38
	s_mul_hi_u32 s39, s3, s38
	s_mul_i32 s36, s3, s38
	s_mul_hi_u32 s38, s7, s33
	s_mul_i32 s7, s7, s33
	s_mul_hi_u32 s40, s3, s33
	s_add_u32 s7, s37, s7
	s_addc_u32 s37, 0, s38
	s_add_u32 s7, s7, s36
	s_mul_i32 s33, s3, s33
	s_addc_u32 s7, s37, s39
	s_addc_u32 s36, s40, 0
	s_add_u32 s7, s7, s33
	s_addc_u32 s33, 0, s36
	v_add_co_u32 v1, s7, v1, s7
	s_delay_alu instid0(VALU_DEP_1) | instskip(SKIP_1) | instid1(VALU_DEP_1)
	s_cmp_lg_u32 s7, 0
	s_addc_u32 s3, s3, s33
	v_readfirstlane_b32 s7, v1
	s_mul_i32 s33, s19, s3
	s_delay_alu instid0(VALU_DEP_1)
	s_mul_hi_u32 s36, s19, s7
	s_mul_i32 s31, s31, s7
	s_add_i32 s33, s36, s33
	s_mul_i32 s19, s19, s7
	s_add_i32 s33, s33, s31
	s_mul_hi_u32 s36, s3, s19
	s_mul_i32 s37, s3, s19
	s_mul_hi_u32 s19, s7, s19
	s_mul_hi_u32 s38, s7, s33
	s_mul_i32 s7, s7, s33
	s_mul_hi_u32 s31, s3, s33
	s_add_u32 s7, s19, s7
	s_addc_u32 s19, 0, s38
	s_add_u32 s7, s7, s37
	s_mul_i32 s33, s3, s33
	s_addc_u32 s7, s19, s36
	s_addc_u32 s19, s31, 0
	s_add_u32 s7, s7, s33
	s_addc_u32 s19, 0, s19
	v_add_co_u32 v1, s7, v1, s7
	s_delay_alu instid0(VALU_DEP_1) | instskip(SKIP_2) | instid1(VALU_DEP_1)
	s_cmp_lg_u32 s7, 0
	s_addc_u32 s3, s3, s19
	s_ashr_i32 s36, s23, 31
	v_readfirstlane_b32 s7, v1
	s_add_u32 s38, s22, s36
	s_mov_b32 s37, s36
	s_addc_u32 s39, s23, s36
	s_delay_alu instid0(SALU_CYCLE_1) | instskip(NEXT) | instid1(SALU_CYCLE_1)
	s_xor_b64 s[38:39], s[38:39], s[36:37]
	s_mul_i32 s31, s38, s3
	s_mul_hi_u32 s33, s38, s7
	s_mul_hi_u32 s19, s38, s3
	;; [unrolled: 1-line block ×3, first 2 shown]
	s_mul_i32 s7, s39, s7
	s_add_u32 s31, s33, s31
	s_addc_u32 s19, 0, s19
	s_mul_hi_u32 s40, s39, s3
	s_add_u32 s7, s31, s7
	s_mul_i32 s3, s39, s3
	s_addc_u32 s7, s19, s41
	s_addc_u32 s19, s40, 0
	s_add_u32 s3, s7, s3
	s_addc_u32 s7, 0, s19
	s_mul_hi_u32 s19, s34, s3
	s_mul_i32 s33, s34, s7
	s_mul_i32 s40, s34, s3
	s_add_i32 s19, s19, s33
	v_sub_co_u32 v1, s33, s38, s40
	s_mul_i32 s31, s35, s3
	s_delay_alu instid0(SALU_CYCLE_1) | instskip(NEXT) | instid1(VALU_DEP_1)
	s_add_i32 s19, s19, s31
	v_sub_co_u32 v2, s38, v1, s34
	s_sub_i32 s31, s39, s19
	s_cmp_lg_u32 s33, 0
	s_subb_u32 s31, s31, s35
	s_cmp_lg_u32 s38, 0
	v_readfirstlane_b32 s38, v2
	s_subb_u32 s31, s31, 0
	s_delay_alu instid0(SALU_CYCLE_1) | instskip(SKIP_1) | instid1(VALU_DEP_1)
	s_cmp_ge_u32 s31, s35
	s_cselect_b32 s40, -1, 0
	s_cmp_ge_u32 s38, s34
	s_cselect_b32 s38, -1, 0
	s_cmp_eq_u32 s31, s35
	s_cselect_b32 s31, s38, s40
	s_add_u32 s38, s3, 1
	s_addc_u32 s40, s7, 0
	s_add_u32 s41, s3, 2
	s_addc_u32 s42, s7, 0
	s_cmp_lg_u32 s31, 0
	s_cselect_b32 s31, s41, s38
	s_cselect_b32 s38, s42, s40
	s_cmp_lg_u32 s33, 0
	v_readfirstlane_b32 s33, v1
	s_subb_u32 s19, s39, s19
	s_delay_alu instid0(SALU_CYCLE_1) | instskip(SKIP_1) | instid1(VALU_DEP_1)
	s_cmp_ge_u32 s19, s35
	s_cselect_b32 s39, -1, 0
	s_cmp_ge_u32 s33, s34
	s_cselect_b32 s33, -1, 0
	s_cmp_eq_u32 s19, s35
	s_cselect_b32 s19, s33, s39
	s_delay_alu instid0(SALU_CYCLE_1) | instskip(SKIP_3) | instid1(SALU_CYCLE_1)
	s_cmp_lg_u32 s19, 0
	s_cselect_b32 s35, s38, s7
	s_cselect_b32 s34, s31, s3
	s_xor_b64 s[28:29], s[36:37], s[28:29]
	s_xor_b64 s[34:35], s[34:35], s[28:29]
	s_delay_alu instid0(SALU_CYCLE_1)
	s_sub_u32 s28, s34, s28
	s_subb_u32 s29, s35, s29
	s_and_not1_b32 vcc_lo, exec_lo, s30
	s_cbranch_vccnz .LBB27_7
.LBB27_6:
	v_cvt_f32_u32_e32 v1, s26
	s_sub_i32 s7, 0, s26
	s_mov_b32 s29, 0
	s_delay_alu instid0(VALU_DEP_1) | instskip(SKIP_2) | instid1(VALU_DEP_1)
	v_rcp_iflag_f32_e32 v1, v1
	s_waitcnt_depctr 0xfff
	v_mul_f32_e32 v1, 0x4f7ffffe, v1
	v_cvt_u32_f32_e32 v1, v1
	s_delay_alu instid0(VALU_DEP_1) | instskip(NEXT) | instid1(VALU_DEP_1)
	v_readfirstlane_b32 s3, v1
	s_mul_i32 s7, s7, s3
	s_delay_alu instid0(SALU_CYCLE_1) | instskip(NEXT) | instid1(SALU_CYCLE_1)
	s_mul_hi_u32 s7, s3, s7
	s_add_i32 s3, s3, s7
	s_delay_alu instid0(SALU_CYCLE_1) | instskip(NEXT) | instid1(SALU_CYCLE_1)
	s_mul_hi_u32 s3, s22, s3
	s_mul_i32 s7, s3, s26
	s_add_i32 s19, s3, 1
	s_sub_i32 s7, s22, s7
	s_delay_alu instid0(SALU_CYCLE_1)
	s_sub_i32 s28, s7, s26
	s_cmp_ge_u32 s7, s26
	s_cselect_b32 s3, s19, s3
	s_cselect_b32 s7, s28, s7
	s_add_i32 s19, s3, 1
	s_cmp_ge_u32 s7, s26
	s_cselect_b32 s28, s19, s3
.LBB27_7:
	s_delay_alu instid0(SALU_CYCLE_1)
	s_mul_i32 s3, s28, s27
	s_mul_hi_u32 s7, s28, s26
	s_mul_i32 s19, s28, s26
	s_add_i32 s3, s7, s3
	s_mul_i32 s7, s29, s26
	s_mul_hi_u32 s31, s28, s4
	s_add_i32 s7, s3, s7
	s_sub_u32 s3, s22, s19
	s_subb_u32 s30, s23, s7
	s_mul_i32 s33, s29, s4
	s_mul_i32 s26, s28, s4
	s_mul_hi_u32 s29, s3, s5
	s_mul_i32 s30, s30, s5
	s_mul_i32 s22, s3, s5
	s_mov_b32 s34, exec_lo
	v_cmpx_gt_i32_e64 s18, v0
	s_cbranch_execz .LBB27_10
; %bb.8:
	s_load_b32 s23, s[0:1], 0x8c
	s_ashr_i32 s27, s4, 31
	s_ashr_i32 s35, s5, 31
	s_lshl_b64 s[36:37], s[24:25], 1
	s_ashr_i32 s19, s18, 31
	s_ashr_i32 s7, s6, 31
	s_mul_i32 s25, s9, s2
	s_mul_hi_u32 s39, s8, s2
	s_mul_i32 s38, s8, s2
	s_mul_i32 s8, s28, s27
	;; [unrolled: 1-line block ×3, first 2 shown]
	v_lshlrev_b32_e32 v5, 2, v0
	v_mov_b32_e32 v7, v0
	s_waitcnt lgkmcnt(0)
	s_and_b32 s24, s23, 0xffff
	s_add_u32 s35, s20, s36
	s_addc_u32 s21, s21, s37
	s_add_i32 s8, s31, s8
	s_add_i32 s9, s29, s9
	;; [unrolled: 1-line block ×4, first 2 shown]
	s_lshl_b64 s[36:37], s[26:27], 1
	s_lshl_b64 s[40:41], s[22:23], 1
	s_lshl_b32 s20, s24, 1
	s_lshl_b64 s[8:9], s[18:19], 1
	s_add_u32 s19, s36, s40
	s_addc_u32 s23, s37, s41
	s_lshl_b64 s[36:37], s[6:7], 1
	v_add_co_u32 v1, s7, s35, v3
	s_delay_alu instid0(VALU_DEP_1)
	v_add_co_ci_u32_e64 v2, null, s21, 0, s7
	s_add_u32 s7, s16, s36
	s_addc_u32 s21, s17, s37
	s_add_u32 s7, s7, s19
	s_addc_u32 s19, s21, s23
	s_add_i32 s39, s39, s25
	v_add_co_u32 v3, s7, s7, v5
	s_lshl_b64 s[36:37], s[38:39], 1
	v_add_co_ci_u32_e64 v4, null, s19, 0, s7
	s_lshl_b32 s7, s24, 2
	s_add_u32 s12, s12, s36
	v_add_co_u32 v3, vcc_lo, v3, 2
	s_addc_u32 s13, s13, s37
	v_add_co_u32 v5, s12, s12, v5
	v_add_co_ci_u32_e32 v4, vcc_lo, 0, v4, vcc_lo
	v_add_co_ci_u32_e64 v6, null, s13, 0, s12
	s_mov_b32 s19, 0
	s_mov_b64 s[12:13], 0
	s_set_inst_prefetch_distance 0x1
	.p2align	6
.LBB27_9:                               ; =>This Inner Loop Header: Depth=1
	v_add_co_u32 v8, vcc_lo, v5, s12
	v_add_co_ci_u32_e32 v9, vcc_lo, s13, v6, vcc_lo
	v_add_co_u32 v10, vcc_lo, v1, s8
	v_add_co_ci_u32_e32 v11, vcc_lo, s9, v2, vcc_lo
	global_load_b32 v12, v[8:9], off
	s_clause 0x1
	global_load_u16 v13, v[1:2], off
	global_load_u16 v14, v[10:11], off
	v_add_co_u32 v10, vcc_lo, v3, s12
	v_add_nc_u32_e32 v7, s24, v7
	v_add_co_ci_u32_e32 v11, vcc_lo, s13, v4, vcc_lo
	v_add_co_u32 v1, vcc_lo, v1, s20
	v_add_co_ci_u32_e32 v2, vcc_lo, 0, v2, vcc_lo
	s_delay_alu instid0(VALU_DEP_4)
	v_cmp_le_i32_e32 vcc_lo, s18, v7
	s_add_u32 s12, s12, s7
	s_addc_u32 s13, s13, 0
	s_or_b32 s19, vcc_lo, s19
	s_waitcnt vmcnt(2)
	v_lshrrev_b32_e32 v15, 16, v12
	s_waitcnt vmcnt(0)
	s_delay_alu instid0(VALU_DEP_1) | instskip(SKIP_1) | instid1(VALU_DEP_2)
	v_mul_f16_e32 v16, v14, v15
	v_mul_f16_e32 v15, v13, v15
	v_fma_f16 v13, v13, v12, -v16
	s_delay_alu instid0(VALU_DEP_2) | instskip(NEXT) | instid1(VALU_DEP_1)
	v_fmac_f16_e32 v15, v14, v12
	v_pack_b32_f16 v12, v13, v15
	global_store_b32 v[8:9], v12, off
	global_store_b32 v[10:11], v12, off offset:-2
	s_and_not1_b32 exec_lo, exec_lo, s19
	s_cbranch_execnz .LBB27_9
.LBB27_10:
	s_set_inst_prefetch_distance 0x2
	s_or_b32 exec_lo, exec_lo, s34
	s_delay_alu instid0(SALU_CYCLE_1)
	s_mov_b32 s7, exec_lo
	v_cmpx_gt_i32_e64 s6, v0
	s_cbranch_execz .LBB27_13
; %bb.11:
	s_mul_i32 s7, s2, s11
	s_mul_hi_u32 s9, s2, s10
	s_mul_i32 s8, s2, s10
	s_add_i32 s9, s9, s7
	s_delay_alu instid0(SALU_CYCLE_1) | instskip(NEXT) | instid1(SALU_CYCLE_1)
	s_lshl_b64 s[8:9], s[8:9], 1
	s_add_u32 s2, s14, s8
	s_addc_u32 s7, s15, s9
	s_ashr_i32 s4, s4, 31
	s_load_b32 s8, s[0:1], 0x8c
	s_mul_i32 s4, s28, s4
	s_delay_alu instid0(SALU_CYCLE_1) | instskip(NEXT) | instid1(SALU_CYCLE_1)
	s_add_i32 s0, s31, s4
	s_add_i32 s27, s0, s33
	s_delay_alu instid0(SALU_CYCLE_1) | instskip(NEXT) | instid1(SALU_CYCLE_1)
	s_lshl_b64 s[0:1], s[26:27], 1
	s_add_u32 s0, s16, s0
	s_addc_u32 s9, s17, s1
	s_ashr_i32 s1, s5, 31
	s_delay_alu instid0(SALU_CYCLE_1) | instskip(NEXT) | instid1(SALU_CYCLE_1)
	s_mul_i32 s3, s3, s1
	s_add_i32 s1, s29, s3
	s_delay_alu instid0(SALU_CYCLE_1) | instskip(NEXT) | instid1(SALU_CYCLE_1)
	s_add_i32 s23, s1, s30
	s_lshl_b64 s[4:5], s[22:23], 1
	s_delay_alu instid0(SALU_CYCLE_1)
	s_add_u32 s1, s0, s4
	s_addc_u32 s3, s9, s5
	s_waitcnt lgkmcnt(0)
	s_and_b32 s4, s8, 0xffff
	s_mov_b32 s5, 0
	.p2align	6
.LBB27_12:                              ; =>This Inner Loop Header: Depth=1
	v_ashrrev_i32_e32 v1, 31, v0
	s_delay_alu instid0(VALU_DEP_1) | instskip(SKIP_1) | instid1(VALU_DEP_2)
	v_lshlrev_b64 v[1:2], 1, v[0:1]
	v_add_nc_u32_e32 v0, s4, v0
	v_add_co_u32 v3, vcc_lo, s2, v1
	s_delay_alu instid0(VALU_DEP_3) | instskip(NEXT) | instid1(VALU_DEP_3)
	v_add_co_ci_u32_e32 v4, vcc_lo, s7, v2, vcc_lo
	v_cmp_le_i32_e32 vcc_lo, s6, v0
	v_add_co_u32 v1, s0, s1, v1
	global_load_u16 v3, v[3:4], off
	v_add_co_ci_u32_e64 v2, s0, s3, v2, s0
	s_or_b32 s5, vcc_lo, s5
	s_waitcnt vmcnt(0)
	global_store_b16 v[1:2], v3, off
	s_and_not1_b32 exec_lo, exec_lo, s5
	s_cbranch_execnz .LBB27_12
.LBB27_13:
	s_nop 0
	s_sendmsg sendmsg(MSG_DEALLOC_VGPRS)
	s_endpgm
.LBB27_14:
                                        ; implicit-def: $sgpr28_sgpr29
	s_branch .LBB27_6
	.section	.rodata,"a",@progbits
	.p2align	6, 0x0
	.amdhsa_kernel _ZN4vllm38concat_and_cache_mla_rope_fused_kernelIN3c104HalfES2_Lb0EttLNS_18Fp8KVCacheDataTypeE0EEEvPKlPT_S7_PKS6_PKT0_illlliPT3_S5_iiiiPKf
		.amdhsa_group_segment_fixed_size 0
		.amdhsa_private_segment_fixed_size 0
		.amdhsa_kernarg_size 384
		.amdhsa_user_sgpr_count 15
		.amdhsa_user_sgpr_dispatch_ptr 0
		.amdhsa_user_sgpr_queue_ptr 0
		.amdhsa_user_sgpr_kernarg_segment_ptr 1
		.amdhsa_user_sgpr_dispatch_id 0
		.amdhsa_user_sgpr_private_segment_size 0
		.amdhsa_wavefront_size32 1
		.amdhsa_uses_dynamic_stack 0
		.amdhsa_enable_private_segment 0
		.amdhsa_system_sgpr_workgroup_id_x 1
		.amdhsa_system_sgpr_workgroup_id_y 0
		.amdhsa_system_sgpr_workgroup_id_z 0
		.amdhsa_system_sgpr_workgroup_info 0
		.amdhsa_system_vgpr_workitem_id 0
		.amdhsa_next_free_vgpr 17
		.amdhsa_next_free_sgpr 43
		.amdhsa_reserve_vcc 1
		.amdhsa_float_round_mode_32 0
		.amdhsa_float_round_mode_16_64 0
		.amdhsa_float_denorm_mode_32 3
		.amdhsa_float_denorm_mode_16_64 3
		.amdhsa_dx10_clamp 1
		.amdhsa_ieee_mode 1
		.amdhsa_fp16_overflow 0
		.amdhsa_workgroup_processor_mode 1
		.amdhsa_memory_ordered 1
		.amdhsa_forward_progress 0
		.amdhsa_shared_vgpr_count 0
		.amdhsa_exception_fp_ieee_invalid_op 0
		.amdhsa_exception_fp_denorm_src 0
		.amdhsa_exception_fp_ieee_div_zero 0
		.amdhsa_exception_fp_ieee_overflow 0
		.amdhsa_exception_fp_ieee_underflow 0
		.amdhsa_exception_fp_ieee_inexact 0
		.amdhsa_exception_int_div_zero 0
	.end_amdhsa_kernel
	.section	.text._ZN4vllm38concat_and_cache_mla_rope_fused_kernelIN3c104HalfES2_Lb0EttLNS_18Fp8KVCacheDataTypeE0EEEvPKlPT_S7_PKS6_PKT0_illlliPT3_S5_iiiiPKf,"axG",@progbits,_ZN4vllm38concat_and_cache_mla_rope_fused_kernelIN3c104HalfES2_Lb0EttLNS_18Fp8KVCacheDataTypeE0EEEvPKlPT_S7_PKS6_PKT0_illlliPT3_S5_iiiiPKf,comdat
.Lfunc_end27:
	.size	_ZN4vllm38concat_and_cache_mla_rope_fused_kernelIN3c104HalfES2_Lb0EttLNS_18Fp8KVCacheDataTypeE0EEEvPKlPT_S7_PKS6_PKT0_illlliPT3_S5_iiiiPKf, .Lfunc_end27-_ZN4vllm38concat_and_cache_mla_rope_fused_kernelIN3c104HalfES2_Lb0EttLNS_18Fp8KVCacheDataTypeE0EEEvPKlPT_S7_PKS6_PKT0_illlliPT3_S5_iiiiPKf
                                        ; -- End function
	.section	.AMDGPU.csdata,"",@progbits
; Kernel info:
; codeLenInByte = 2280
; NumSgprs: 45
; NumVgprs: 17
; ScratchSize: 0
; MemoryBound: 0
; FloatMode: 240
; IeeeMode: 1
; LDSByteSize: 0 bytes/workgroup (compile time only)
; SGPRBlocks: 5
; VGPRBlocks: 2
; NumSGPRsForWavesPerEU: 45
; NumVGPRsForWavesPerEU: 17
; Occupancy: 16
; WaveLimiterHint : 1
; COMPUTE_PGM_RSRC2:SCRATCH_EN: 0
; COMPUTE_PGM_RSRC2:USER_SGPR: 15
; COMPUTE_PGM_RSRC2:TRAP_HANDLER: 0
; COMPUTE_PGM_RSRC2:TGID_X_EN: 1
; COMPUTE_PGM_RSRC2:TGID_Y_EN: 0
; COMPUTE_PGM_RSRC2:TGID_Z_EN: 0
; COMPUTE_PGM_RSRC2:TIDIG_COMP_CNT: 0
	.section	.text._ZN4vllm38concat_and_cache_mla_rope_fused_kernelIN3c104HalfENS1_8BFloat16ELb1EttLNS_18Fp8KVCacheDataTypeE0EEEvPKlPT_S8_PKS7_PKT0_illlliPT3_S6_iiiiPKf,"axG",@progbits,_ZN4vllm38concat_and_cache_mla_rope_fused_kernelIN3c104HalfENS1_8BFloat16ELb1EttLNS_18Fp8KVCacheDataTypeE0EEEvPKlPT_S8_PKS7_PKT0_illlliPT3_S6_iiiiPKf,comdat
	.protected	_ZN4vllm38concat_and_cache_mla_rope_fused_kernelIN3c104HalfENS1_8BFloat16ELb1EttLNS_18Fp8KVCacheDataTypeE0EEEvPKlPT_S8_PKS7_PKT0_illlliPT3_S6_iiiiPKf ; -- Begin function _ZN4vllm38concat_and_cache_mla_rope_fused_kernelIN3c104HalfENS1_8BFloat16ELb1EttLNS_18Fp8KVCacheDataTypeE0EEEvPKlPT_S8_PKS7_PKT0_illlliPT3_S6_iiiiPKf
	.globl	_ZN4vllm38concat_and_cache_mla_rope_fused_kernelIN3c104HalfENS1_8BFloat16ELb1EttLNS_18Fp8KVCacheDataTypeE0EEEvPKlPT_S8_PKS7_PKT0_illlliPT3_S6_iiiiPKf
	.p2align	8
	.type	_ZN4vllm38concat_and_cache_mla_rope_fused_kernelIN3c104HalfENS1_8BFloat16ELb1EttLNS_18Fp8KVCacheDataTypeE0EEEvPKlPT_S8_PKS7_PKT0_illlliPT3_S6_iiiiPKf,@function
_ZN4vllm38concat_and_cache_mla_rope_fused_kernelIN3c104HalfENS1_8BFloat16ELb1EttLNS_18Fp8KVCacheDataTypeE0EEEvPKlPT_S8_PKS7_PKT0_illlliPT3_S6_iiiiPKf: ; @_ZN4vllm38concat_and_cache_mla_rope_fused_kernelIN3c104HalfENS1_8BFloat16ELb1EttLNS_18Fp8KVCacheDataTypeE0EEEvPKlPT_S8_PKS7_PKT0_illlliPT3_S6_iiiiPKf
; %bb.0:
	s_load_b64 s[6:7], s[0:1], 0x60
	s_mov_b32 s2, s15
	s_mov_b32 s3, 0
	s_delay_alu instid0(SALU_CYCLE_1)
	s_lshl_b64 s[4:5], s[2:3], 3
	s_waitcnt lgkmcnt(0)
	s_add_u32 s6, s6, s4
	s_addc_u32 s7, s7, s5
	s_load_b64 s[24:25], s[6:7], 0x0
	s_waitcnt lgkmcnt(0)
	v_cmp_lt_i64_e64 s3, s[24:25], 0
	s_delay_alu instid0(VALU_DEP_1)
	s_and_b32 vcc_lo, exec_lo, s3
	s_cbranch_vccnz .LBB28_13
; %bb.1:
	s_clause 0x2
	s_load_b32 s26, s[0:1], 0x28
	s_load_b64 s[6:7], s[0:1], 0x0
	s_load_b128 s[12:15], s[0:1], 0x10
	s_waitcnt lgkmcnt(0)
	s_ashr_i32 s3, s26, 31
	s_add_u32 s4, s6, s4
	s_addc_u32 s5, s7, s5
	s_load_b64 s[18:19], s[4:5], 0x0
	s_clause 0x3
	s_load_b64 s[20:21], s[0:1], 0x20
	s_load_b32 s27, s[0:1], 0x50
	s_load_b64 s[16:17], s[0:1], 0x58
	s_load_b256 s[4:11], s[0:1], 0x30
	s_waitcnt lgkmcnt(0)
	s_mul_i32 s3, s18, s3
	s_mul_hi_u32 s22, s18, s26
	s_mul_i32 s19, s19, s26
	s_add_i32 s3, s22, s3
	s_mul_i32 s18, s18, s26
	s_add_i32 s19, s3, s19
	s_delay_alu instid0(SALU_CYCLE_1) | instskip(NEXT) | instid1(SALU_CYCLE_1)
	s_lshl_b64 s[22:23], s[18:19], 1
	s_add_u32 s3, s20, s22
	s_addc_u32 s33, s21, s23
	s_lshr_b32 s18, s26, 31
	s_delay_alu instid0(SALU_CYCLE_1) | instskip(NEXT) | instid1(SALU_CYCLE_1)
	s_add_i32 s26, s26, s18
	s_ashr_i32 s18, s26, 1
	s_delay_alu instid0(SALU_CYCLE_1)
	s_mul_i32 s26, s18, s27
	s_mov_b32 s27, exec_lo
	v_cmpx_gt_i32_e64 s26, v0
	s_cbranch_execz .LBB28_4
; %bb.2:
	s_clause 0x1
	s_load_b64 s[28:29], s[0:1], 0x8
	s_load_b32 s31, s[0:1], 0x8c
	s_mul_i32 s5, s2, s5
	s_mul_hi_u32 s19, s2, s4
	s_mul_i32 s4, s2, s4
	s_add_i32 s5, s19, s5
	s_ashr_i32 s19, s18, 31
	s_lshl_b64 s[4:5], s[4:5], 1
	s_mov_b32 s34, 0
	s_waitcnt lgkmcnt(0)
	s_add_u32 s28, s28, s4
	s_addc_u32 s29, s29, s5
	s_abs_i32 s30, s18
	s_and_b32 s31, s31, 0xffff
	v_cvt_f32_u32_e32 v1, s30
	s_sub_i32 s4, 0, s30
	s_sub_i32 s35, 0, s18
	s_delay_alu instid0(VALU_DEP_1) | instskip(SKIP_2) | instid1(VALU_DEP_1)
	v_rcp_iflag_f32_e32 v1, v1
	s_waitcnt_depctr 0xfff
	v_mul_f32_e32 v1, 0x4f7ffffe, v1
	v_cvt_u32_f32_e32 v1, v1
	s_delay_alu instid0(VALU_DEP_1) | instskip(SKIP_1) | instid1(VALU_DEP_1)
	v_mul_lo_u32 v2, s4, v1
	s_lshl_b64 s[4:5], s[18:19], 1
	v_mul_hi_u32 v2, v1, v2
	s_delay_alu instid0(VALU_DEP_1)
	v_dual_mov_b32 v1, v0 :: v_dual_add_nc_u32 v2, v1, v2
.LBB28_3:                               ; =>This Inner Loop Header: Depth=1
	s_delay_alu instid0(VALU_DEP_1) | instskip(SKIP_1) | instid1(VALU_DEP_2)
	v_sub_nc_u32_e32 v3, 0, v1
	v_ashrrev_i32_e32 v4, 31, v1
	v_max_i32_e32 v3, v1, v3
	s_delay_alu instid0(VALU_DEP_2) | instskip(NEXT) | instid1(VALU_DEP_2)
	v_xor_b32_e32 v4, s19, v4
	v_mul_hi_u32 v5, v3, v2
	s_delay_alu instid0(VALU_DEP_1) | instskip(SKIP_1) | instid1(VALU_DEP_2)
	v_mul_lo_u32 v6, v5, s30
	v_add_nc_u32_e32 v7, 1, v5
	v_sub_nc_u32_e32 v3, v3, v6
	s_delay_alu instid0(VALU_DEP_1) | instskip(SKIP_1) | instid1(VALU_DEP_4)
	v_subrev_nc_u32_e32 v6, s30, v3
	v_cmp_le_u32_e32 vcc_lo, s30, v3
	v_cndmask_b32_e32 v5, v5, v7, vcc_lo
	s_delay_alu instid0(VALU_DEP_1) | instskip(NEXT) | instid1(VALU_DEP_1)
	v_dual_cndmask_b32 v3, v3, v6 :: v_dual_add_nc_u32 v6, 1, v5
	v_cmp_le_u32_e32 vcc_lo, s30, v3
	s_delay_alu instid0(VALU_DEP_2) | instskip(NEXT) | instid1(VALU_DEP_1)
	v_cndmask_b32_e32 v3, v5, v6, vcc_lo
	v_xor_b32_e32 v3, v3, v4
	s_delay_alu instid0(VALU_DEP_1) | instskip(NEXT) | instid1(VALU_DEP_1)
	v_sub_nc_u32_e32 v7, v3, v4
	v_mad_u64_u32 v[3:4], null, s35, v7, v[1:2]
	v_ashrrev_i32_e32 v8, 31, v7
	v_mul_lo_u32 v9, v7, s7
	v_mad_u64_u32 v[5:6], null, v7, s6, 0
	v_add_nc_u32_e32 v1, s31, v1
	s_delay_alu instid0(VALU_DEP_4) | instskip(SKIP_1) | instid1(VALU_DEP_1)
	v_mul_lo_u32 v7, v8, s6
	v_ashrrev_i32_e32 v4, 31, v3
	v_lshlrev_b64 v[3:4], 1, v[3:4]
	s_delay_alu instid0(VALU_DEP_3) | instskip(NEXT) | instid1(VALU_DEP_2)
	v_add3_u32 v6, v6, v9, v7
	v_add_co_u32 v7, vcc_lo, s3, v3
	s_delay_alu instid0(VALU_DEP_2) | instskip(NEXT) | instid1(VALU_DEP_4)
	v_lshlrev_b64 v[5:6], 1, v[5:6]
	v_add_co_ci_u32_e32 v8, vcc_lo, s33, v4, vcc_lo
	s_delay_alu instid0(VALU_DEP_3) | instskip(NEXT) | instid1(VALU_DEP_2)
	v_add_co_u32 v9, vcc_lo, v7, s4
	v_add_co_ci_u32_e32 v10, vcc_lo, s5, v8, vcc_lo
	s_delay_alu instid0(VALU_DEP_4)
	v_add_co_u32 v5, vcc_lo, s28, v5
	v_add_co_ci_u32_e32 v6, vcc_lo, s29, v6, vcc_lo
	s_clause 0x1
	global_load_u16 v7, v[7:8], off
	global_load_u16 v8, v[9:10], off
	v_add_co_u32 v3, vcc_lo, v5, v3
	v_add_co_ci_u32_e32 v4, vcc_lo, v6, v4, vcc_lo
	s_delay_alu instid0(VALU_DEP_2) | instskip(NEXT) | instid1(VALU_DEP_2)
	v_add_co_u32 v5, vcc_lo, v3, s4
	v_add_co_ci_u32_e32 v6, vcc_lo, s5, v4, vcc_lo
	s_clause 0x1
	global_load_u16 v9, v[3:4], off
	global_load_u16 v10, v[5:6], off
	v_cmp_le_i32_e32 vcc_lo, s26, v1
	s_or_b32 s34, vcc_lo, s34
	s_waitcnt vmcnt(3)
	v_lshlrev_b32_e32 v7, 16, v7
	s_waitcnt vmcnt(2)
	v_lshlrev_b32_e32 v8, 16, v8
	s_delay_alu instid0(VALU_DEP_2) | instskip(NEXT) | instid1(VALU_DEP_2)
	v_cvt_f16_f32_e32 v7, v7
	v_cvt_f16_f32_e32 v8, v8
	s_waitcnt vmcnt(0)
	s_delay_alu instid0(VALU_DEP_1) | instskip(SKIP_1) | instid1(VALU_DEP_2)
	v_mul_f16_e32 v11, v10, v8
	v_mul_f16_e32 v8, v9, v8
	v_fma_f16 v9, v9, v7, -v11
	s_delay_alu instid0(VALU_DEP_2)
	v_fmac_f16_e32 v8, v10, v7
	s_clause 0x1
	global_store_b16 v[3:4], v9, off
	global_store_b16 v[5:6], v8, off
	s_and_not1_b32 exec_lo, exec_lo, s34
	s_cbranch_execnz .LBB28_3
.LBB28_4:
	s_or_b32 exec_lo, exec_lo, s27
	s_load_b128 s[4:7], s[0:1], 0x68
	s_waitcnt lgkmcnt(0)
	s_ashr_i32 s29, s7, 31
	s_mov_b32 s28, s7
	s_delay_alu instid0(SALU_CYCLE_1) | instskip(SKIP_1) | instid1(SALU_CYCLE_1)
	s_or_b64 s[30:31], s[24:25], s[28:29]
	s_mov_b32 s30, 0
	s_cmp_lg_u64 s[30:31], 0
	s_cbranch_scc0 .LBB28_14
; %bb.5:
	s_add_u32 s34, s28, s29
	s_mov_b32 s26, s29
	s_mov_b32 s27, s29
	s_addc_u32 s35, s29, s29
	s_delay_alu instid0(SALU_CYCLE_1) | instskip(NEXT) | instid1(SALU_CYCLE_1)
	s_xor_b64 s[34:35], s[34:35], s[26:27]
	v_cvt_f32_u32_e32 v1, s34
	v_cvt_f32_u32_e32 v2, s35
	s_sub_u32 s31, 0, s34
	s_subb_u32 s36, 0, s35
	s_delay_alu instid0(VALU_DEP_1) | instskip(NEXT) | instid1(VALU_DEP_1)
	v_fmamk_f32 v1, v2, 0x4f800000, v1
	v_rcp_f32_e32 v1, v1
	s_waitcnt_depctr 0xfff
	v_mul_f32_e32 v1, 0x5f7ffffc, v1
	s_delay_alu instid0(VALU_DEP_1) | instskip(NEXT) | instid1(VALU_DEP_1)
	v_mul_f32_e32 v2, 0x2f800000, v1
	v_trunc_f32_e32 v2, v2
	s_delay_alu instid0(VALU_DEP_1) | instskip(SKIP_1) | instid1(VALU_DEP_2)
	v_fmamk_f32 v1, v2, 0xcf800000, v1
	v_cvt_u32_f32_e32 v2, v2
	v_cvt_u32_f32_e32 v1, v1
	s_delay_alu instid0(VALU_DEP_2) | instskip(NEXT) | instid1(VALU_DEP_2)
	v_readfirstlane_b32 s7, v2
	v_readfirstlane_b32 s19, v1
	s_delay_alu instid0(VALU_DEP_2) | instskip(NEXT) | instid1(VALU_DEP_1)
	s_mul_i32 s37, s31, s7
	s_mul_hi_u32 s39, s31, s19
	s_mul_i32 s38, s36, s19
	s_add_i32 s37, s39, s37
	s_mul_i32 s40, s31, s19
	s_add_i32 s37, s37, s38
	s_mul_hi_u32 s39, s19, s40
	s_mul_hi_u32 s41, s7, s40
	s_mul_i32 s38, s7, s40
	s_mul_hi_u32 s40, s19, s37
	s_mul_i32 s19, s19, s37
	s_mul_hi_u32 s42, s7, s37
	s_add_u32 s19, s39, s19
	s_addc_u32 s39, 0, s40
	s_add_u32 s19, s19, s38
	s_mul_i32 s37, s7, s37
	s_addc_u32 s19, s39, s41
	s_addc_u32 s38, s42, 0
	s_add_u32 s19, s19, s37
	s_addc_u32 s37, 0, s38
	v_add_co_u32 v1, s19, v1, s19
	s_delay_alu instid0(VALU_DEP_1) | instskip(SKIP_1) | instid1(VALU_DEP_1)
	s_cmp_lg_u32 s19, 0
	s_addc_u32 s7, s7, s37
	v_readfirstlane_b32 s19, v1
	s_mul_i32 s37, s31, s7
	s_delay_alu instid0(VALU_DEP_1)
	s_mul_hi_u32 s38, s31, s19
	s_mul_i32 s36, s36, s19
	s_add_i32 s37, s38, s37
	s_mul_i32 s31, s31, s19
	s_add_i32 s37, s37, s36
	s_mul_hi_u32 s38, s7, s31
	s_mul_i32 s39, s7, s31
	s_mul_hi_u32 s31, s19, s31
	s_mul_hi_u32 s40, s19, s37
	s_mul_i32 s19, s19, s37
	s_mul_hi_u32 s36, s7, s37
	s_add_u32 s19, s31, s19
	s_addc_u32 s31, 0, s40
	s_add_u32 s19, s19, s39
	s_mul_i32 s37, s7, s37
	s_addc_u32 s19, s31, s38
	s_addc_u32 s31, s36, 0
	s_add_u32 s19, s19, s37
	s_addc_u32 s31, 0, s31
	v_add_co_u32 v1, s19, v1, s19
	s_delay_alu instid0(VALU_DEP_1) | instskip(SKIP_2) | instid1(VALU_DEP_1)
	s_cmp_lg_u32 s19, 0
	s_addc_u32 s7, s7, s31
	s_ashr_i32 s36, s25, 31
	v_readfirstlane_b32 s19, v1
	s_add_u32 s38, s24, s36
	s_mov_b32 s37, s36
	s_addc_u32 s39, s25, s36
	s_delay_alu instid0(SALU_CYCLE_1) | instskip(NEXT) | instid1(SALU_CYCLE_1)
	s_xor_b64 s[38:39], s[38:39], s[36:37]
	s_mul_i32 s40, s38, s7
	s_mul_hi_u32 s41, s38, s19
	s_mul_hi_u32 s31, s38, s7
	;; [unrolled: 1-line block ×3, first 2 shown]
	s_mul_i32 s19, s39, s19
	s_add_u32 s40, s41, s40
	s_addc_u32 s31, 0, s31
	s_mul_hi_u32 s42, s39, s7
	s_add_u32 s19, s40, s19
	s_mul_i32 s7, s39, s7
	s_addc_u32 s19, s31, s43
	s_addc_u32 s31, s42, 0
	s_add_u32 s7, s19, s7
	s_addc_u32 s19, 0, s31
	s_mul_i32 s42, s34, s7
	s_mul_hi_u32 s31, s34, s7
	s_mul_i32 s41, s34, s19
	v_sub_co_u32 v1, s38, s38, s42
	s_mul_i32 s40, s35, s7
	s_add_i32 s31, s31, s41
	s_delay_alu instid0(SALU_CYCLE_1) | instskip(NEXT) | instid1(VALU_DEP_1)
	s_add_i32 s31, s31, s40
	v_sub_co_u32 v2, s41, v1, s34
	s_sub_i32 s40, s39, s31
	s_cmp_lg_u32 s38, 0
	s_subb_u32 s40, s40, s35
	s_cmp_lg_u32 s41, 0
	v_readfirstlane_b32 s41, v2
	s_subb_u32 s40, s40, 0
	s_delay_alu instid0(SALU_CYCLE_1) | instskip(SKIP_1) | instid1(VALU_DEP_1)
	s_cmp_ge_u32 s40, s35
	s_cselect_b32 s42, -1, 0
	s_cmp_ge_u32 s41, s34
	s_cselect_b32 s41, -1, 0
	s_cmp_eq_u32 s40, s35
	s_cselect_b32 s40, s41, s42
	s_add_u32 s41, s7, 1
	s_addc_u32 s42, s19, 0
	s_add_u32 s43, s7, 2
	s_addc_u32 s44, s19, 0
	s_cmp_lg_u32 s40, 0
	s_cselect_b32 s40, s43, s41
	s_cselect_b32 s41, s44, s42
	s_cmp_lg_u32 s38, 0
	v_readfirstlane_b32 s38, v1
	s_subb_u32 s31, s39, s31
	s_delay_alu instid0(SALU_CYCLE_1) | instskip(SKIP_1) | instid1(VALU_DEP_1)
	s_cmp_ge_u32 s31, s35
	s_cselect_b32 s39, -1, 0
	s_cmp_ge_u32 s38, s34
	s_cselect_b32 s34, -1, 0
	s_cmp_eq_u32 s31, s35
	s_cselect_b32 s31, s34, s39
	s_delay_alu instid0(SALU_CYCLE_1) | instskip(SKIP_3) | instid1(SALU_CYCLE_1)
	s_cmp_lg_u32 s31, 0
	s_cselect_b32 s35, s41, s19
	s_cselect_b32 s34, s40, s7
	s_xor_b64 s[26:27], s[36:37], s[26:27]
	s_xor_b64 s[34:35], s[34:35], s[26:27]
	s_delay_alu instid0(SALU_CYCLE_1)
	s_sub_u32 s26, s34, s26
	s_subb_u32 s27, s35, s27
	s_and_not1_b32 vcc_lo, exec_lo, s30
	s_cbranch_vccnz .LBB28_7
.LBB28_6:
	v_cvt_f32_u32_e32 v1, s28
	s_sub_i32 s19, 0, s28
	s_delay_alu instid0(VALU_DEP_1) | instskip(SKIP_2) | instid1(VALU_DEP_1)
	v_rcp_iflag_f32_e32 v1, v1
	s_waitcnt_depctr 0xfff
	v_mul_f32_e32 v1, 0x4f7ffffe, v1
	v_cvt_u32_f32_e32 v1, v1
	s_delay_alu instid0(VALU_DEP_1) | instskip(NEXT) | instid1(VALU_DEP_1)
	v_readfirstlane_b32 s7, v1
	s_mul_i32 s19, s19, s7
	s_delay_alu instid0(SALU_CYCLE_1) | instskip(NEXT) | instid1(SALU_CYCLE_1)
	s_mul_hi_u32 s19, s7, s19
	s_add_i32 s7, s7, s19
	s_delay_alu instid0(SALU_CYCLE_1) | instskip(NEXT) | instid1(SALU_CYCLE_1)
	s_mul_hi_u32 s7, s24, s7
	s_mul_i32 s19, s7, s28
	s_add_i32 s26, s7, 1
	s_sub_i32 s19, s24, s19
	s_delay_alu instid0(SALU_CYCLE_1)
	s_sub_i32 s27, s19, s28
	s_cmp_ge_u32 s19, s28
	s_cselect_b32 s7, s26, s7
	s_cselect_b32 s19, s27, s19
	s_add_i32 s26, s7, 1
	s_cmp_ge_u32 s19, s28
	s_mov_b32 s27, 0
	s_cselect_b32 s26, s26, s7
.LBB28_7:
	s_delay_alu instid0(SALU_CYCLE_1)
	s_mul_i32 s7, s26, s29
	s_mul_hi_u32 s19, s26, s28
	s_mul_hi_u32 s34, s26, s4
	s_add_i32 s7, s19, s7
	s_mul_i32 s19, s27, s28
	s_mul_i32 s28, s26, s28
	s_add_i32 s7, s7, s19
	s_sub_u32 s30, s24, s28
	s_subb_u32 s31, s25, s7
	s_mul_i32 s35, s27, s4
	s_mul_i32 s28, s26, s4
	s_mul_hi_u32 s27, s30, s5
	s_mul_i32 s31, s31, s5
	s_mul_i32 s24, s30, s5
	s_mov_b32 s36, exec_lo
	v_cmpx_gt_i32_e64 s18, v0
	s_cbranch_execz .LBB28_10
; %bb.8:
	s_mul_i32 s7, s2, s9
	s_mul_hi_u32 s9, s2, s8
	s_mul_i32 s8, s2, s8
	s_add_i32 s9, s9, s7
	s_ashr_i32 s19, s18, 31
	s_lshl_b64 s[38:39], s[8:9], 1
	s_load_b32 s37, s[0:1], 0x8c
	s_add_u32 s8, s12, s38
	s_addc_u32 s9, s13, s39
	s_ashr_i32 s7, s4, 31
	s_ashr_i32 s25, s5, 31
	s_mul_i32 s7, s26, s7
	s_mul_i32 s25, s30, s25
	s_add_i32 s7, s34, s7
	s_add_i32 s25, s27, s25
	;; [unrolled: 1-line block ×4, first 2 shown]
	s_lshl_b64 s[40:41], s[28:29], 1
	s_lshl_b64 s[42:43], s[24:25], 1
	v_dual_mov_b32 v2, v0 :: v_dual_lshlrev_b32 v1, 1, v0
	s_add_u32 s44, s40, s42
	s_addc_u32 s45, s41, s43
	s_add_u32 s25, s44, s16
	s_addc_u32 s29, s45, s17
	s_ashr_i32 s7, s6, 31
	s_delay_alu instid0(SALU_CYCLE_1) | instskip(NEXT) | instid1(SALU_CYCLE_1)
	s_lshl_b64 s[40:41], s[6:7], 1
	s_add_u32 s7, s25, s40
	s_addc_u32 s25, s29, s41
	s_waitcnt lgkmcnt(0)
	s_and_b32 s29, s37, 0xffff
	s_lshl_b64 s[42:43], s[18:19], 1
	s_lshl_b32 s19, s29, 1
	s_add_u32 s22, s22, s42
	s_addc_u32 s23, s23, s43
	s_add_u32 s20, s20, s22
	s_addc_u32 s21, s21, s23
	s_add_u32 s22, s38, s42
	s_addc_u32 s23, s39, s43
	s_add_u32 s12, s12, s22
	s_addc_u32 s13, s13, s23
	s_add_u32 s22, s44, s42
	s_addc_u32 s23, s45, s43
	s_add_u32 s22, s22, s40
	s_addc_u32 s23, s23, s41
	s_add_u32 s22, s16, s22
	s_mov_b32 s37, 0
	s_addc_u32 s23, s17, s23
.LBB28_9:                               ; =>This Inner Loop Header: Depth=1
	v_add_co_u32 v3, s38, s3, v1
	s_delay_alu instid0(VALU_DEP_1) | instskip(SKIP_1) | instid1(VALU_DEP_1)
	v_add_co_ci_u32_e64 v4, null, s33, 0, s38
	v_add_co_u32 v5, s38, s20, v1
	v_add_co_ci_u32_e64 v6, null, s21, 0, s38
	v_add_co_u32 v7, s38, s8, v1
	s_delay_alu instid0(VALU_DEP_1) | instskip(SKIP_1) | instid1(VALU_DEP_1)
	v_add_co_ci_u32_e64 v8, null, s9, 0, s38
	v_add_co_u32 v9, s38, s12, v1
	v_add_co_ci_u32_e64 v10, null, s13, 0, s38
	global_load_u16 v11, v[5:6], off
	global_load_u16 v12, v[3:4], off
	;; [unrolled: 1-line block ×4, first 2 shown]
	s_add_u32 s3, s3, s19
	s_addc_u32 s33, s33, 0
	v_add_nc_u32_e32 v2, s29, v2
	s_add_u32 s20, s20, s19
	s_addc_u32 s21, s21, 0
	s_add_u32 s12, s12, s19
	v_add_co_u32 v3, s38, s7, v1
	s_addc_u32 s13, s13, 0
	s_add_u32 s8, s8, s19
	v_add_co_ci_u32_e64 v4, null, s25, 0, s38
	v_add_co_u32 v5, s38, s22, v1
	v_cmp_le_i32_e32 vcc_lo, s18, v2
	s_addc_u32 s9, s9, 0
	s_add_u32 s22, s22, s19
	v_add_co_ci_u32_e64 v6, null, s23, 0, s38
	s_addc_u32 s23, s23, 0
	s_add_u32 s7, s7, s19
	s_addc_u32 s25, s25, 0
	s_or_b32 s37, vcc_lo, s37
	s_waitcnt vmcnt(3)
	v_lshlrev_b32_e32 v11, 16, v11
	s_waitcnt vmcnt(2)
	v_lshlrev_b32_e32 v12, 16, v12
	s_delay_alu instid0(VALU_DEP_2) | instskip(NEXT) | instid1(VALU_DEP_2)
	v_cvt_f16_f32_e32 v11, v11
	v_cvt_f16_f32_e32 v12, v12
	s_waitcnt vmcnt(1)
	s_delay_alu instid0(VALU_DEP_2) | instskip(SKIP_2) | instid1(VALU_DEP_2)
	v_mul_f16_e32 v15, v13, v11
	s_waitcnt vmcnt(0)
	v_mul_f16_e32 v11, v14, v11
	v_fma_f16 v14, v14, v12, -v15
	s_delay_alu instid0(VALU_DEP_2)
	v_fmac_f16_e32 v11, v13, v12
	global_store_b16 v[7:8], v14, off
	global_store_b16 v[9:10], v11, off
	;; [unrolled: 1-line block ×4, first 2 shown]
	s_and_not1_b32 exec_lo, exec_lo, s37
	s_cbranch_execnz .LBB28_9
.LBB28_10:
	s_or_b32 exec_lo, exec_lo, s36
	s_delay_alu instid0(SALU_CYCLE_1)
	s_mov_b32 s3, exec_lo
	v_cmpx_gt_i32_e64 s6, v0
	s_cbranch_execz .LBB28_13
; %bb.11:
	s_mul_i32 s3, s2, s11
	s_mul_hi_u32 s7, s2, s10
	s_mul_i32 s2, s2, s10
	s_add_i32 s3, s7, s3
	s_load_b32 s7, s[0:1], 0x8c
	s_lshl_b64 s[2:3], s[2:3], 1
	s_delay_alu instid0(SALU_CYCLE_1) | instskip(SKIP_2) | instid1(SALU_CYCLE_1)
	s_add_u32 s2, s14, s2
	s_addc_u32 s3, s15, s3
	s_ashr_i32 s4, s4, 31
	s_mul_i32 s4, s26, s4
	s_delay_alu instid0(SALU_CYCLE_1) | instskip(NEXT) | instid1(SALU_CYCLE_1)
	s_add_i32 s0, s34, s4
	s_add_i32 s29, s0, s35
	s_delay_alu instid0(SALU_CYCLE_1) | instskip(NEXT) | instid1(SALU_CYCLE_1)
	s_lshl_b64 s[0:1], s[28:29], 1
	s_add_u32 s0, s16, s0
	s_addc_u32 s8, s17, s1
	s_ashr_i32 s1, s5, 31
	s_delay_alu instid0(SALU_CYCLE_1) | instskip(NEXT) | instid1(SALU_CYCLE_1)
	s_mul_i32 s30, s30, s1
	s_add_i32 s1, s27, s30
	s_delay_alu instid0(SALU_CYCLE_1) | instskip(NEXT) | instid1(SALU_CYCLE_1)
	s_add_i32 s25, s1, s31
	s_lshl_b64 s[4:5], s[24:25], 1
	s_delay_alu instid0(SALU_CYCLE_1)
	s_add_u32 s1, s0, s4
	s_addc_u32 s4, s8, s5
	s_waitcnt lgkmcnt(0)
	s_and_b32 s5, s7, 0xffff
	s_mov_b32 s7, 0
	.p2align	6
.LBB28_12:                              ; =>This Inner Loop Header: Depth=1
	v_ashrrev_i32_e32 v1, 31, v0
	s_delay_alu instid0(VALU_DEP_1) | instskip(SKIP_1) | instid1(VALU_DEP_2)
	v_lshlrev_b64 v[1:2], 1, v[0:1]
	v_add_nc_u32_e32 v0, s5, v0
	v_add_co_u32 v3, vcc_lo, s2, v1
	s_delay_alu instid0(VALU_DEP_3) | instskip(NEXT) | instid1(VALU_DEP_3)
	v_add_co_ci_u32_e32 v4, vcc_lo, s3, v2, vcc_lo
	v_cmp_le_i32_e32 vcc_lo, s6, v0
	v_add_co_u32 v1, s0, s1, v1
	global_load_u16 v3, v[3:4], off
	v_add_co_ci_u32_e64 v2, s0, s4, v2, s0
	s_or_b32 s7, vcc_lo, s7
	s_waitcnt vmcnt(0)
	global_store_b16 v[1:2], v3, off
	s_and_not1_b32 exec_lo, exec_lo, s7
	s_cbranch_execnz .LBB28_12
.LBB28_13:
	s_nop 0
	s_sendmsg sendmsg(MSG_DEALLOC_VGPRS)
	s_endpgm
.LBB28_14:
                                        ; implicit-def: $sgpr26_sgpr27
	s_branch .LBB28_6
	.section	.rodata,"a",@progbits
	.p2align	6, 0x0
	.amdhsa_kernel _ZN4vllm38concat_and_cache_mla_rope_fused_kernelIN3c104HalfENS1_8BFloat16ELb1EttLNS_18Fp8KVCacheDataTypeE0EEEvPKlPT_S8_PKS7_PKT0_illlliPT3_S6_iiiiPKf
		.amdhsa_group_segment_fixed_size 0
		.amdhsa_private_segment_fixed_size 0
		.amdhsa_kernarg_size 384
		.amdhsa_user_sgpr_count 15
		.amdhsa_user_sgpr_dispatch_ptr 0
		.amdhsa_user_sgpr_queue_ptr 0
		.amdhsa_user_sgpr_kernarg_segment_ptr 1
		.amdhsa_user_sgpr_dispatch_id 0
		.amdhsa_user_sgpr_private_segment_size 0
		.amdhsa_wavefront_size32 1
		.amdhsa_uses_dynamic_stack 0
		.amdhsa_enable_private_segment 0
		.amdhsa_system_sgpr_workgroup_id_x 1
		.amdhsa_system_sgpr_workgroup_id_y 0
		.amdhsa_system_sgpr_workgroup_id_z 0
		.amdhsa_system_sgpr_workgroup_info 0
		.amdhsa_system_vgpr_workitem_id 0
		.amdhsa_next_free_vgpr 16
		.amdhsa_next_free_sgpr 46
		.amdhsa_reserve_vcc 1
		.amdhsa_float_round_mode_32 0
		.amdhsa_float_round_mode_16_64 0
		.amdhsa_float_denorm_mode_32 3
		.amdhsa_float_denorm_mode_16_64 3
		.amdhsa_dx10_clamp 1
		.amdhsa_ieee_mode 1
		.amdhsa_fp16_overflow 0
		.amdhsa_workgroup_processor_mode 1
		.amdhsa_memory_ordered 1
		.amdhsa_forward_progress 0
		.amdhsa_shared_vgpr_count 0
		.amdhsa_exception_fp_ieee_invalid_op 0
		.amdhsa_exception_fp_denorm_src 0
		.amdhsa_exception_fp_ieee_div_zero 0
		.amdhsa_exception_fp_ieee_overflow 0
		.amdhsa_exception_fp_ieee_underflow 0
		.amdhsa_exception_fp_ieee_inexact 0
		.amdhsa_exception_int_div_zero 0
	.end_amdhsa_kernel
	.section	.text._ZN4vllm38concat_and_cache_mla_rope_fused_kernelIN3c104HalfENS1_8BFloat16ELb1EttLNS_18Fp8KVCacheDataTypeE0EEEvPKlPT_S8_PKS7_PKT0_illlliPT3_S6_iiiiPKf,"axG",@progbits,_ZN4vllm38concat_and_cache_mla_rope_fused_kernelIN3c104HalfENS1_8BFloat16ELb1EttLNS_18Fp8KVCacheDataTypeE0EEEvPKlPT_S8_PKS7_PKT0_illlliPT3_S6_iiiiPKf,comdat
.Lfunc_end28:
	.size	_ZN4vllm38concat_and_cache_mla_rope_fused_kernelIN3c104HalfENS1_8BFloat16ELb1EttLNS_18Fp8KVCacheDataTypeE0EEEvPKlPT_S8_PKS7_PKT0_illlliPT3_S6_iiiiPKf, .Lfunc_end28-_ZN4vllm38concat_and_cache_mla_rope_fused_kernelIN3c104HalfENS1_8BFloat16ELb1EttLNS_18Fp8KVCacheDataTypeE0EEEvPKlPT_S8_PKS7_PKT0_illlliPT3_S6_iiiiPKf
                                        ; -- End function
	.section	.AMDGPU.csdata,"",@progbits
; Kernel info:
; codeLenInByte = 2392
; NumSgprs: 48
; NumVgprs: 16
; ScratchSize: 0
; MemoryBound: 0
; FloatMode: 240
; IeeeMode: 1
; LDSByteSize: 0 bytes/workgroup (compile time only)
; SGPRBlocks: 5
; VGPRBlocks: 1
; NumSGPRsForWavesPerEU: 48
; NumVGPRsForWavesPerEU: 16
; Occupancy: 16
; WaveLimiterHint : 1
; COMPUTE_PGM_RSRC2:SCRATCH_EN: 0
; COMPUTE_PGM_RSRC2:USER_SGPR: 15
; COMPUTE_PGM_RSRC2:TRAP_HANDLER: 0
; COMPUTE_PGM_RSRC2:TGID_X_EN: 1
; COMPUTE_PGM_RSRC2:TGID_Y_EN: 0
; COMPUTE_PGM_RSRC2:TGID_Z_EN: 0
; COMPUTE_PGM_RSRC2:TIDIG_COMP_CNT: 0
	.section	.text._ZN4vllm38concat_and_cache_mla_rope_fused_kernelIN3c104HalfENS1_8BFloat16ELb0EttLNS_18Fp8KVCacheDataTypeE0EEEvPKlPT_S8_PKS7_PKT0_illlliPT3_S6_iiiiPKf,"axG",@progbits,_ZN4vllm38concat_and_cache_mla_rope_fused_kernelIN3c104HalfENS1_8BFloat16ELb0EttLNS_18Fp8KVCacheDataTypeE0EEEvPKlPT_S8_PKS7_PKT0_illlliPT3_S6_iiiiPKf,comdat
	.protected	_ZN4vllm38concat_and_cache_mla_rope_fused_kernelIN3c104HalfENS1_8BFloat16ELb0EttLNS_18Fp8KVCacheDataTypeE0EEEvPKlPT_S8_PKS7_PKT0_illlliPT3_S6_iiiiPKf ; -- Begin function _ZN4vllm38concat_and_cache_mla_rope_fused_kernelIN3c104HalfENS1_8BFloat16ELb0EttLNS_18Fp8KVCacheDataTypeE0EEEvPKlPT_S8_PKS7_PKT0_illlliPT3_S6_iiiiPKf
	.globl	_ZN4vllm38concat_and_cache_mla_rope_fused_kernelIN3c104HalfENS1_8BFloat16ELb0EttLNS_18Fp8KVCacheDataTypeE0EEEvPKlPT_S8_PKS7_PKT0_illlliPT3_S6_iiiiPKf
	.p2align	8
	.type	_ZN4vllm38concat_and_cache_mla_rope_fused_kernelIN3c104HalfENS1_8BFloat16ELb0EttLNS_18Fp8KVCacheDataTypeE0EEEvPKlPT_S8_PKS7_PKT0_illlliPT3_S6_iiiiPKf,@function
_ZN4vllm38concat_and_cache_mla_rope_fused_kernelIN3c104HalfENS1_8BFloat16ELb0EttLNS_18Fp8KVCacheDataTypeE0EEEvPKlPT_S8_PKS7_PKT0_illlliPT3_S6_iiiiPKf: ; @_ZN4vllm38concat_and_cache_mla_rope_fused_kernelIN3c104HalfENS1_8BFloat16ELb0EttLNS_18Fp8KVCacheDataTypeE0EEEvPKlPT_S8_PKS7_PKT0_illlliPT3_S6_iiiiPKf
; %bb.0:
	s_load_b64 s[6:7], s[0:1], 0x60
	s_mov_b32 s2, s15
	s_mov_b32 s3, 0
	s_delay_alu instid0(SALU_CYCLE_1)
	s_lshl_b64 s[4:5], s[2:3], 3
	s_waitcnt lgkmcnt(0)
	s_add_u32 s6, s6, s4
	s_addc_u32 s7, s7, s5
	s_load_b64 s[22:23], s[6:7], 0x0
	s_waitcnt lgkmcnt(0)
	v_cmp_lt_i64_e64 s3, s[22:23], 0
	s_delay_alu instid0(VALU_DEP_1)
	s_and_b32 vcc_lo, exec_lo, s3
	s_cbranch_vccnz .LBB29_13
; %bb.1:
	s_clause 0x3
	s_load_b32 s19, s[0:1], 0x28
	s_load_b64 s[6:7], s[0:1], 0x0
	s_load_b128 s[12:15], s[0:1], 0x10
	s_load_b32 s3, s[0:1], 0x50
	v_lshlrev_b32_e32 v3, 1, v0
	s_waitcnt lgkmcnt(0)
	s_ashr_i32 s26, s19, 31
	s_add_u32 s4, s6, s4
	s_addc_u32 s5, s7, s5
	s_lshr_b32 s18, s19, 31
	s_load_b64 s[24:25], s[4:5], 0x0
	s_clause 0x2
	s_load_b64 s[20:21], s[0:1], 0x20
	s_load_b64 s[16:17], s[0:1], 0x58
	s_load_b256 s[4:11], s[0:1], 0x30
	s_add_i32 s18, s19, s18
	s_delay_alu instid0(SALU_CYCLE_1) | instskip(NEXT) | instid1(SALU_CYCLE_1)
	s_ashr_i32 s18, s18, 1
	s_mul_i32 s3, s18, s3
	s_waitcnt lgkmcnt(0)
	s_mul_i32 s26, s24, s26
	s_mul_hi_u32 s27, s24, s19
	s_mul_i32 s25, s25, s19
	s_add_i32 s26, s27, s26
	s_mul_i32 s24, s24, s19
	s_add_i32 s25, s26, s25
	s_mov_b32 s26, exec_lo
	v_cmpx_gt_i32_e64 s3, v0
	s_cbranch_execz .LBB29_4
; %bb.2:
	s_clause 0x1
	s_load_b64 s[30:31], s[0:1], 0x8
	s_load_b32 s34, s[0:1], 0x8c
	s_lshl_b64 s[28:29], s[24:25], 1
	s_mul_i32 s5, s2, s5
	s_mul_hi_u32 s19, s2, s4
	s_add_u32 s27, s20, s28
	s_mul_i32 s4, s2, s4
	s_addc_u32 s28, s21, s29
	s_add_i32 s5, s19, s5
	s_ashr_i32 s19, s18, 31
	s_lshl_b64 s[4:5], s[4:5], 1
	s_mov_b32 s33, 0
	s_waitcnt lgkmcnt(0)
	s_add_u32 s29, s30, s4
	s_addc_u32 s30, s31, s5
	s_abs_i32 s31, s18
	s_and_b32 s34, s34, 0xffff
	v_cvt_f32_u32_e32 v1, s31
	s_sub_i32 s4, 0, s31
	s_sub_i32 s35, 0, s18
	s_lshl_b32 s37, s34, 1
	s_delay_alu instid0(VALU_DEP_1) | instskip(SKIP_2) | instid1(VALU_DEP_1)
	v_rcp_iflag_f32_e32 v1, v1
	s_waitcnt_depctr 0xfff
	v_mul_f32_e32 v1, 0x4f7ffffe, v1
	v_cvt_u32_f32_e32 v2, v1
	s_delay_alu instid0(VALU_DEP_1) | instskip(SKIP_1) | instid1(SALU_CYCLE_1)
	v_mul_lo_u32 v1, s4, v2
	s_lshl_b32 s4, s18, 1
	s_sub_i32 s36, 0, s4
	s_lshl_b64 s[4:5], s[18:19], 1
	s_delay_alu instid0(VALU_DEP_1) | instskip(NEXT) | instid1(VALU_DEP_1)
	v_mul_hi_u32 v4, v2, v1
	v_dual_mov_b32 v1, v3 :: v_dual_add_nc_u32 v4, v2, v4
	v_mov_b32_e32 v2, v0
.LBB29_3:                               ; =>This Inner Loop Header: Depth=1
	s_delay_alu instid0(VALU_DEP_1) | instskip(SKIP_1) | instid1(VALU_DEP_2)
	v_sub_nc_u32_e32 v5, 0, v2
	v_ashrrev_i32_e32 v6, 31, v2
	v_max_i32_e32 v5, v2, v5
	s_delay_alu instid0(VALU_DEP_2) | instskip(NEXT) | instid1(VALU_DEP_2)
	v_xor_b32_e32 v6, s19, v6
	v_mul_hi_u32 v7, v5, v4
	s_delay_alu instid0(VALU_DEP_1) | instskip(SKIP_1) | instid1(VALU_DEP_2)
	v_mul_lo_u32 v8, v7, s31
	v_add_nc_u32_e32 v9, 1, v7
	v_sub_nc_u32_e32 v5, v5, v8
	s_delay_alu instid0(VALU_DEP_1) | instskip(SKIP_1) | instid1(VALU_DEP_4)
	v_subrev_nc_u32_e32 v8, s31, v5
	v_cmp_le_u32_e32 vcc_lo, s31, v5
	v_cndmask_b32_e32 v7, v7, v9, vcc_lo
	s_delay_alu instid0(VALU_DEP_1) | instskip(NEXT) | instid1(VALU_DEP_1)
	v_dual_cndmask_b32 v5, v5, v8 :: v_dual_add_nc_u32 v8, 1, v7
	v_cmp_le_u32_e32 vcc_lo, s31, v5
	s_delay_alu instid0(VALU_DEP_2) | instskip(NEXT) | instid1(VALU_DEP_1)
	v_cndmask_b32_e32 v5, v7, v8, vcc_lo
	v_xor_b32_e32 v5, v5, v6
	s_delay_alu instid0(VALU_DEP_1) | instskip(NEXT) | instid1(VALU_DEP_1)
	v_sub_nc_u32_e32 v11, v5, v6
	v_mad_u64_u32 v[5:6], null, s35, v11, v[2:3]
	v_ashrrev_i32_e32 v6, 31, v11
	v_mul_lo_u32 v12, v11, s7
	v_mad_u64_u32 v[7:8], null, v11, s6, 0
	v_mad_u64_u32 v[9:10], null, s36, v11, v[1:2]
	v_add_nc_u32_e32 v2, s34, v2
	v_mul_lo_u32 v11, v6, s6
	v_ashrrev_i32_e32 v6, 31, v5
	v_add_nc_u32_e32 v1, s37, v1
	v_ashrrev_i32_e32 v10, 31, v9
	s_delay_alu instid0(VALU_DEP_3) | instskip(SKIP_1) | instid1(VALU_DEP_3)
	v_lshlrev_b64 v[5:6], 1, v[5:6]
	v_add3_u32 v8, v8, v12, v11
	v_lshlrev_b64 v[9:10], 1, v[9:10]
	s_delay_alu instid0(VALU_DEP_3) | instskip(NEXT) | instid1(VALU_DEP_3)
	v_add_co_u32 v5, vcc_lo, s27, v5
	v_lshlrev_b64 v[7:8], 1, v[7:8]
	v_add_co_ci_u32_e32 v6, vcc_lo, s28, v6, vcc_lo
	s_delay_alu instid0(VALU_DEP_3) | instskip(NEXT) | instid1(VALU_DEP_2)
	v_add_co_u32 v11, vcc_lo, v5, s4
	v_add_co_ci_u32_e32 v12, vcc_lo, s5, v6, vcc_lo
	s_delay_alu instid0(VALU_DEP_4)
	v_add_co_u32 v7, vcc_lo, s29, v7
	v_add_co_ci_u32_e32 v8, vcc_lo, s30, v8, vcc_lo
	s_clause 0x1
	global_load_u16 v13, v[5:6], off
	global_load_u16 v11, v[11:12], off
	v_add_co_u32 v5, vcc_lo, v7, v9
	v_add_co_ci_u32_e32 v6, vcc_lo, v8, v10, vcc_lo
	v_cmp_le_i32_e32 vcc_lo, s3, v2
	global_load_b32 v7, v[5:6], off
	s_or_b32 s33, vcc_lo, s33
	s_waitcnt vmcnt(2)
	v_lshlrev_b32_e32 v9, 16, v13
	s_waitcnt vmcnt(1)
	v_lshlrev_b32_e32 v8, 16, v11
	s_delay_alu instid0(VALU_DEP_2) | instskip(NEXT) | instid1(VALU_DEP_2)
	v_cvt_f16_f32_e32 v9, v9
	v_cvt_f16_f32_e32 v8, v8
	s_waitcnt vmcnt(0)
	v_lshrrev_b32_e32 v10, 16, v7
	s_delay_alu instid0(VALU_DEP_1) | instskip(SKIP_1) | instid1(VALU_DEP_2)
	v_mul_f16_e32 v11, v10, v8
	v_mul_f16_e32 v8, v7, v8
	v_fma_f16 v7, v7, v9, -v11
	s_delay_alu instid0(VALU_DEP_2) | instskip(NEXT) | instid1(VALU_DEP_1)
	v_fmac_f16_e32 v8, v10, v9
	v_pack_b32_f16 v7, v7, v8
	global_store_b32 v[5:6], v7, off
	s_and_not1_b32 exec_lo, exec_lo, s33
	s_cbranch_execnz .LBB29_3
.LBB29_4:
	s_or_b32 exec_lo, exec_lo, s26
	s_load_b128 s[4:7], s[0:1], 0x68
	s_waitcnt lgkmcnt(0)
	s_ashr_i32 s27, s7, 31
	s_mov_b32 s26, s7
	s_delay_alu instid0(SALU_CYCLE_1) | instskip(SKIP_1) | instid1(SALU_CYCLE_1)
	s_or_b64 s[30:31], s[22:23], s[26:27]
	s_mov_b32 s30, 0
	s_cmp_lg_u64 s[30:31], 0
	s_cbranch_scc0 .LBB29_14
; %bb.5:
	s_add_u32 s34, s26, s27
	s_mov_b32 s28, s27
	s_mov_b32 s29, s27
	s_addc_u32 s35, s27, s27
	s_delay_alu instid0(SALU_CYCLE_1) | instskip(NEXT) | instid1(SALU_CYCLE_1)
	s_xor_b64 s[34:35], s[34:35], s[28:29]
	v_cvt_f32_u32_e32 v1, s34
	v_cvt_f32_u32_e32 v2, s35
	s_sub_u32 s19, 0, s34
	s_subb_u32 s31, 0, s35
	s_delay_alu instid0(VALU_DEP_1) | instskip(NEXT) | instid1(VALU_DEP_1)
	v_fmamk_f32 v1, v2, 0x4f800000, v1
	v_rcp_f32_e32 v1, v1
	s_waitcnt_depctr 0xfff
	v_mul_f32_e32 v1, 0x5f7ffffc, v1
	s_delay_alu instid0(VALU_DEP_1) | instskip(NEXT) | instid1(VALU_DEP_1)
	v_mul_f32_e32 v2, 0x2f800000, v1
	v_trunc_f32_e32 v2, v2
	s_delay_alu instid0(VALU_DEP_1) | instskip(SKIP_1) | instid1(VALU_DEP_2)
	v_fmamk_f32 v1, v2, 0xcf800000, v1
	v_cvt_u32_f32_e32 v2, v2
	v_cvt_u32_f32_e32 v1, v1
	s_delay_alu instid0(VALU_DEP_2) | instskip(NEXT) | instid1(VALU_DEP_2)
	v_readfirstlane_b32 s3, v2
	v_readfirstlane_b32 s7, v1
	s_delay_alu instid0(VALU_DEP_2) | instskip(NEXT) | instid1(VALU_DEP_1)
	s_mul_i32 s33, s19, s3
	s_mul_hi_u32 s37, s19, s7
	s_mul_i32 s36, s31, s7
	s_add_i32 s33, s37, s33
	s_mul_i32 s38, s19, s7
	s_add_i32 s33, s33, s36
	s_mul_hi_u32 s37, s7, s38
	s_mul_hi_u32 s39, s3, s38
	s_mul_i32 s36, s3, s38
	s_mul_hi_u32 s38, s7, s33
	s_mul_i32 s7, s7, s33
	s_mul_hi_u32 s40, s3, s33
	s_add_u32 s7, s37, s7
	s_addc_u32 s37, 0, s38
	s_add_u32 s7, s7, s36
	s_mul_i32 s33, s3, s33
	s_addc_u32 s7, s37, s39
	s_addc_u32 s36, s40, 0
	s_add_u32 s7, s7, s33
	s_addc_u32 s33, 0, s36
	v_add_co_u32 v1, s7, v1, s7
	s_delay_alu instid0(VALU_DEP_1) | instskip(SKIP_1) | instid1(VALU_DEP_1)
	s_cmp_lg_u32 s7, 0
	s_addc_u32 s3, s3, s33
	v_readfirstlane_b32 s7, v1
	s_mul_i32 s33, s19, s3
	s_delay_alu instid0(VALU_DEP_1)
	s_mul_hi_u32 s36, s19, s7
	s_mul_i32 s31, s31, s7
	s_add_i32 s33, s36, s33
	s_mul_i32 s19, s19, s7
	s_add_i32 s33, s33, s31
	s_mul_hi_u32 s36, s3, s19
	s_mul_i32 s37, s3, s19
	s_mul_hi_u32 s19, s7, s19
	s_mul_hi_u32 s38, s7, s33
	s_mul_i32 s7, s7, s33
	s_mul_hi_u32 s31, s3, s33
	s_add_u32 s7, s19, s7
	s_addc_u32 s19, 0, s38
	s_add_u32 s7, s7, s37
	s_mul_i32 s33, s3, s33
	s_addc_u32 s7, s19, s36
	s_addc_u32 s19, s31, 0
	s_add_u32 s7, s7, s33
	s_addc_u32 s19, 0, s19
	v_add_co_u32 v1, s7, v1, s7
	s_delay_alu instid0(VALU_DEP_1) | instskip(SKIP_2) | instid1(VALU_DEP_1)
	s_cmp_lg_u32 s7, 0
	s_addc_u32 s3, s3, s19
	s_ashr_i32 s36, s23, 31
	v_readfirstlane_b32 s7, v1
	s_add_u32 s38, s22, s36
	s_mov_b32 s37, s36
	s_addc_u32 s39, s23, s36
	s_delay_alu instid0(SALU_CYCLE_1) | instskip(NEXT) | instid1(SALU_CYCLE_1)
	s_xor_b64 s[38:39], s[38:39], s[36:37]
	s_mul_i32 s31, s38, s3
	s_mul_hi_u32 s33, s38, s7
	s_mul_hi_u32 s19, s38, s3
	;; [unrolled: 1-line block ×3, first 2 shown]
	s_mul_i32 s7, s39, s7
	s_add_u32 s31, s33, s31
	s_addc_u32 s19, 0, s19
	s_mul_hi_u32 s40, s39, s3
	s_add_u32 s7, s31, s7
	s_mul_i32 s3, s39, s3
	s_addc_u32 s7, s19, s41
	s_addc_u32 s19, s40, 0
	s_add_u32 s3, s7, s3
	s_addc_u32 s7, 0, s19
	s_mul_hi_u32 s19, s34, s3
	s_mul_i32 s33, s34, s7
	s_mul_i32 s40, s34, s3
	s_add_i32 s19, s19, s33
	v_sub_co_u32 v1, s33, s38, s40
	s_mul_i32 s31, s35, s3
	s_delay_alu instid0(SALU_CYCLE_1) | instskip(NEXT) | instid1(VALU_DEP_1)
	s_add_i32 s19, s19, s31
	v_sub_co_u32 v2, s38, v1, s34
	s_sub_i32 s31, s39, s19
	s_cmp_lg_u32 s33, 0
	s_subb_u32 s31, s31, s35
	s_cmp_lg_u32 s38, 0
	v_readfirstlane_b32 s38, v2
	s_subb_u32 s31, s31, 0
	s_delay_alu instid0(SALU_CYCLE_1) | instskip(SKIP_1) | instid1(VALU_DEP_1)
	s_cmp_ge_u32 s31, s35
	s_cselect_b32 s40, -1, 0
	s_cmp_ge_u32 s38, s34
	s_cselect_b32 s38, -1, 0
	s_cmp_eq_u32 s31, s35
	s_cselect_b32 s31, s38, s40
	s_add_u32 s38, s3, 1
	s_addc_u32 s40, s7, 0
	s_add_u32 s41, s3, 2
	s_addc_u32 s42, s7, 0
	s_cmp_lg_u32 s31, 0
	s_cselect_b32 s31, s41, s38
	s_cselect_b32 s38, s42, s40
	s_cmp_lg_u32 s33, 0
	v_readfirstlane_b32 s33, v1
	s_subb_u32 s19, s39, s19
	s_delay_alu instid0(SALU_CYCLE_1) | instskip(SKIP_1) | instid1(VALU_DEP_1)
	s_cmp_ge_u32 s19, s35
	s_cselect_b32 s39, -1, 0
	s_cmp_ge_u32 s33, s34
	s_cselect_b32 s33, -1, 0
	s_cmp_eq_u32 s19, s35
	s_cselect_b32 s19, s33, s39
	s_delay_alu instid0(SALU_CYCLE_1) | instskip(SKIP_3) | instid1(SALU_CYCLE_1)
	s_cmp_lg_u32 s19, 0
	s_cselect_b32 s35, s38, s7
	s_cselect_b32 s34, s31, s3
	s_xor_b64 s[28:29], s[36:37], s[28:29]
	s_xor_b64 s[34:35], s[34:35], s[28:29]
	s_delay_alu instid0(SALU_CYCLE_1)
	s_sub_u32 s28, s34, s28
	s_subb_u32 s29, s35, s29
	s_and_not1_b32 vcc_lo, exec_lo, s30
	s_cbranch_vccnz .LBB29_7
.LBB29_6:
	v_cvt_f32_u32_e32 v1, s26
	s_sub_i32 s7, 0, s26
	s_mov_b32 s29, 0
	s_delay_alu instid0(VALU_DEP_1) | instskip(SKIP_2) | instid1(VALU_DEP_1)
	v_rcp_iflag_f32_e32 v1, v1
	s_waitcnt_depctr 0xfff
	v_mul_f32_e32 v1, 0x4f7ffffe, v1
	v_cvt_u32_f32_e32 v1, v1
	s_delay_alu instid0(VALU_DEP_1) | instskip(NEXT) | instid1(VALU_DEP_1)
	v_readfirstlane_b32 s3, v1
	s_mul_i32 s7, s7, s3
	s_delay_alu instid0(SALU_CYCLE_1) | instskip(NEXT) | instid1(SALU_CYCLE_1)
	s_mul_hi_u32 s7, s3, s7
	s_add_i32 s3, s3, s7
	s_delay_alu instid0(SALU_CYCLE_1) | instskip(NEXT) | instid1(SALU_CYCLE_1)
	s_mul_hi_u32 s3, s22, s3
	s_mul_i32 s7, s3, s26
	s_add_i32 s19, s3, 1
	s_sub_i32 s7, s22, s7
	s_delay_alu instid0(SALU_CYCLE_1)
	s_sub_i32 s28, s7, s26
	s_cmp_ge_u32 s7, s26
	s_cselect_b32 s3, s19, s3
	s_cselect_b32 s7, s28, s7
	s_add_i32 s19, s3, 1
	s_cmp_ge_u32 s7, s26
	s_cselect_b32 s28, s19, s3
.LBB29_7:
	s_delay_alu instid0(SALU_CYCLE_1)
	s_mul_i32 s3, s28, s27
	s_mul_hi_u32 s7, s28, s26
	s_mul_i32 s19, s28, s26
	s_add_i32 s3, s7, s3
	s_mul_i32 s7, s29, s26
	s_mul_hi_u32 s31, s28, s4
	s_add_i32 s7, s3, s7
	s_sub_u32 s3, s22, s19
	s_subb_u32 s30, s23, s7
	s_mul_i32 s33, s29, s4
	s_mul_i32 s26, s28, s4
	s_mul_hi_u32 s29, s3, s5
	s_mul_i32 s30, s30, s5
	s_mul_i32 s22, s3, s5
	s_mov_b32 s34, exec_lo
	v_cmpx_gt_i32_e64 s18, v0
	s_cbranch_execz .LBB29_10
; %bb.8:
	s_load_b32 s23, s[0:1], 0x8c
	s_ashr_i32 s27, s4, 31
	s_ashr_i32 s35, s5, 31
	s_lshl_b64 s[36:37], s[24:25], 1
	s_ashr_i32 s19, s18, 31
	s_ashr_i32 s7, s6, 31
	s_mul_i32 s25, s9, s2
	s_mul_hi_u32 s39, s8, s2
	s_mul_i32 s38, s8, s2
	s_mul_i32 s8, s28, s27
	;; [unrolled: 1-line block ×3, first 2 shown]
	v_lshlrev_b32_e32 v5, 2, v0
	v_mov_b32_e32 v7, v0
	s_waitcnt lgkmcnt(0)
	s_and_b32 s24, s23, 0xffff
	s_add_u32 s35, s20, s36
	s_addc_u32 s21, s21, s37
	s_add_i32 s8, s31, s8
	s_add_i32 s9, s29, s9
	;; [unrolled: 1-line block ×4, first 2 shown]
	s_lshl_b64 s[36:37], s[26:27], 1
	s_lshl_b64 s[40:41], s[22:23], 1
	s_lshl_b32 s20, s24, 1
	s_lshl_b64 s[8:9], s[18:19], 1
	s_add_u32 s19, s36, s40
	s_addc_u32 s23, s37, s41
	s_lshl_b64 s[36:37], s[6:7], 1
	v_add_co_u32 v1, s7, s35, v3
	s_delay_alu instid0(VALU_DEP_1)
	v_add_co_ci_u32_e64 v2, null, s21, 0, s7
	s_add_u32 s7, s16, s36
	s_addc_u32 s21, s17, s37
	s_add_u32 s7, s7, s19
	s_addc_u32 s19, s21, s23
	s_add_i32 s39, s39, s25
	v_add_co_u32 v3, s7, s7, v5
	s_lshl_b64 s[36:37], s[38:39], 1
	v_add_co_ci_u32_e64 v4, null, s19, 0, s7
	s_lshl_b32 s7, s24, 2
	s_add_u32 s12, s12, s36
	v_add_co_u32 v3, vcc_lo, v3, 2
	s_addc_u32 s13, s13, s37
	v_add_co_u32 v5, s12, s12, v5
	v_add_co_ci_u32_e32 v4, vcc_lo, 0, v4, vcc_lo
	v_add_co_ci_u32_e64 v6, null, s13, 0, s12
	s_mov_b32 s19, 0
	s_mov_b64 s[12:13], 0
	s_set_inst_prefetch_distance 0x1
	.p2align	6
.LBB29_9:                               ; =>This Inner Loop Header: Depth=1
	v_add_co_u32 v8, vcc_lo, v1, s8
	v_add_co_ci_u32_e32 v9, vcc_lo, s9, v2, vcc_lo
	v_add_co_u32 v10, vcc_lo, v5, s12
	v_add_co_ci_u32_e32 v11, vcc_lo, s13, v6, vcc_lo
	s_clause 0x1
	global_load_u16 v12, v[8:9], off
	global_load_u16 v13, v[1:2], off
	global_load_b32 v14, v[10:11], off
	v_add_co_u32 v8, vcc_lo, v3, s12
	v_add_nc_u32_e32 v7, s24, v7
	v_add_co_ci_u32_e32 v9, vcc_lo, s13, v4, vcc_lo
	v_add_co_u32 v1, vcc_lo, v1, s20
	v_add_co_ci_u32_e32 v2, vcc_lo, 0, v2, vcc_lo
	s_delay_alu instid0(VALU_DEP_4)
	v_cmp_le_i32_e32 vcc_lo, s18, v7
	s_add_u32 s12, s12, s7
	s_addc_u32 s13, s13, 0
	s_or_b32 s19, vcc_lo, s19
	s_waitcnt vmcnt(2)
	v_lshlrev_b32_e32 v12, 16, v12
	s_waitcnt vmcnt(1)
	v_lshlrev_b32_e32 v13, 16, v13
	s_waitcnt vmcnt(0)
	v_lshrrev_b32_e32 v15, 16, v14
	v_cvt_f16_f32_e32 v12, v12
	s_delay_alu instid0(VALU_DEP_3) | instskip(NEXT) | instid1(VALU_DEP_2)
	v_cvt_f16_f32_e32 v13, v13
	v_mul_f16_e32 v16, v15, v12
	v_mul_f16_e32 v12, v14, v12
	s_delay_alu instid0(VALU_DEP_2) | instskip(NEXT) | instid1(VALU_DEP_2)
	v_fma_f16 v14, v14, v13, -v16
	v_fmac_f16_e32 v12, v15, v13
	s_delay_alu instid0(VALU_DEP_1)
	v_pack_b32_f16 v12, v14, v12
	global_store_b32 v[10:11], v12, off
	global_store_b32 v[8:9], v12, off offset:-2
	s_and_not1_b32 exec_lo, exec_lo, s19
	s_cbranch_execnz .LBB29_9
.LBB29_10:
	s_set_inst_prefetch_distance 0x2
	s_or_b32 exec_lo, exec_lo, s34
	s_delay_alu instid0(SALU_CYCLE_1)
	s_mov_b32 s7, exec_lo
	v_cmpx_gt_i32_e64 s6, v0
	s_cbranch_execz .LBB29_13
; %bb.11:
	s_mul_i32 s7, s2, s11
	s_mul_hi_u32 s9, s2, s10
	s_mul_i32 s8, s2, s10
	s_add_i32 s9, s9, s7
	s_delay_alu instid0(SALU_CYCLE_1) | instskip(NEXT) | instid1(SALU_CYCLE_1)
	s_lshl_b64 s[8:9], s[8:9], 1
	s_add_u32 s2, s14, s8
	s_addc_u32 s7, s15, s9
	s_ashr_i32 s4, s4, 31
	s_load_b32 s8, s[0:1], 0x8c
	s_mul_i32 s4, s28, s4
	s_delay_alu instid0(SALU_CYCLE_1) | instskip(NEXT) | instid1(SALU_CYCLE_1)
	s_add_i32 s0, s31, s4
	s_add_i32 s27, s0, s33
	s_delay_alu instid0(SALU_CYCLE_1) | instskip(NEXT) | instid1(SALU_CYCLE_1)
	s_lshl_b64 s[0:1], s[26:27], 1
	s_add_u32 s0, s16, s0
	s_addc_u32 s9, s17, s1
	s_ashr_i32 s1, s5, 31
	s_delay_alu instid0(SALU_CYCLE_1) | instskip(NEXT) | instid1(SALU_CYCLE_1)
	s_mul_i32 s3, s3, s1
	s_add_i32 s1, s29, s3
	s_delay_alu instid0(SALU_CYCLE_1) | instskip(NEXT) | instid1(SALU_CYCLE_1)
	s_add_i32 s23, s1, s30
	s_lshl_b64 s[4:5], s[22:23], 1
	s_delay_alu instid0(SALU_CYCLE_1)
	s_add_u32 s1, s0, s4
	s_addc_u32 s3, s9, s5
	s_waitcnt lgkmcnt(0)
	s_and_b32 s4, s8, 0xffff
	s_mov_b32 s5, 0
	.p2align	6
.LBB29_12:                              ; =>This Inner Loop Header: Depth=1
	v_ashrrev_i32_e32 v1, 31, v0
	s_delay_alu instid0(VALU_DEP_1) | instskip(SKIP_1) | instid1(VALU_DEP_2)
	v_lshlrev_b64 v[1:2], 1, v[0:1]
	v_add_nc_u32_e32 v0, s4, v0
	v_add_co_u32 v3, vcc_lo, s2, v1
	s_delay_alu instid0(VALU_DEP_3) | instskip(NEXT) | instid1(VALU_DEP_3)
	v_add_co_ci_u32_e32 v4, vcc_lo, s7, v2, vcc_lo
	v_cmp_le_i32_e32 vcc_lo, s6, v0
	v_add_co_u32 v1, s0, s1, v1
	global_load_u16 v3, v[3:4], off
	v_add_co_ci_u32_e64 v2, s0, s3, v2, s0
	s_or_b32 s5, vcc_lo, s5
	s_waitcnt vmcnt(0)
	global_store_b16 v[1:2], v3, off
	s_and_not1_b32 exec_lo, exec_lo, s5
	s_cbranch_execnz .LBB29_12
.LBB29_13:
	s_nop 0
	s_sendmsg sendmsg(MSG_DEALLOC_VGPRS)
	s_endpgm
.LBB29_14:
                                        ; implicit-def: $sgpr28_sgpr29
	s_branch .LBB29_6
	.section	.rodata,"a",@progbits
	.p2align	6, 0x0
	.amdhsa_kernel _ZN4vllm38concat_and_cache_mla_rope_fused_kernelIN3c104HalfENS1_8BFloat16ELb0EttLNS_18Fp8KVCacheDataTypeE0EEEvPKlPT_S8_PKS7_PKT0_illlliPT3_S6_iiiiPKf
		.amdhsa_group_segment_fixed_size 0
		.amdhsa_private_segment_fixed_size 0
		.amdhsa_kernarg_size 384
		.amdhsa_user_sgpr_count 15
		.amdhsa_user_sgpr_dispatch_ptr 0
		.amdhsa_user_sgpr_queue_ptr 0
		.amdhsa_user_sgpr_kernarg_segment_ptr 1
		.amdhsa_user_sgpr_dispatch_id 0
		.amdhsa_user_sgpr_private_segment_size 0
		.amdhsa_wavefront_size32 1
		.amdhsa_uses_dynamic_stack 0
		.amdhsa_enable_private_segment 0
		.amdhsa_system_sgpr_workgroup_id_x 1
		.amdhsa_system_sgpr_workgroup_id_y 0
		.amdhsa_system_sgpr_workgroup_id_z 0
		.amdhsa_system_sgpr_workgroup_info 0
		.amdhsa_system_vgpr_workitem_id 0
		.amdhsa_next_free_vgpr 17
		.amdhsa_next_free_sgpr 43
		.amdhsa_reserve_vcc 1
		.amdhsa_float_round_mode_32 0
		.amdhsa_float_round_mode_16_64 0
		.amdhsa_float_denorm_mode_32 3
		.amdhsa_float_denorm_mode_16_64 3
		.amdhsa_dx10_clamp 1
		.amdhsa_ieee_mode 1
		.amdhsa_fp16_overflow 0
		.amdhsa_workgroup_processor_mode 1
		.amdhsa_memory_ordered 1
		.amdhsa_forward_progress 0
		.amdhsa_shared_vgpr_count 0
		.amdhsa_exception_fp_ieee_invalid_op 0
		.amdhsa_exception_fp_denorm_src 0
		.amdhsa_exception_fp_ieee_div_zero 0
		.amdhsa_exception_fp_ieee_overflow 0
		.amdhsa_exception_fp_ieee_underflow 0
		.amdhsa_exception_fp_ieee_inexact 0
		.amdhsa_exception_int_div_zero 0
	.end_amdhsa_kernel
	.section	.text._ZN4vllm38concat_and_cache_mla_rope_fused_kernelIN3c104HalfENS1_8BFloat16ELb0EttLNS_18Fp8KVCacheDataTypeE0EEEvPKlPT_S8_PKS7_PKT0_illlliPT3_S6_iiiiPKf,"axG",@progbits,_ZN4vllm38concat_and_cache_mla_rope_fused_kernelIN3c104HalfENS1_8BFloat16ELb0EttLNS_18Fp8KVCacheDataTypeE0EEEvPKlPT_S8_PKS7_PKT0_illlliPT3_S6_iiiiPKf,comdat
.Lfunc_end29:
	.size	_ZN4vllm38concat_and_cache_mla_rope_fused_kernelIN3c104HalfENS1_8BFloat16ELb0EttLNS_18Fp8KVCacheDataTypeE0EEEvPKlPT_S8_PKS7_PKT0_illlliPT3_S6_iiiiPKf, .Lfunc_end29-_ZN4vllm38concat_and_cache_mla_rope_fused_kernelIN3c104HalfENS1_8BFloat16ELb0EttLNS_18Fp8KVCacheDataTypeE0EEEvPKlPT_S8_PKS7_PKT0_illlliPT3_S6_iiiiPKf
                                        ; -- End function
	.section	.AMDGPU.csdata,"",@progbits
; Kernel info:
; codeLenInByte = 2324
; NumSgprs: 45
; NumVgprs: 17
; ScratchSize: 0
; MemoryBound: 0
; FloatMode: 240
; IeeeMode: 1
; LDSByteSize: 0 bytes/workgroup (compile time only)
; SGPRBlocks: 5
; VGPRBlocks: 2
; NumSGPRsForWavesPerEU: 45
; NumVGPRsForWavesPerEU: 17
; Occupancy: 16
; WaveLimiterHint : 1
; COMPUTE_PGM_RSRC2:SCRATCH_EN: 0
; COMPUTE_PGM_RSRC2:USER_SGPR: 15
; COMPUTE_PGM_RSRC2:TRAP_HANDLER: 0
; COMPUTE_PGM_RSRC2:TGID_X_EN: 1
; COMPUTE_PGM_RSRC2:TGID_Y_EN: 0
; COMPUTE_PGM_RSRC2:TGID_Z_EN: 0
; COMPUTE_PGM_RSRC2:TIDIG_COMP_CNT: 0
	.section	.text._ZN4vllm38concat_and_cache_mla_rope_fused_kernelIN3c108BFloat16EfLb1EttLNS_18Fp8KVCacheDataTypeE0EEEvPKlPT_S7_PKS6_PKT0_illlliPT3_S5_iiiiPKf,"axG",@progbits,_ZN4vllm38concat_and_cache_mla_rope_fused_kernelIN3c108BFloat16EfLb1EttLNS_18Fp8KVCacheDataTypeE0EEEvPKlPT_S7_PKS6_PKT0_illlliPT3_S5_iiiiPKf,comdat
	.protected	_ZN4vllm38concat_and_cache_mla_rope_fused_kernelIN3c108BFloat16EfLb1EttLNS_18Fp8KVCacheDataTypeE0EEEvPKlPT_S7_PKS6_PKT0_illlliPT3_S5_iiiiPKf ; -- Begin function _ZN4vllm38concat_and_cache_mla_rope_fused_kernelIN3c108BFloat16EfLb1EttLNS_18Fp8KVCacheDataTypeE0EEEvPKlPT_S7_PKS6_PKT0_illlliPT3_S5_iiiiPKf
	.globl	_ZN4vllm38concat_and_cache_mla_rope_fused_kernelIN3c108BFloat16EfLb1EttLNS_18Fp8KVCacheDataTypeE0EEEvPKlPT_S7_PKS6_PKT0_illlliPT3_S5_iiiiPKf
	.p2align	8
	.type	_ZN4vllm38concat_and_cache_mla_rope_fused_kernelIN3c108BFloat16EfLb1EttLNS_18Fp8KVCacheDataTypeE0EEEvPKlPT_S7_PKS6_PKT0_illlliPT3_S5_iiiiPKf,@function
_ZN4vllm38concat_and_cache_mla_rope_fused_kernelIN3c108BFloat16EfLb1EttLNS_18Fp8KVCacheDataTypeE0EEEvPKlPT_S7_PKS6_PKT0_illlliPT3_S5_iiiiPKf: ; @_ZN4vllm38concat_and_cache_mla_rope_fused_kernelIN3c108BFloat16EfLb1EttLNS_18Fp8KVCacheDataTypeE0EEEvPKlPT_S7_PKS6_PKT0_illlliPT3_S5_iiiiPKf
; %bb.0:
	s_load_b64 s[4:5], s[0:1], 0x60
	s_mov_b32 s16, s15
	s_mov_b32 s17, 0
	s_delay_alu instid0(SALU_CYCLE_1)
	s_lshl_b64 s[2:3], s[16:17], 3
	s_waitcnt lgkmcnt(0)
	s_add_u32 s4, s4, s2
	s_addc_u32 s5, s5, s3
	s_load_b64 s[26:27], s[4:5], 0x0
	s_waitcnt lgkmcnt(0)
	v_cmp_lt_i64_e64 s4, s[26:27], 0
	s_delay_alu instid0(VALU_DEP_1)
	s_and_b32 vcc_lo, exec_lo, s4
	s_cbranch_vccnz .LBB30_13
; %bb.1:
	s_clause 0x3
	s_load_b32 s21, s[0:1], 0x28
	s_load_b64 s[4:5], s[0:1], 0x0
	s_load_b128 s[12:15], s[0:1], 0x10
	s_load_b32 s17, s[0:1], 0x50
	s_mov_b32 s30, exec_lo
	s_waitcnt lgkmcnt(0)
	s_ashr_i32 s24, s21, 31
	s_add_u32 s2, s4, s2
	s_addc_u32 s3, s5, s3
	s_lshr_b32 s20, s21, 31
	s_load_b64 s[2:3], s[2:3], 0x0
	s_clause 0x2
	s_load_b64 s[22:23], s[0:1], 0x20
	s_load_b64 s[18:19], s[0:1], 0x58
	s_load_b256 s[4:11], s[0:1], 0x30
	s_add_i32 s20, s21, s20
	s_delay_alu instid0(SALU_CYCLE_1) | instskip(NEXT) | instid1(SALU_CYCLE_1)
	s_ashr_i32 s20, s20, 1
	s_mul_i32 s17, s20, s17
	s_waitcnt lgkmcnt(0)
	s_mul_i32 s24, s2, s24
	s_mul_hi_u32 s25, s2, s21
	s_mul_i32 s3, s3, s21
	s_add_i32 s24, s25, s24
	s_delay_alu instid0(SALU_CYCLE_1)
	s_add_i32 s25, s24, s3
	s_mul_i32 s24, s2, s21
	v_cmpx_gt_i32_e64 s17, v0
	s_cbranch_execz .LBB30_4
; %bb.2:
	s_load_b64 s[2:3], s[0:1], 0x8
	s_lshl_b64 s[28:29], s[24:25], 2
	s_mul_i32 s5, s16, s5
	s_mul_hi_u32 s21, s16, s4
	s_add_u32 s31, s22, s28
	s_load_b32 s28, s[0:1], 0x8c
	s_mul_i32 s4, s16, s4
	s_addc_u32 s33, s23, s29
	s_add_i32 s5, s21, s5
	s_ashr_i32 s21, s20, 31
	s_lshl_b64 s[4:5], s[4:5], 1
	s_mov_b32 s37, 0
	s_waitcnt lgkmcnt(0)
	s_add_u32 s34, s2, s4
	s_addc_u32 s35, s3, s5
	s_abs_i32 s36, s20
	s_sub_i32 s39, 0, s20
	v_cvt_f32_u32_e32 v1, s36
	s_sub_i32 s2, 0, s36
	s_and_b32 s38, s28, 0xffff
	s_lshl_b64 s[4:5], s[20:21], 2
	s_lshl_b64 s[28:29], s[20:21], 1
	v_rcp_iflag_f32_e32 v1, v1
	s_waitcnt_depctr 0xfff
	v_mul_f32_e32 v1, 0x4f7ffffe, v1
	s_delay_alu instid0(VALU_DEP_1) | instskip(NEXT) | instid1(VALU_DEP_1)
	v_cvt_u32_f32_e32 v1, v1
	v_mul_lo_u32 v2, s2, v1
	s_delay_alu instid0(VALU_DEP_1) | instskip(NEXT) | instid1(VALU_DEP_1)
	v_mul_hi_u32 v2, v1, v2
	v_dual_mov_b32 v1, v0 :: v_dual_add_nc_u32 v2, v1, v2
.LBB30_3:                               ; =>This Inner Loop Header: Depth=1
	s_delay_alu instid0(VALU_DEP_1) | instskip(SKIP_1) | instid1(VALU_DEP_2)
	v_sub_nc_u32_e32 v3, 0, v1
	v_ashrrev_i32_e32 v4, 31, v1
	v_max_i32_e32 v3, v1, v3
	s_delay_alu instid0(VALU_DEP_2) | instskip(NEXT) | instid1(VALU_DEP_2)
	v_xor_b32_e32 v4, s21, v4
	v_mul_hi_u32 v5, v3, v2
	s_delay_alu instid0(VALU_DEP_1) | instskip(SKIP_1) | instid1(VALU_DEP_2)
	v_mul_lo_u32 v6, v5, s36
	v_add_nc_u32_e32 v7, 1, v5
	v_sub_nc_u32_e32 v3, v3, v6
	s_delay_alu instid0(VALU_DEP_1) | instskip(SKIP_1) | instid1(VALU_DEP_4)
	v_subrev_nc_u32_e32 v6, s36, v3
	v_cmp_le_u32_e32 vcc_lo, s36, v3
	v_cndmask_b32_e32 v5, v5, v7, vcc_lo
	s_delay_alu instid0(VALU_DEP_1) | instskip(NEXT) | instid1(VALU_DEP_1)
	v_dual_cndmask_b32 v3, v3, v6 :: v_dual_add_nc_u32 v6, 1, v5
	v_cmp_le_u32_e32 vcc_lo, s36, v3
	s_delay_alu instid0(VALU_DEP_2) | instskip(NEXT) | instid1(VALU_DEP_1)
	v_cndmask_b32_e32 v3, v5, v6, vcc_lo
	v_xor_b32_e32 v3, v3, v4
	s_delay_alu instid0(VALU_DEP_1) | instskip(NEXT) | instid1(VALU_DEP_1)
	v_sub_nc_u32_e32 v7, v3, v4
	v_ashrrev_i32_e32 v8, 31, v7
	v_mad_u64_u32 v[3:4], null, s39, v7, v[1:2]
	v_mul_lo_u32 v9, v7, s7
	v_mad_u64_u32 v[5:6], null, v7, s6, 0
	s_delay_alu instid0(VALU_DEP_4) | instskip(SKIP_2) | instid1(VALU_DEP_3)
	v_mul_lo_u32 v7, v8, s6
	v_add_nc_u32_e32 v1, s38, v1
	v_ashrrev_i32_e32 v4, 31, v3
	v_add3_u32 v6, v6, v9, v7
	s_delay_alu instid0(VALU_DEP_2) | instskip(SKIP_1) | instid1(VALU_DEP_3)
	v_lshlrev_b64 v[7:8], 2, v[3:4]
	v_lshlrev_b64 v[3:4], 1, v[3:4]
	;; [unrolled: 1-line block ×3, first 2 shown]
	s_delay_alu instid0(VALU_DEP_3) | instskip(NEXT) | instid1(VALU_DEP_4)
	v_add_co_u32 v7, vcc_lo, s31, v7
	v_add_co_ci_u32_e32 v8, vcc_lo, s33, v8, vcc_lo
	global_load_b32 v9, v[7:8], off
	v_add_co_u32 v7, vcc_lo, v7, s4
	v_add_co_ci_u32_e32 v8, vcc_lo, s5, v8, vcc_lo
	v_add_co_u32 v5, vcc_lo, s34, v5
	v_add_co_ci_u32_e32 v6, vcc_lo, s35, v6, vcc_lo
	global_load_b32 v7, v[7:8], off
	v_add_co_u32 v3, vcc_lo, v5, v3
	v_add_co_ci_u32_e32 v4, vcc_lo, v6, v4, vcc_lo
	s_delay_alu instid0(VALU_DEP_2) | instskip(NEXT) | instid1(VALU_DEP_2)
	v_add_co_u32 v5, vcc_lo, v3, s28
	v_add_co_ci_u32_e32 v6, vcc_lo, s29, v4, vcc_lo
	s_clause 0x1
	global_load_u16 v8, v[3:4], off
	global_load_u16 v10, v[5:6], off
	s_waitcnt vmcnt(3)
	v_bfe_u32 v11, v9, 16, 1
	v_cmp_o_f32_e32 vcc_lo, v9, v9
	s_delay_alu instid0(VALU_DEP_2) | instskip(SKIP_2) | instid1(VALU_DEP_2)
	v_add3_u32 v11, v9, v11, 0x7fff
	s_waitcnt vmcnt(2)
	v_bfe_u32 v12, v7, 16, 1
	v_and_b32_e32 v11, 0xffff0000, v11
	s_delay_alu instid0(VALU_DEP_2) | instskip(NEXT) | instid1(VALU_DEP_2)
	v_add3_u32 v12, v7, v12, 0x7fff
	v_cndmask_b32_e32 v9, 0x7fc00000, v11, vcc_lo
	v_cmp_o_f32_e32 vcc_lo, v7, v7
	s_delay_alu instid0(VALU_DEP_3) | instskip(SKIP_3) | instid1(VALU_DEP_2)
	v_and_b32_e32 v11, 0xffff0000, v12
	s_waitcnt vmcnt(1)
	v_lshlrev_b32_e32 v8, 16, v8
	s_waitcnt vmcnt(0)
	v_dual_cndmask_b32 v11, 0x7fc00000, v11 :: v_dual_lshlrev_b32 v10, 16, v10
	s_delay_alu instid0(VALU_DEP_2) | instskip(NEXT) | instid1(VALU_DEP_2)
	v_mul_f32_e32 v7, v9, v8
	v_mul_f32_e32 v8, v11, v8
	s_delay_alu instid0(VALU_DEP_2) | instskip(SKIP_1) | instid1(VALU_DEP_3)
	v_bfe_u32 v12, v7, 16, 1
	v_cmp_o_f32_e64 s2, v7, v7
	v_bfe_u32 v14, v8, 16, 1
	s_delay_alu instid0(VALU_DEP_3) | instskip(SKIP_2) | instid1(VALU_DEP_4)
	v_add3_u32 v12, v7, v12, 0x7fff
	v_mul_f32_e32 v9, v9, v10
	v_mul_f32_e32 v10, v11, v10
	v_add3_u32 v14, v8, v14, 0x7fff
	s_delay_alu instid0(VALU_DEP_4) | instskip(NEXT) | instid1(VALU_DEP_4)
	v_and_b32_e32 v12, 0xffff0000, v12
	v_bfe_u32 v11, v9, 16, 1
	s_delay_alu instid0(VALU_DEP_4) | instskip(SKIP_1) | instid1(VALU_DEP_3)
	v_bfe_u32 v13, v10, 16, 1
	v_cmp_o_f32_e32 vcc_lo, v9, v9
	v_add3_u32 v11, v9, v11, 0x7fff
	s_delay_alu instid0(VALU_DEP_3) | instskip(SKIP_4) | instid1(VALU_DEP_1)
	v_add3_u32 v13, v10, v13, 0x7fff
	v_cndmask_b32_e64 v9, 0x7fc00000, v12, s2
	v_and_b32_e32 v12, 0xffff0000, v14
	v_cmp_o_f32_e64 s2, v10, v10
	v_and_b32_e32 v11, 0xffff0000, v11
	v_cndmask_b32_e32 v11, 0x7fc00000, v11, vcc_lo
	v_cmp_o_f32_e32 vcc_lo, v8, v8
	v_cndmask_b32_e32 v8, 0x7fc00000, v12, vcc_lo
	v_and_b32_e32 v7, 0xffff0000, v13
	v_cmp_le_i32_e32 vcc_lo, s17, v1
	s_delay_alu instid0(VALU_DEP_3) | instskip(NEXT) | instid1(VALU_DEP_3)
	v_add_f32_e32 v8, v11, v8
	v_cndmask_b32_e64 v7, 0x7fc00000, v7, s2
	s_or_b32 s37, vcc_lo, s37
	s_delay_alu instid0(VALU_DEP_2) | instskip(NEXT) | instid1(VALU_DEP_2)
	v_bfe_u32 v10, v8, 16, 1
	v_sub_f32_e32 v7, v9, v7
	v_cmp_o_f32_e64 s2, v8, v8
	s_delay_alu instid0(VALU_DEP_3) | instskip(NEXT) | instid1(VALU_DEP_3)
	v_add3_u32 v10, v8, v10, 0x7fff
	v_bfe_u32 v9, v7, 16, 1
	v_cmp_o_f32_e64 s3, v7, v7
	s_delay_alu instid0(VALU_DEP_3) | instskip(NEXT) | instid1(VALU_DEP_3)
	v_lshrrev_b32_e32 v10, 16, v10
	v_add3_u32 v9, v7, v9, 0x7fff
	s_delay_alu instid0(VALU_DEP_2) | instskip(NEXT) | instid1(VALU_DEP_2)
	v_cndmask_b32_e64 v8, 0x7fc0, v10, s2
	v_lshrrev_b32_e32 v9, 16, v9
	s_delay_alu instid0(VALU_DEP_1)
	v_cndmask_b32_e64 v7, 0x7fc0, v9, s3
	s_clause 0x1
	global_store_b16 v[3:4], v7, off
	global_store_b16 v[5:6], v8, off
	s_and_not1_b32 exec_lo, exec_lo, s37
	s_cbranch_execnz .LBB30_3
.LBB30_4:
	s_or_b32 exec_lo, exec_lo, s30
	s_load_b128 s[4:7], s[0:1], 0x68
	s_waitcnt lgkmcnt(0)
	s_ashr_i32 s3, s7, 31
	s_mov_b32 s2, s7
	s_delay_alu instid0(SALU_CYCLE_1) | instskip(SKIP_1) | instid1(SALU_CYCLE_1)
	s_or_b64 s[30:31], s[26:27], s[2:3]
	s_mov_b32 s30, 0
	s_cmp_lg_u64 s[30:31], 0
	s_cbranch_scc0 .LBB30_14
; %bb.5:
	s_add_u32 s34, s2, s3
	s_mov_b32 s28, s3
	s_mov_b32 s29, s3
	s_addc_u32 s35, s3, s3
	s_delay_alu instid0(SALU_CYCLE_1) | instskip(NEXT) | instid1(SALU_CYCLE_1)
	s_xor_b64 s[34:35], s[34:35], s[28:29]
	v_cvt_f32_u32_e32 v1, s34
	v_cvt_f32_u32_e32 v2, s35
	s_sub_u32 s21, 0, s34
	s_subb_u32 s31, 0, s35
	s_delay_alu instid0(VALU_DEP_1) | instskip(NEXT) | instid1(VALU_DEP_1)
	v_fmamk_f32 v1, v2, 0x4f800000, v1
	v_rcp_f32_e32 v1, v1
	s_waitcnt_depctr 0xfff
	v_mul_f32_e32 v1, 0x5f7ffffc, v1
	s_delay_alu instid0(VALU_DEP_1) | instskip(NEXT) | instid1(VALU_DEP_1)
	v_mul_f32_e32 v2, 0x2f800000, v1
	v_trunc_f32_e32 v2, v2
	s_delay_alu instid0(VALU_DEP_1) | instskip(SKIP_1) | instid1(VALU_DEP_2)
	v_fmamk_f32 v1, v2, 0xcf800000, v1
	v_cvt_u32_f32_e32 v2, v2
	v_cvt_u32_f32_e32 v1, v1
	s_delay_alu instid0(VALU_DEP_2) | instskip(NEXT) | instid1(VALU_DEP_2)
	v_readfirstlane_b32 s7, v2
	v_readfirstlane_b32 s17, v1
	s_delay_alu instid0(VALU_DEP_2) | instskip(NEXT) | instid1(VALU_DEP_1)
	s_mul_i32 s33, s21, s7
	s_mul_hi_u32 s37, s21, s17
	s_mul_i32 s36, s31, s17
	s_add_i32 s33, s37, s33
	s_mul_i32 s38, s21, s17
	s_add_i32 s33, s33, s36
	s_mul_hi_u32 s37, s17, s38
	s_mul_hi_u32 s39, s7, s38
	s_mul_i32 s36, s7, s38
	s_mul_hi_u32 s38, s17, s33
	s_mul_i32 s17, s17, s33
	s_mul_hi_u32 s40, s7, s33
	s_add_u32 s17, s37, s17
	s_addc_u32 s37, 0, s38
	s_add_u32 s17, s17, s36
	s_mul_i32 s33, s7, s33
	s_addc_u32 s17, s37, s39
	s_addc_u32 s36, s40, 0
	s_add_u32 s17, s17, s33
	s_addc_u32 s33, 0, s36
	v_add_co_u32 v1, s17, v1, s17
	s_delay_alu instid0(VALU_DEP_1) | instskip(SKIP_1) | instid1(VALU_DEP_1)
	s_cmp_lg_u32 s17, 0
	s_addc_u32 s7, s7, s33
	v_readfirstlane_b32 s17, v1
	s_mul_i32 s33, s21, s7
	s_delay_alu instid0(VALU_DEP_1)
	s_mul_hi_u32 s36, s21, s17
	s_mul_i32 s31, s31, s17
	s_add_i32 s33, s36, s33
	s_mul_i32 s21, s21, s17
	s_add_i32 s33, s33, s31
	s_mul_hi_u32 s36, s7, s21
	s_mul_i32 s37, s7, s21
	s_mul_hi_u32 s21, s17, s21
	s_mul_hi_u32 s38, s17, s33
	s_mul_i32 s17, s17, s33
	s_mul_hi_u32 s31, s7, s33
	s_add_u32 s17, s21, s17
	s_addc_u32 s21, 0, s38
	s_add_u32 s17, s17, s37
	s_mul_i32 s33, s7, s33
	s_addc_u32 s17, s21, s36
	s_addc_u32 s21, s31, 0
	s_add_u32 s17, s17, s33
	s_addc_u32 s21, 0, s21
	v_add_co_u32 v1, s17, v1, s17
	s_delay_alu instid0(VALU_DEP_1) | instskip(SKIP_2) | instid1(VALU_DEP_1)
	s_cmp_lg_u32 s17, 0
	s_addc_u32 s7, s7, s21
	s_ashr_i32 s36, s27, 31
	v_readfirstlane_b32 s17, v1
	s_add_u32 s38, s26, s36
	s_mov_b32 s37, s36
	s_addc_u32 s39, s27, s36
	s_delay_alu instid0(SALU_CYCLE_1) | instskip(NEXT) | instid1(SALU_CYCLE_1)
	s_xor_b64 s[38:39], s[38:39], s[36:37]
	s_mul_i32 s31, s38, s7
	s_mul_hi_u32 s33, s38, s17
	s_mul_hi_u32 s21, s38, s7
	;; [unrolled: 1-line block ×3, first 2 shown]
	s_mul_i32 s17, s39, s17
	s_add_u32 s31, s33, s31
	s_addc_u32 s21, 0, s21
	s_mul_hi_u32 s40, s39, s7
	s_add_u32 s17, s31, s17
	s_mul_i32 s7, s39, s7
	s_addc_u32 s17, s21, s41
	s_addc_u32 s21, s40, 0
	s_add_u32 s7, s17, s7
	s_addc_u32 s17, 0, s21
	s_mul_hi_u32 s21, s34, s7
	s_mul_i32 s33, s34, s17
	s_mul_i32 s40, s34, s7
	s_add_i32 s21, s21, s33
	v_sub_co_u32 v1, s33, s38, s40
	s_mul_i32 s31, s35, s7
	s_delay_alu instid0(SALU_CYCLE_1) | instskip(NEXT) | instid1(VALU_DEP_1)
	s_add_i32 s21, s21, s31
	v_sub_co_u32 v2, s38, v1, s34
	s_sub_i32 s31, s39, s21
	s_cmp_lg_u32 s33, 0
	s_subb_u32 s31, s31, s35
	s_cmp_lg_u32 s38, 0
	v_readfirstlane_b32 s38, v2
	s_subb_u32 s31, s31, 0
	s_delay_alu instid0(SALU_CYCLE_1) | instskip(SKIP_1) | instid1(VALU_DEP_1)
	s_cmp_ge_u32 s31, s35
	s_cselect_b32 s40, -1, 0
	s_cmp_ge_u32 s38, s34
	s_cselect_b32 s38, -1, 0
	s_cmp_eq_u32 s31, s35
	s_cselect_b32 s31, s38, s40
	s_add_u32 s38, s7, 1
	s_addc_u32 s40, s17, 0
	s_add_u32 s41, s7, 2
	s_addc_u32 s42, s17, 0
	s_cmp_lg_u32 s31, 0
	s_cselect_b32 s31, s41, s38
	s_cselect_b32 s38, s42, s40
	s_cmp_lg_u32 s33, 0
	v_readfirstlane_b32 s33, v1
	s_subb_u32 s21, s39, s21
	s_delay_alu instid0(SALU_CYCLE_1) | instskip(SKIP_1) | instid1(VALU_DEP_1)
	s_cmp_ge_u32 s21, s35
	s_cselect_b32 s39, -1, 0
	s_cmp_ge_u32 s33, s34
	s_cselect_b32 s33, -1, 0
	s_cmp_eq_u32 s21, s35
	s_cselect_b32 s21, s33, s39
	s_delay_alu instid0(SALU_CYCLE_1) | instskip(SKIP_3) | instid1(SALU_CYCLE_1)
	s_cmp_lg_u32 s21, 0
	s_cselect_b32 s35, s38, s17
	s_cselect_b32 s34, s31, s7
	s_xor_b64 s[28:29], s[36:37], s[28:29]
	s_xor_b64 s[34:35], s[34:35], s[28:29]
	s_delay_alu instid0(SALU_CYCLE_1)
	s_sub_u32 s28, s34, s28
	s_subb_u32 s29, s35, s29
	s_and_not1_b32 vcc_lo, exec_lo, s30
	s_cbranch_vccnz .LBB30_7
.LBB30_6:
	v_cvt_f32_u32_e32 v1, s2
	s_sub_i32 s17, 0, s2
	s_mov_b32 s29, 0
	s_delay_alu instid0(VALU_DEP_1) | instskip(SKIP_2) | instid1(VALU_DEP_1)
	v_rcp_iflag_f32_e32 v1, v1
	s_waitcnt_depctr 0xfff
	v_mul_f32_e32 v1, 0x4f7ffffe, v1
	v_cvt_u32_f32_e32 v1, v1
	s_delay_alu instid0(VALU_DEP_1) | instskip(NEXT) | instid1(VALU_DEP_1)
	v_readfirstlane_b32 s7, v1
	s_mul_i32 s17, s17, s7
	s_delay_alu instid0(SALU_CYCLE_1) | instskip(NEXT) | instid1(SALU_CYCLE_1)
	s_mul_hi_u32 s17, s7, s17
	s_add_i32 s7, s7, s17
	s_delay_alu instid0(SALU_CYCLE_1) | instskip(NEXT) | instid1(SALU_CYCLE_1)
	s_mul_hi_u32 s7, s26, s7
	s_mul_i32 s17, s7, s2
	s_add_i32 s21, s7, 1
	s_sub_i32 s17, s26, s17
	s_delay_alu instid0(SALU_CYCLE_1)
	s_sub_i32 s28, s17, s2
	s_cmp_ge_u32 s17, s2
	s_cselect_b32 s7, s21, s7
	s_cselect_b32 s17, s28, s17
	s_add_i32 s21, s7, 1
	s_cmp_ge_u32 s17, s2
	s_cselect_b32 s28, s21, s7
.LBB30_7:
	s_delay_alu instid0(SALU_CYCLE_1)
	s_mul_i32 s3, s28, s3
	s_mul_hi_u32 s7, s28, s2
	s_mul_hi_u32 s34, s28, s4
	s_add_i32 s3, s7, s3
	s_mul_i32 s7, s29, s2
	s_mul_i32 s2, s28, s2
	s_add_i32 s3, s3, s7
	s_sub_u32 s17, s26, s2
	s_subb_u32 s33, s27, s3
	s_mul_i32 s35, s29, s4
	s_mul_i32 s30, s28, s4
	s_mul_hi_u32 s29, s17, s5
	s_mul_i32 s33, s33, s5
	s_mul_i32 s26, s17, s5
	s_mov_b32 s36, exec_lo
	v_cmpx_gt_i32_e64 s20, v0
	s_cbranch_execz .LBB30_10
; %bb.8:
	s_mul_i32 s3, s16, s9
	s_mul_hi_u32 s7, s16, s8
	s_mul_i32 s2, s16, s8
	s_add_i32 s3, s7, s3
	s_ashr_i32 s21, s20, 31
	s_lshl_b64 s[2:3], s[2:3], 1
	s_load_b32 s39, s[0:1], 0x8c
	s_add_u32 s37, s12, s2
	s_addc_u32 s38, s13, s3
	s_ashr_i32 s7, s4, 31
	s_ashr_i32 s8, s5, 31
	s_mul_i32 s7, s28, s7
	s_mul_i32 s8, s17, s8
	s_add_i32 s7, s34, s7
	s_add_i32 s8, s29, s8
	;; [unrolled: 1-line block ×4, first 2 shown]
	s_lshl_b64 s[8:9], s[30:31], 1
	s_lshl_b64 s[40:41], s[26:27], 1
	v_dual_mov_b32 v4, v0 :: v_dual_lshlrev_b32 v1, 2, v0
	s_add_u32 s44, s8, s40
	s_addc_u32 s45, s9, s41
	s_add_u32 s8, s44, s18
	s_addc_u32 s9, s45, s19
	s_ashr_i32 s7, s6, 31
	v_lshlrev_b32_e32 v3, 1, v0
	s_lshl_b64 s[40:41], s[6:7], 1
	s_delay_alu instid0(SALU_CYCLE_1)
	s_add_u32 s7, s8, s40
	s_addc_u32 s27, s9, s41
	s_lshl_b64 s[8:9], s[24:25], 2
	s_waitcnt lgkmcnt(0)
	s_and_b32 s31, s39, 0xffff
	s_add_u32 s8, s22, s8
	s_addc_u32 s9, s23, s9
	v_add_co_u32 v1, s8, s8, v1
	s_lshl_b64 s[42:43], s[20:21], 1
	v_add_co_ci_u32_e64 v2, null, s9, 0, s8
	s_lshl_b32 s22, s31, 2
	s_lshl_b64 s[8:9], s[20:21], 2
	s_add_u32 s2, s2, s42
	s_addc_u32 s3, s3, s43
	s_add_u32 s12, s12, s2
	s_addc_u32 s13, s13, s3
	s_lshl_b32 s21, s31, 1
	s_add_u32 s2, s44, s42
	s_addc_u32 s3, s45, s43
	s_add_u32 s2, s2, s40
	s_addc_u32 s3, s3, s41
	s_add_u32 s23, s18, s2
	s_mov_b32 s24, 0
	s_addc_u32 s25, s19, s3
.LBB30_9:                               ; =>This Inner Loop Header: Depth=1
	global_load_b32 v13, v[1:2], off
	v_add_co_u32 v5, vcc_lo, v1, s8
	v_add_co_u32 v7, s2, s37, v3
	v_add_co_ci_u32_e32 v6, vcc_lo, s9, v2, vcc_lo
	v_add_co_ci_u32_e64 v8, null, s38, 0, s2
	v_add_co_u32 v9, s2, s12, v3
	s_delay_alu instid0(VALU_DEP_1)
	v_add_co_ci_u32_e64 v10, null, s13, 0, s2
	global_load_b32 v14, v[5:6], off
	global_load_u16 v15, v[7:8], off
	global_load_u16 v16, v[9:10], off
	v_add_co_u32 v1, vcc_lo, v1, s22
	v_add_co_ci_u32_e32 v2, vcc_lo, 0, v2, vcc_lo
	v_add_co_u32 v5, s2, s7, v3
	s_delay_alu instid0(VALU_DEP_1) | instskip(SKIP_1) | instid1(VALU_DEP_1)
	v_add_co_ci_u32_e64 v6, null, s27, 0, s2
	v_add_co_u32 v11, s2, s23, v3
	v_add_co_ci_u32_e64 v12, null, s25, 0, s2
	s_add_u32 s12, s12, s21
	s_addc_u32 s13, s13, 0
	s_add_u32 s37, s37, s21
	s_addc_u32 s38, s38, 0
	;; [unrolled: 2-line block ×4, first 2 shown]
	s_waitcnt vmcnt(3)
	v_bfe_u32 v17, v13, 16, 1
	v_cmp_o_f32_e32 vcc_lo, v13, v13
	s_delay_alu instid0(VALU_DEP_2) | instskip(NEXT) | instid1(VALU_DEP_1)
	v_add3_u32 v17, v13, v17, 0x7fff
	v_and_b32_e32 v17, 0xffff0000, v17
	s_waitcnt vmcnt(2)
	v_bfe_u32 v18, v14, 16, 1
	s_waitcnt vmcnt(0)
	s_delay_alu instid0(VALU_DEP_2) | instskip(SKIP_1) | instid1(VALU_DEP_3)
	v_dual_cndmask_b32 v13, 0x7fc00000, v17 :: v_dual_lshlrev_b32 v16, 16, v16
	v_cmp_o_f32_e32 vcc_lo, v14, v14
	v_add3_u32 v18, v14, v18, 0x7fff
	s_delay_alu instid0(VALU_DEP_1) | instskip(NEXT) | instid1(VALU_DEP_1)
	v_and_b32_e32 v17, 0xffff0000, v18
	v_cndmask_b32_e32 v17, 0x7fc00000, v17, vcc_lo
	v_lshlrev_b32_e32 v15, 16, v15
	s_delay_alu instid0(VALU_DEP_1) | instskip(SKIP_1) | instid1(VALU_DEP_4)
	v_mul_f32_e32 v14, v13, v15
	v_mul_f32_e32 v13, v13, v16
	;; [unrolled: 1-line block ×3, first 2 shown]
	v_dual_mul_f32 v15, v17, v15 :: v_dual_add_nc_u32 v4, s31, v4
	s_delay_alu instid0(VALU_DEP_4) | instskip(NEXT) | instid1(VALU_DEP_4)
	v_bfe_u32 v18, v14, 16, 1
	v_bfe_u32 v19, v13, 16, 1
	v_cmp_o_f32_e64 s2, v14, v14
	v_cmp_o_f32_e32 vcc_lo, v13, v13
	v_bfe_u32 v20, v15, 16, 1
	v_add3_u32 v17, v14, v18, 0x7fff
	v_bfe_u32 v18, v16, 16, 1
	v_add3_u32 v19, v13, v19, 0x7fff
	s_delay_alu instid0(VALU_DEP_4) | instskip(NEXT) | instid1(VALU_DEP_4)
	v_add3_u32 v20, v15, v20, 0x7fff
	v_and_b32_e32 v17, 0xffff0000, v17
	s_delay_alu instid0(VALU_DEP_4) | instskip(NEXT) | instid1(VALU_DEP_4)
	v_add3_u32 v18, v16, v18, 0x7fff
	v_and_b32_e32 v19, 0xffff0000, v19
	s_delay_alu instid0(VALU_DEP_3) | instskip(NEXT) | instid1(VALU_DEP_3)
	v_cndmask_b32_e64 v14, 0x7fc00000, v17, s2
	v_and_b32_e32 v13, 0xffff0000, v18
	v_cmp_o_f32_e64 s2, v16, v16
	v_and_b32_e32 v17, 0xffff0000, v20
	v_cndmask_b32_e32 v18, 0x7fc00000, v19, vcc_lo
	v_cmp_o_f32_e32 vcc_lo, v15, v15
	s_delay_alu instid0(VALU_DEP_4) | instskip(NEXT) | instid1(VALU_DEP_4)
	v_cndmask_b32_e64 v13, 0x7fc00000, v13, s2
	v_cndmask_b32_e32 v15, 0x7fc00000, v17, vcc_lo
	v_cmp_le_i32_e32 vcc_lo, s20, v4
	s_delay_alu instid0(VALU_DEP_3) | instskip(NEXT) | instid1(VALU_DEP_3)
	v_sub_f32_e32 v13, v14, v13
	v_add_f32_e32 v14, v18, v15
	s_or_b32 s24, vcc_lo, s24
	s_delay_alu instid0(VALU_DEP_2) | instskip(SKIP_1) | instid1(VALU_DEP_3)
	v_bfe_u32 v15, v13, 16, 1
	v_cmp_o_f32_e64 s3, v13, v13
	v_bfe_u32 v16, v14, 16, 1
	v_cmp_o_f32_e64 s2, v14, v14
	s_delay_alu instid0(VALU_DEP_4) | instskip(NEXT) | instid1(VALU_DEP_3)
	v_add3_u32 v15, v13, v15, 0x7fff
	v_add3_u32 v16, v14, v16, 0x7fff
	s_delay_alu instid0(VALU_DEP_2) | instskip(NEXT) | instid1(VALU_DEP_2)
	v_lshrrev_b32_e32 v15, 16, v15
	v_lshrrev_b32_e32 v16, 16, v16
	s_delay_alu instid0(VALU_DEP_2) | instskip(NEXT) | instid1(VALU_DEP_2)
	v_cndmask_b32_e64 v13, 0x7fc0, v15, s3
	v_cndmask_b32_e64 v14, 0x7fc0, v16, s2
	global_store_b16 v[7:8], v13, off
	global_store_b16 v[9:10], v14, off
	;; [unrolled: 1-line block ×4, first 2 shown]
	s_and_not1_b32 exec_lo, exec_lo, s24
	s_cbranch_execnz .LBB30_9
.LBB30_10:
	s_or_b32 exec_lo, exec_lo, s36
	s_delay_alu instid0(SALU_CYCLE_1)
	s_mov_b32 s2, exec_lo
	v_cmpx_gt_i32_e64 s6, v0
	s_cbranch_execz .LBB30_13
; %bb.11:
	s_mul_i32 s3, s16, s11
	s_mul_hi_u32 s7, s16, s10
	s_mul_i32 s2, s16, s10
	s_add_i32 s3, s7, s3
	s_load_b32 s7, s[0:1], 0x8c
	s_lshl_b64 s[2:3], s[2:3], 1
	s_delay_alu instid0(SALU_CYCLE_1) | instskip(SKIP_2) | instid1(SALU_CYCLE_1)
	s_add_u32 s2, s14, s2
	s_addc_u32 s3, s15, s3
	s_ashr_i32 s4, s4, 31
	s_mul_i32 s4, s28, s4
	s_delay_alu instid0(SALU_CYCLE_1) | instskip(NEXT) | instid1(SALU_CYCLE_1)
	s_add_i32 s0, s34, s4
	s_add_i32 s31, s0, s35
	s_delay_alu instid0(SALU_CYCLE_1) | instskip(NEXT) | instid1(SALU_CYCLE_1)
	s_lshl_b64 s[0:1], s[30:31], 1
	s_add_u32 s0, s18, s0
	s_addc_u32 s8, s19, s1
	s_ashr_i32 s1, s5, 31
	s_delay_alu instid0(SALU_CYCLE_1) | instskip(NEXT) | instid1(SALU_CYCLE_1)
	s_mul_i32 s17, s17, s1
	s_add_i32 s1, s29, s17
	s_delay_alu instid0(SALU_CYCLE_1) | instskip(NEXT) | instid1(SALU_CYCLE_1)
	s_add_i32 s27, s1, s33
	s_lshl_b64 s[4:5], s[26:27], 1
	s_delay_alu instid0(SALU_CYCLE_1)
	s_add_u32 s1, s0, s4
	s_addc_u32 s4, s8, s5
	s_waitcnt lgkmcnt(0)
	s_and_b32 s5, s7, 0xffff
	s_mov_b32 s7, 0
	.p2align	6
.LBB30_12:                              ; =>This Inner Loop Header: Depth=1
	v_ashrrev_i32_e32 v1, 31, v0
	s_delay_alu instid0(VALU_DEP_1) | instskip(SKIP_1) | instid1(VALU_DEP_2)
	v_lshlrev_b64 v[1:2], 1, v[0:1]
	v_add_nc_u32_e32 v0, s5, v0
	v_add_co_u32 v3, vcc_lo, s2, v1
	s_delay_alu instid0(VALU_DEP_3) | instskip(NEXT) | instid1(VALU_DEP_3)
	v_add_co_ci_u32_e32 v4, vcc_lo, s3, v2, vcc_lo
	v_cmp_le_i32_e32 vcc_lo, s6, v0
	v_add_co_u32 v1, s0, s1, v1
	global_load_u16 v3, v[3:4], off
	v_add_co_ci_u32_e64 v2, s0, s4, v2, s0
	s_or_b32 s7, vcc_lo, s7
	s_waitcnt vmcnt(0)
	global_store_b16 v[1:2], v3, off
	s_and_not1_b32 exec_lo, exec_lo, s7
	s_cbranch_execnz .LBB30_12
.LBB30_13:
	s_nop 0
	s_sendmsg sendmsg(MSG_DEALLOC_VGPRS)
	s_endpgm
.LBB30_14:
                                        ; implicit-def: $sgpr28_sgpr29
	s_branch .LBB30_6
	.section	.rodata,"a",@progbits
	.p2align	6, 0x0
	.amdhsa_kernel _ZN4vllm38concat_and_cache_mla_rope_fused_kernelIN3c108BFloat16EfLb1EttLNS_18Fp8KVCacheDataTypeE0EEEvPKlPT_S7_PKS6_PKT0_illlliPT3_S5_iiiiPKf
		.amdhsa_group_segment_fixed_size 0
		.amdhsa_private_segment_fixed_size 0
		.amdhsa_kernarg_size 384
		.amdhsa_user_sgpr_count 15
		.amdhsa_user_sgpr_dispatch_ptr 0
		.amdhsa_user_sgpr_queue_ptr 0
		.amdhsa_user_sgpr_kernarg_segment_ptr 1
		.amdhsa_user_sgpr_dispatch_id 0
		.amdhsa_user_sgpr_private_segment_size 0
		.amdhsa_wavefront_size32 1
		.amdhsa_uses_dynamic_stack 0
		.amdhsa_enable_private_segment 0
		.amdhsa_system_sgpr_workgroup_id_x 1
		.amdhsa_system_sgpr_workgroup_id_y 0
		.amdhsa_system_sgpr_workgroup_id_z 0
		.amdhsa_system_sgpr_workgroup_info 0
		.amdhsa_system_vgpr_workitem_id 0
		.amdhsa_next_free_vgpr 21
		.amdhsa_next_free_sgpr 46
		.amdhsa_reserve_vcc 1
		.amdhsa_float_round_mode_32 0
		.amdhsa_float_round_mode_16_64 0
		.amdhsa_float_denorm_mode_32 3
		.amdhsa_float_denorm_mode_16_64 3
		.amdhsa_dx10_clamp 1
		.amdhsa_ieee_mode 1
		.amdhsa_fp16_overflow 0
		.amdhsa_workgroup_processor_mode 1
		.amdhsa_memory_ordered 1
		.amdhsa_forward_progress 0
		.amdhsa_shared_vgpr_count 0
		.amdhsa_exception_fp_ieee_invalid_op 0
		.amdhsa_exception_fp_denorm_src 0
		.amdhsa_exception_fp_ieee_div_zero 0
		.amdhsa_exception_fp_ieee_overflow 0
		.amdhsa_exception_fp_ieee_underflow 0
		.amdhsa_exception_fp_ieee_inexact 0
		.amdhsa_exception_int_div_zero 0
	.end_amdhsa_kernel
	.section	.text._ZN4vllm38concat_and_cache_mla_rope_fused_kernelIN3c108BFloat16EfLb1EttLNS_18Fp8KVCacheDataTypeE0EEEvPKlPT_S7_PKS6_PKT0_illlliPT3_S5_iiiiPKf,"axG",@progbits,_ZN4vllm38concat_and_cache_mla_rope_fused_kernelIN3c108BFloat16EfLb1EttLNS_18Fp8KVCacheDataTypeE0EEEvPKlPT_S7_PKS6_PKT0_illlliPT3_S5_iiiiPKf,comdat
.Lfunc_end30:
	.size	_ZN4vllm38concat_and_cache_mla_rope_fused_kernelIN3c108BFloat16EfLb1EttLNS_18Fp8KVCacheDataTypeE0EEEvPKlPT_S7_PKS6_PKT0_illlliPT3_S5_iiiiPKf, .Lfunc_end30-_ZN4vllm38concat_and_cache_mla_rope_fused_kernelIN3c108BFloat16EfLb1EttLNS_18Fp8KVCacheDataTypeE0EEEvPKlPT_S7_PKS6_PKT0_illlliPT3_S5_iiiiPKf
                                        ; -- End function
	.section	.AMDGPU.csdata,"",@progbits
; Kernel info:
; codeLenInByte = 3152
; NumSgprs: 48
; NumVgprs: 21
; ScratchSize: 0
; MemoryBound: 0
; FloatMode: 240
; IeeeMode: 1
; LDSByteSize: 0 bytes/workgroup (compile time only)
; SGPRBlocks: 5
; VGPRBlocks: 2
; NumSGPRsForWavesPerEU: 48
; NumVGPRsForWavesPerEU: 21
; Occupancy: 16
; WaveLimiterHint : 1
; COMPUTE_PGM_RSRC2:SCRATCH_EN: 0
; COMPUTE_PGM_RSRC2:USER_SGPR: 15
; COMPUTE_PGM_RSRC2:TRAP_HANDLER: 0
; COMPUTE_PGM_RSRC2:TGID_X_EN: 1
; COMPUTE_PGM_RSRC2:TGID_Y_EN: 0
; COMPUTE_PGM_RSRC2:TGID_Z_EN: 0
; COMPUTE_PGM_RSRC2:TIDIG_COMP_CNT: 0
	.section	.text._ZN4vllm38concat_and_cache_mla_rope_fused_kernelIN3c108BFloat16EfLb0EttLNS_18Fp8KVCacheDataTypeE0EEEvPKlPT_S7_PKS6_PKT0_illlliPT3_S5_iiiiPKf,"axG",@progbits,_ZN4vllm38concat_and_cache_mla_rope_fused_kernelIN3c108BFloat16EfLb0EttLNS_18Fp8KVCacheDataTypeE0EEEvPKlPT_S7_PKS6_PKT0_illlliPT3_S5_iiiiPKf,comdat
	.protected	_ZN4vllm38concat_and_cache_mla_rope_fused_kernelIN3c108BFloat16EfLb0EttLNS_18Fp8KVCacheDataTypeE0EEEvPKlPT_S7_PKS6_PKT0_illlliPT3_S5_iiiiPKf ; -- Begin function _ZN4vllm38concat_and_cache_mla_rope_fused_kernelIN3c108BFloat16EfLb0EttLNS_18Fp8KVCacheDataTypeE0EEEvPKlPT_S7_PKS6_PKT0_illlliPT3_S5_iiiiPKf
	.globl	_ZN4vllm38concat_and_cache_mla_rope_fused_kernelIN3c108BFloat16EfLb0EttLNS_18Fp8KVCacheDataTypeE0EEEvPKlPT_S7_PKS6_PKT0_illlliPT3_S5_iiiiPKf
	.p2align	8
	.type	_ZN4vllm38concat_and_cache_mla_rope_fused_kernelIN3c108BFloat16EfLb0EttLNS_18Fp8KVCacheDataTypeE0EEEvPKlPT_S7_PKS6_PKT0_illlliPT3_S5_iiiiPKf,@function
_ZN4vllm38concat_and_cache_mla_rope_fused_kernelIN3c108BFloat16EfLb0EttLNS_18Fp8KVCacheDataTypeE0EEEvPKlPT_S7_PKS6_PKT0_illlliPT3_S5_iiiiPKf: ; @_ZN4vllm38concat_and_cache_mla_rope_fused_kernelIN3c108BFloat16EfLb0EttLNS_18Fp8KVCacheDataTypeE0EEEvPKlPT_S7_PKS6_PKT0_illlliPT3_S5_iiiiPKf
; %bb.0:
	s_load_b64 s[4:5], s[0:1], 0x60
	s_mov_b32 s20, s15
	s_mov_b32 s21, 0
	s_delay_alu instid0(SALU_CYCLE_1)
	s_lshl_b64 s[2:3], s[20:21], 3
	s_waitcnt lgkmcnt(0)
	s_add_u32 s4, s4, s2
	s_addc_u32 s5, s5, s3
	s_load_b64 s[28:29], s[4:5], 0x0
	s_waitcnt lgkmcnt(0)
	v_cmp_lt_i64_e64 s4, s[28:29], 0
	s_delay_alu instid0(VALU_DEP_1)
	s_and_b32 vcc_lo, exec_lo, s4
	s_cbranch_vccnz .LBB31_13
; %bb.1:
	s_clause 0x3
	s_load_b32 s18, s[0:1], 0x28
	s_load_b64 s[4:5], s[0:1], 0x0
	s_load_b128 s[12:15], s[0:1], 0x10
	s_load_b32 s19, s[0:1], 0x50
	s_waitcnt lgkmcnt(0)
	s_ashr_i32 s21, s18, 31
	s_add_u32 s2, s4, s2
	s_addc_u32 s3, s5, s3
	s_load_b64 s[16:17], s[2:3], 0x0
	s_clause 0x2
	s_load_b64 s[26:27], s[0:1], 0x20
	s_load_b64 s[22:23], s[0:1], 0x58
	s_load_b256 s[4:11], s[0:1], 0x30
	s_lshr_b32 s2, s18, 31
	s_delay_alu instid0(SALU_CYCLE_1) | instskip(NEXT) | instid1(SALU_CYCLE_1)
	s_add_i32 s2, s18, s2
	s_ashr_i32 s24, s2, 1
	s_delay_alu instid0(SALU_CYCLE_1)
	s_mul_i32 s3, s24, s19
	s_waitcnt lgkmcnt(0)
	s_mul_i32 s2, s16, s21
	s_mul_hi_u32 s19, s16, s18
	s_mul_i32 s17, s17, s18
	s_add_i32 s2, s19, s2
	s_mul_i32 s30, s16, s18
	s_add_i32 s31, s2, s17
	s_mov_b32 s16, exec_lo
	v_cmpx_gt_i32_e64 s3, v0
	s_cbranch_execz .LBB31_4
; %bb.2:
	s_load_b64 s[34:35], s[0:1], 0x8
	s_lshl_b64 s[18:19], s[30:31], 2
	s_mul_i32 s2, s20, s5
	s_mul_hi_u32 s5, s20, s4
	s_add_u32 s17, s26, s18
	s_mul_i32 s4, s20, s4
	s_addc_u32 s18, s27, s19
	s_add_i32 s5, s5, s2
	s_load_b32 s2, s[0:1], 0x8c
	s_lshl_b64 s[4:5], s[4:5], 1
	s_ashr_i32 s25, s24, 31
	s_waitcnt lgkmcnt(0)
	s_add_u32 s19, s34, s4
	s_addc_u32 s21, s35, s5
	s_abs_i32 s33, s24
	s_mov_b32 s34, 0
	v_cvt_f32_u32_e32 v1, s33
	s_sub_i32 s4, 0, s33
	s_sub_i32 s36, 0, s24
	s_and_b32 s35, s2, 0xffff
	s_delay_alu instid0(VALU_DEP_1)
	v_rcp_iflag_f32_e32 v1, v1
	s_lshl_b32 s2, s24, 1
	s_lshl_b32 s38, s35, 1
	s_sub_i32 s37, 0, s2
	s_waitcnt_depctr 0xfff
	v_mul_f32_e32 v1, 0x4f7ffffe, v1
	s_delay_alu instid0(VALU_DEP_1) | instskip(NEXT) | instid1(VALU_DEP_1)
	v_cvt_u32_f32_e32 v2, v1
	v_mul_lo_u32 v1, s4, v2
	s_lshl_b64 s[4:5], s[24:25], 2
	s_delay_alu instid0(VALU_DEP_1) | instskip(SKIP_1) | instid1(VALU_DEP_2)
	v_mul_hi_u32 v3, v2, v1
	v_lshlrev_b32_e32 v1, 1, v0
	v_dual_mov_b32 v2, v0 :: v_dual_add_nc_u32 v3, v2, v3
.LBB31_3:                               ; =>This Inner Loop Header: Depth=1
	s_delay_alu instid0(VALU_DEP_1) | instskip(SKIP_1) | instid1(VALU_DEP_2)
	v_sub_nc_u32_e32 v4, 0, v2
	v_ashrrev_i32_e32 v5, 31, v2
	v_max_i32_e32 v4, v2, v4
	s_delay_alu instid0(VALU_DEP_2) | instskip(NEXT) | instid1(VALU_DEP_2)
	v_xor_b32_e32 v5, s25, v5
	v_mul_hi_u32 v6, v4, v3
	s_delay_alu instid0(VALU_DEP_1) | instskip(SKIP_1) | instid1(VALU_DEP_2)
	v_mul_lo_u32 v7, v6, s33
	v_add_nc_u32_e32 v8, 1, v6
	v_sub_nc_u32_e32 v4, v4, v7
	s_delay_alu instid0(VALU_DEP_1) | instskip(SKIP_1) | instid1(VALU_DEP_4)
	v_subrev_nc_u32_e32 v7, s33, v4
	v_cmp_le_u32_e32 vcc_lo, s33, v4
	v_cndmask_b32_e32 v6, v6, v8, vcc_lo
	s_delay_alu instid0(VALU_DEP_1) | instskip(NEXT) | instid1(VALU_DEP_1)
	v_dual_cndmask_b32 v4, v4, v7 :: v_dual_add_nc_u32 v7, 1, v6
	v_cmp_le_u32_e32 vcc_lo, s33, v4
	s_delay_alu instid0(VALU_DEP_2) | instskip(NEXT) | instid1(VALU_DEP_1)
	v_cndmask_b32_e32 v4, v6, v7, vcc_lo
	v_xor_b32_e32 v4, v4, v5
	s_delay_alu instid0(VALU_DEP_1) | instskip(NEXT) | instid1(VALU_DEP_1)
	v_sub_nc_u32_e32 v10, v4, v5
	v_mad_u64_u32 v[4:5], null, s36, v10, v[2:3]
	v_ashrrev_i32_e32 v5, 31, v10
	v_mul_lo_u32 v11, v10, s7
	v_mad_u64_u32 v[6:7], null, v10, s6, 0
	v_mad_u64_u32 v[8:9], null, s37, v10, v[1:2]
	s_delay_alu instid0(VALU_DEP_4) | instskip(SKIP_3) | instid1(VALU_DEP_3)
	v_mul_lo_u32 v10, v5, s6
	v_ashrrev_i32_e32 v5, 31, v4
	v_add_nc_u32_e32 v2, s35, v2
	v_add_nc_u32_e32 v1, s38, v1
	v_lshlrev_b64 v[4:5], 2, v[4:5]
	v_ashrrev_i32_e32 v9, 31, v8
	v_add3_u32 v7, v7, v11, v10
	s_delay_alu instid0(VALU_DEP_3) | instskip(NEXT) | instid1(VALU_DEP_4)
	v_add_co_u32 v4, vcc_lo, s17, v4
	v_add_co_ci_u32_e32 v5, vcc_lo, s18, v5, vcc_lo
	s_delay_alu instid0(VALU_DEP_3)
	v_lshlrev_b64 v[6:7], 1, v[6:7]
	v_lshlrev_b64 v[8:9], 1, v[8:9]
	global_load_b32 v10, v[4:5], off
	v_add_co_u32 v4, vcc_lo, v4, s4
	v_add_co_ci_u32_e32 v5, vcc_lo, s5, v5, vcc_lo
	v_add_co_u32 v6, vcc_lo, s19, v6
	v_add_co_ci_u32_e32 v7, vcc_lo, s21, v7, vcc_lo
	global_load_b32 v11, v[4:5], off
	v_add_co_u32 v4, vcc_lo, v6, v8
	v_add_co_ci_u32_e32 v5, vcc_lo, v7, v9, vcc_lo
	global_load_b32 v6, v[4:5], off
	s_waitcnt vmcnt(2)
	v_bfe_u32 v7, v10, 16, 1
	v_cmp_o_f32_e32 vcc_lo, v10, v10
	s_delay_alu instid0(VALU_DEP_2) | instskip(SKIP_2) | instid1(VALU_DEP_2)
	v_add3_u32 v7, v10, v7, 0x7fff
	s_waitcnt vmcnt(1)
	v_bfe_u32 v8, v11, 16, 1
	v_and_b32_e32 v7, 0xffff0000, v7
	s_delay_alu instid0(VALU_DEP_2) | instskip(NEXT) | instid1(VALU_DEP_2)
	v_add3_u32 v8, v11, v8, 0x7fff
	v_cndmask_b32_e32 v7, 0x7fc00000, v7, vcc_lo
	v_cmp_o_f32_e32 vcc_lo, v11, v11
	s_waitcnt vmcnt(0)
	v_lshlrev_b32_e32 v9, 16, v6
	v_and_b32_e32 v6, 0xffff0000, v6
	v_and_b32_e32 v8, 0xffff0000, v8
	s_delay_alu instid0(VALU_DEP_3) | instskip(NEXT) | instid1(VALU_DEP_2)
	v_mul_f32_e32 v10, v7, v9
	v_dual_mul_f32 v7, v7, v6 :: v_dual_cndmask_b32 v8, 0x7fc00000, v8
	s_delay_alu instid0(VALU_DEP_2) | instskip(NEXT) | instid1(VALU_DEP_2)
	v_bfe_u32 v11, v10, 16, 1
	v_cmp_o_f32_e64 s2, v7, v7
	s_delay_alu instid0(VALU_DEP_3) | instskip(SKIP_3) | instid1(VALU_DEP_2)
	v_mul_f32_e32 v6, v8, v6
	v_mul_f32_e32 v8, v8, v9
	v_bfe_u32 v9, v7, 16, 1
	v_add3_u32 v11, v10, v11, 0x7fff
	v_add3_u32 v9, v7, v9, 0x7fff
	s_delay_alu instid0(VALU_DEP_2) | instskip(SKIP_1) | instid1(VALU_DEP_3)
	v_and_b32_e32 v11, 0xffff0000, v11
	v_cmp_o_f32_e32 vcc_lo, v10, v10
	v_and_b32_e32 v9, 0xffff0000, v9
	v_bfe_u32 v12, v6, 16, 1
	s_delay_alu instid0(VALU_DEP_4) | instskip(NEXT) | instid1(VALU_DEP_3)
	v_cndmask_b32_e32 v11, 0x7fc00000, v11, vcc_lo
	v_cndmask_b32_e64 v9, 0x7fc00000, v9, s2
	s_delay_alu instid0(VALU_DEP_3) | instskip(SKIP_1) | instid1(VALU_DEP_2)
	v_add3_u32 v12, v6, v12, 0x7fff
	v_cmp_o_f32_e64 s2, v6, v6
	v_and_b32_e32 v7, 0xffff0000, v12
	v_bfe_u32 v13, v8, 16, 1
	v_cmp_o_f32_e32 vcc_lo, v8, v8
	s_delay_alu instid0(VALU_DEP_3) | instskip(NEXT) | instid1(VALU_DEP_3)
	v_cndmask_b32_e64 v6, 0x7fc00000, v7, s2
	v_add3_u32 v13, v8, v13, 0x7fff
	s_delay_alu instid0(VALU_DEP_1) | instskip(NEXT) | instid1(VALU_DEP_1)
	v_and_b32_e32 v10, 0xffff0000, v13
	v_cndmask_b32_e32 v7, 0x7fc00000, v10, vcc_lo
	s_delay_alu instid0(VALU_DEP_1) | instskip(NEXT) | instid1(VALU_DEP_1)
	v_add_f32_e32 v7, v9, v7
	v_bfe_u32 v9, v7, 16, 1
	v_cmp_o_f32_e32 vcc_lo, v7, v7
	s_delay_alu instid0(VALU_DEP_2) | instskip(NEXT) | instid1(VALU_DEP_1)
	v_add3_u32 v9, v7, v9, 0x7fff
	v_lshrrev_b32_e32 v9, 16, v9
	s_delay_alu instid0(VALU_DEP_1) | instskip(NEXT) | instid1(VALU_DEP_1)
	v_dual_sub_f32 v6, v11, v6 :: v_dual_cndmask_b32 v7, 0x7fc0, v9
	v_bfe_u32 v8, v6, 16, 1
	v_cmp_o_f32_e64 s2, v6, v6
	v_cmp_le_i32_e32 vcc_lo, s3, v2
	s_delay_alu instid0(VALU_DEP_3) | instskip(SKIP_1) | instid1(VALU_DEP_1)
	v_add3_u32 v8, v6, v8, 0x7fff
	s_or_b32 s34, vcc_lo, s34
	v_lshrrev_b32_e32 v8, 16, v8
	s_delay_alu instid0(VALU_DEP_1) | instskip(NEXT) | instid1(VALU_DEP_1)
	v_cndmask_b32_e64 v6, 0x7fc0, v8, s2
	v_perm_b32 v6, v7, v6, 0x5040100
	global_store_b32 v[4:5], v6, off
	s_and_not1_b32 exec_lo, exec_lo, s34
	s_cbranch_execnz .LBB31_3
.LBB31_4:
	s_or_b32 exec_lo, exec_lo, s16
	s_load_b128 s[16:19], s[0:1], 0x68
	s_waitcnt lgkmcnt(0)
	s_ashr_i32 s3, s19, 31
	s_mov_b32 s2, s19
	s_delay_alu instid0(SALU_CYCLE_1) | instskip(SKIP_1) | instid1(SALU_CYCLE_1)
	s_or_b64 s[4:5], s[28:29], s[2:3]
	s_mov_b32 s4, 0
	s_cmp_lg_u64 s[4:5], 0
	s_cbranch_scc0 .LBB31_14
; %bb.5:
	s_add_u32 s34, s2, s3
	s_mov_b32 s6, s3
	s_mov_b32 s7, s3
	s_addc_u32 s35, s3, s3
	s_delay_alu instid0(SALU_CYCLE_1) | instskip(NEXT) | instid1(SALU_CYCLE_1)
	s_xor_b64 s[34:35], s[34:35], s[6:7]
	v_cvt_f32_u32_e32 v1, s34
	v_cvt_f32_u32_e32 v2, s35
	s_sub_u32 s21, 0, s34
	s_subb_u32 s25, 0, s35
	s_delay_alu instid0(VALU_DEP_1) | instskip(NEXT) | instid1(VALU_DEP_1)
	v_fmamk_f32 v1, v2, 0x4f800000, v1
	v_rcp_f32_e32 v1, v1
	s_waitcnt_depctr 0xfff
	v_mul_f32_e32 v1, 0x5f7ffffc, v1
	s_delay_alu instid0(VALU_DEP_1) | instskip(NEXT) | instid1(VALU_DEP_1)
	v_mul_f32_e32 v2, 0x2f800000, v1
	v_trunc_f32_e32 v2, v2
	s_delay_alu instid0(VALU_DEP_1) | instskip(SKIP_1) | instid1(VALU_DEP_2)
	v_fmamk_f32 v1, v2, 0xcf800000, v1
	v_cvt_u32_f32_e32 v2, v2
	v_cvt_u32_f32_e32 v1, v1
	s_delay_alu instid0(VALU_DEP_2) | instskip(NEXT) | instid1(VALU_DEP_2)
	v_readfirstlane_b32 s5, v2
	v_readfirstlane_b32 s19, v1
	s_delay_alu instid0(VALU_DEP_2) | instskip(NEXT) | instid1(VALU_DEP_1)
	s_mul_i32 s33, s21, s5
	s_mul_hi_u32 s37, s21, s19
	s_mul_i32 s36, s25, s19
	s_add_i32 s33, s37, s33
	s_mul_i32 s38, s21, s19
	s_add_i32 s33, s33, s36
	s_mul_hi_u32 s37, s19, s38
	s_mul_hi_u32 s39, s5, s38
	s_mul_i32 s36, s5, s38
	s_mul_hi_u32 s38, s19, s33
	s_mul_i32 s19, s19, s33
	s_mul_hi_u32 s40, s5, s33
	s_add_u32 s19, s37, s19
	s_addc_u32 s37, 0, s38
	s_add_u32 s19, s19, s36
	s_mul_i32 s33, s5, s33
	s_addc_u32 s19, s37, s39
	s_addc_u32 s36, s40, 0
	s_add_u32 s19, s19, s33
	s_addc_u32 s33, 0, s36
	v_add_co_u32 v1, s19, v1, s19
	s_delay_alu instid0(VALU_DEP_1) | instskip(SKIP_1) | instid1(VALU_DEP_1)
	s_cmp_lg_u32 s19, 0
	s_addc_u32 s5, s5, s33
	v_readfirstlane_b32 s19, v1
	s_mul_i32 s33, s21, s5
	s_delay_alu instid0(VALU_DEP_1)
	s_mul_hi_u32 s36, s21, s19
	s_mul_i32 s25, s25, s19
	s_add_i32 s33, s36, s33
	s_mul_i32 s21, s21, s19
	s_add_i32 s33, s33, s25
	s_mul_hi_u32 s36, s5, s21
	s_mul_i32 s37, s5, s21
	s_mul_hi_u32 s21, s19, s21
	s_mul_hi_u32 s38, s19, s33
	s_mul_i32 s19, s19, s33
	s_mul_hi_u32 s25, s5, s33
	s_add_u32 s19, s21, s19
	s_addc_u32 s21, 0, s38
	s_add_u32 s19, s19, s37
	s_mul_i32 s33, s5, s33
	s_addc_u32 s19, s21, s36
	s_addc_u32 s21, s25, 0
	s_add_u32 s19, s19, s33
	s_addc_u32 s21, 0, s21
	v_add_co_u32 v1, s19, v1, s19
	s_delay_alu instid0(VALU_DEP_1) | instskip(SKIP_2) | instid1(VALU_DEP_1)
	s_cmp_lg_u32 s19, 0
	s_addc_u32 s5, s5, s21
	s_ashr_i32 s36, s29, 31
	v_readfirstlane_b32 s19, v1
	s_add_u32 s38, s28, s36
	s_mov_b32 s37, s36
	s_addc_u32 s39, s29, s36
	s_delay_alu instid0(SALU_CYCLE_1) | instskip(NEXT) | instid1(SALU_CYCLE_1)
	s_xor_b64 s[38:39], s[38:39], s[36:37]
	s_mul_i32 s25, s38, s5
	s_mul_hi_u32 s33, s38, s19
	s_mul_hi_u32 s21, s38, s5
	s_mul_hi_u32 s41, s39, s19
	s_mul_i32 s19, s39, s19
	s_add_u32 s25, s33, s25
	s_addc_u32 s21, 0, s21
	s_mul_hi_u32 s40, s39, s5
	s_add_u32 s19, s25, s19
	s_mul_i32 s5, s39, s5
	s_addc_u32 s19, s21, s41
	s_addc_u32 s21, s40, 0
	s_add_u32 s5, s19, s5
	s_addc_u32 s19, 0, s21
	s_mul_hi_u32 s21, s34, s5
	s_mul_i32 s33, s34, s19
	s_mul_i32 s40, s34, s5
	s_add_i32 s21, s21, s33
	v_sub_co_u32 v1, s33, s38, s40
	s_mul_i32 s25, s35, s5
	s_delay_alu instid0(SALU_CYCLE_1) | instskip(NEXT) | instid1(VALU_DEP_1)
	s_add_i32 s21, s21, s25
	v_sub_co_u32 v2, s38, v1, s34
	s_sub_i32 s25, s39, s21
	s_cmp_lg_u32 s33, 0
	s_subb_u32 s25, s25, s35
	s_cmp_lg_u32 s38, 0
	v_readfirstlane_b32 s38, v2
	s_subb_u32 s25, s25, 0
	s_delay_alu instid0(SALU_CYCLE_1) | instskip(SKIP_1) | instid1(VALU_DEP_1)
	s_cmp_ge_u32 s25, s35
	s_cselect_b32 s40, -1, 0
	s_cmp_ge_u32 s38, s34
	s_cselect_b32 s38, -1, 0
	s_cmp_eq_u32 s25, s35
	s_cselect_b32 s25, s38, s40
	s_add_u32 s38, s5, 1
	s_addc_u32 s40, s19, 0
	s_add_u32 s41, s5, 2
	s_addc_u32 s42, s19, 0
	s_cmp_lg_u32 s25, 0
	s_cselect_b32 s25, s41, s38
	s_cselect_b32 s38, s42, s40
	s_cmp_lg_u32 s33, 0
	v_readfirstlane_b32 s33, v1
	s_subb_u32 s21, s39, s21
	s_delay_alu instid0(SALU_CYCLE_1) | instskip(SKIP_1) | instid1(VALU_DEP_1)
	s_cmp_ge_u32 s21, s35
	s_cselect_b32 s39, -1, 0
	s_cmp_ge_u32 s33, s34
	s_cselect_b32 s33, -1, 0
	s_cmp_eq_u32 s21, s35
	s_cselect_b32 s21, s33, s39
	s_delay_alu instid0(SALU_CYCLE_1) | instskip(SKIP_3) | instid1(SALU_CYCLE_1)
	s_cmp_lg_u32 s21, 0
	s_cselect_b32 s35, s38, s19
	s_cselect_b32 s34, s25, s5
	s_xor_b64 s[6:7], s[36:37], s[6:7]
	s_xor_b64 s[34:35], s[34:35], s[6:7]
	s_delay_alu instid0(SALU_CYCLE_1)
	s_sub_u32 s6, s34, s6
	s_subb_u32 s7, s35, s7
	s_and_not1_b32 vcc_lo, exec_lo, s4
	s_cbranch_vccnz .LBB31_7
.LBB31_6:
	v_cvt_f32_u32_e32 v1, s2
	s_sub_i32 s5, 0, s2
	s_delay_alu instid0(VALU_DEP_1) | instskip(SKIP_2) | instid1(VALU_DEP_1)
	v_rcp_iflag_f32_e32 v1, v1
	s_waitcnt_depctr 0xfff
	v_mul_f32_e32 v1, 0x4f7ffffe, v1
	v_cvt_u32_f32_e32 v1, v1
	s_delay_alu instid0(VALU_DEP_1) | instskip(NEXT) | instid1(VALU_DEP_1)
	v_readfirstlane_b32 s4, v1
	s_mul_i32 s5, s5, s4
	s_delay_alu instid0(SALU_CYCLE_1) | instskip(NEXT) | instid1(SALU_CYCLE_1)
	s_mul_hi_u32 s5, s4, s5
	s_add_i32 s4, s4, s5
	s_delay_alu instid0(SALU_CYCLE_1) | instskip(NEXT) | instid1(SALU_CYCLE_1)
	s_mul_hi_u32 s4, s28, s4
	s_mul_i32 s5, s4, s2
	s_add_i32 s6, s4, 1
	s_sub_i32 s5, s28, s5
	s_delay_alu instid0(SALU_CYCLE_1)
	s_sub_i32 s7, s5, s2
	s_cmp_ge_u32 s5, s2
	s_cselect_b32 s4, s6, s4
	s_cselect_b32 s5, s7, s5
	s_add_i32 s6, s4, 1
	s_cmp_ge_u32 s5, s2
	s_mov_b32 s7, 0
	s_cselect_b32 s6, s6, s4
.LBB31_7:
	s_delay_alu instid0(SALU_CYCLE_1)
	s_mul_i32 s3, s6, s3
	s_mul_hi_u32 s4, s6, s2
	s_mul_hi_u32 s33, s6, s16
	s_add_i32 s3, s4, s3
	s_mul_i32 s4, s7, s2
	s_mul_i32 s2, s6, s2
	s_add_i32 s3, s3, s4
	s_sub_u32 s5, s28, s2
	s_subb_u32 s21, s29, s3
	s_mul_i32 s36, s7, s16
	s_mul_i32 s34, s6, s16
	s_mul_hi_u32 s7, s5, s17
	s_mul_i32 s21, s21, s17
	s_mul_i32 s28, s5, s17
	s_mov_b32 s37, exec_lo
	v_cmpx_gt_i32_e64 s24, v0
	s_cbranch_execz .LBB31_10
; %bb.8:
	s_load_b32 s4, s[0:1], 0x8c
	s_lshl_b64 s[2:3], s[30:31], 2
	v_lshlrev_b32_e32 v7, 2, v0
	s_ashr_i32 s25, s24, 31
	s_ashr_i32 s29, s16, 31
	;; [unrolled: 1-line block ×4, first 2 shown]
	s_mul_i32 s9, s9, s20
	s_mul_hi_u32 s31, s8, s20
	s_mul_i32 s8, s8, s20
	s_mul_i32 s29, s6, s29
	;; [unrolled: 1-line block ×3, first 2 shown]
	v_mov_b32_e32 v9, v0
	s_waitcnt lgkmcnt(0)
	s_and_b32 s30, s4, 0xffff
	s_add_u32 s4, s26, s2
	s_addc_u32 s27, s27, s3
	s_add_i32 s9, s31, s9
	v_add_co_u32 v1, s4, s4, v7
	s_lshl_b64 s[8:9], s[8:9], 1
	s_lshl_b32 s26, s30, 2
	s_lshl_b64 s[2:3], s[24:25], 2
	v_add_co_ci_u32_e64 v2, null, s27, 0, s4
	s_add_u32 s4, s12, s8
	s_addc_u32 s25, s13, s9
	s_add_i32 s8, s33, s29
	s_add_i32 s9, s7, s35
	;; [unrolled: 1-line block ×4, first 2 shown]
	s_lshl_b64 s[8:9], s[34:35], 1
	s_lshl_b64 s[12:13], s[28:29], 1
	v_add_co_u32 v3, vcc_lo, v1, s2
	s_add_u32 s8, s8, s12
	v_add_co_ci_u32_e32 v4, vcc_lo, s3, v2, vcc_lo
	s_addc_u32 s9, s9, s13
	s_lshl_b64 s[2:3], s[18:19], 1
	v_add_co_u32 v5, s4, s4, v7
	s_add_u32 s2, s22, s2
	s_addc_u32 s3, s23, s3
	s_add_u32 s2, s2, s8
	s_addc_u32 s3, s3, s9
	v_add_co_u32 v7, s2, s2, v7
	v_add_co_ci_u32_e64 v6, null, s25, 0, s4
	v_add_co_ci_u32_e64 v8, null, s3, 0, s2
	s_mov_b32 s12, 0
	s_mov_b64 s[8:9], 0
.LBB31_9:                               ; =>This Inner Loop Header: Depth=1
	s_delay_alu instid0(SALU_CYCLE_1)
	v_add_co_u32 v10, vcc_lo, v1, s8
	v_add_co_ci_u32_e32 v11, vcc_lo, s9, v2, vcc_lo
	v_add_co_u32 v12, vcc_lo, v3, s8
	v_add_co_ci_u32_e32 v13, vcc_lo, s9, v4, vcc_lo
	;; [unrolled: 2-line block ×3, first 2 shown]
	s_clause 0x1
	global_load_b32 v10, v[10:11], off
	global_load_b32 v11, v[12:13], off
	global_load_b32 v12, v[14:15], off
	v_add_nc_u32_e32 v9, s30, v9
	s_waitcnt vmcnt(2)
	v_bfe_u32 v13, v10, 16, 1
	s_waitcnt vmcnt(1)
	v_bfe_u32 v16, v11, 16, 1
	v_cmp_o_f32_e64 s2, v10, v10
	s_waitcnt vmcnt(0)
	v_lshlrev_b32_e32 v17, 16, v12
	v_cmp_o_f32_e32 vcc_lo, v11, v11
	v_add3_u32 v13, v10, v13, 0x7fff
	v_add3_u32 v16, v11, v16, 0x7fff
	s_delay_alu instid0(VALU_DEP_2) | instskip(NEXT) | instid1(VALU_DEP_2)
	v_and_b32_e32 v13, 0xffff0000, v13
	v_and_b32_e32 v16, 0xffff0000, v16
	s_delay_alu instid0(VALU_DEP_2) | instskip(SKIP_1) | instid1(VALU_DEP_3)
	v_cndmask_b32_e64 v10, 0x7fc00000, v13, s2
	v_and_b32_e32 v12, 0xffff0000, v12
	v_cndmask_b32_e32 v11, 0x7fc00000, v16, vcc_lo
	s_delay_alu instid0(VALU_DEP_3) | instskip(NEXT) | instid1(VALU_DEP_3)
	v_mul_f32_e32 v13, v10, v17
	v_mul_f32_e32 v10, v10, v12
	s_delay_alu instid0(VALU_DEP_3) | instskip(SKIP_1) | instid1(VALU_DEP_4)
	v_mul_f32_e32 v12, v11, v12
	v_mul_f32_e32 v11, v11, v17
	v_bfe_u32 v16, v13, 16, 1
	s_delay_alu instid0(VALU_DEP_4) | instskip(SKIP_1) | instid1(VALU_DEP_4)
	v_bfe_u32 v17, v10, 16, 1
	v_cmp_o_f32_e32 vcc_lo, v13, v13
	v_bfe_u32 v19, v11, 16, 1
	v_cmp_o_f32_e64 s2, v11, v11
	v_add3_u32 v16, v13, v16, 0x7fff
	v_add3_u32 v17, v10, v17, 0x7fff
	v_cmp_o_f32_e64 s4, v10, v10
	v_add3_u32 v19, v11, v19, 0x7fff
	s_delay_alu instid0(VALU_DEP_4) | instskip(NEXT) | instid1(VALU_DEP_4)
	v_and_b32_e32 v16, 0xffff0000, v16
	v_and_b32_e32 v17, 0xffff0000, v17
	v_bfe_u32 v18, v12, 16, 1
	s_delay_alu instid0(VALU_DEP_4)
	v_and_b32_e32 v19, 0xffff0000, v19
	v_cmp_o_f32_e64 s3, v12, v12
	v_cndmask_b32_e32 v11, 0x7fc00000, v16, vcc_lo
	v_cndmask_b32_e64 v10, 0x7fc00000, v17, s4
	v_add3_u32 v18, v12, v18, 0x7fff
	v_cndmask_b32_e64 v13, 0x7fc00000, v19, s2
	s_delay_alu instid0(VALU_DEP_2) | instskip(NEXT) | instid1(VALU_DEP_1)
	v_and_b32_e32 v18, 0xffff0000, v18
	v_cndmask_b32_e64 v12, 0x7fc00000, v18, s3
	s_delay_alu instid0(VALU_DEP_1) | instskip(NEXT) | instid1(VALU_DEP_1)
	v_dual_sub_f32 v11, v11, v12 :: v_dual_add_f32 v12, v10, v13
	v_bfe_u32 v10, v11, 16, 1
	s_delay_alu instid0(VALU_DEP_2) | instskip(SKIP_2) | instid1(VALU_DEP_4)
	v_bfe_u32 v13, v12, 16, 1
	v_cmp_o_f32_e64 s2, v12, v12
	v_cmp_o_f32_e64 s3, v11, v11
	v_add3_u32 v16, v11, v10, 0x7fff
	s_delay_alu instid0(VALU_DEP_4) | instskip(SKIP_2) | instid1(VALU_DEP_4)
	v_add3_u32 v13, v12, v13, 0x7fff
	v_add_co_u32 v10, vcc_lo, v7, s8
	v_add_co_ci_u32_e32 v11, vcc_lo, s9, v8, vcc_lo
	v_lshrrev_b32_e32 v16, 16, v16
	s_delay_alu instid0(VALU_DEP_4)
	v_lshrrev_b32_e32 v13, 16, v13
	v_cmp_le_i32_e32 vcc_lo, s24, v9
	s_add_u32 s8, s8, s26
	s_addc_u32 s9, s9, 0
	v_cndmask_b32_e64 v12, 0x7fc0, v16, s3
	v_cndmask_b32_e64 v13, 0x7fc0, v13, s2
	s_or_b32 s12, vcc_lo, s12
	s_delay_alu instid0(VALU_DEP_1)
	v_perm_b32 v12, v13, v12, 0x5040100
	global_store_b32 v[14:15], v12, off
	global_store_b32 v[10:11], v12, off
	s_and_not1_b32 exec_lo, exec_lo, s12
	s_cbranch_execnz .LBB31_9
.LBB31_10:
	s_or_b32 exec_lo, exec_lo, s37
	s_delay_alu instid0(SALU_CYCLE_1)
	s_mov_b32 s2, exec_lo
	v_cmpx_gt_i32_e64 s18, v0
	s_cbranch_execz .LBB31_13
; %bb.11:
	s_mul_i32 s3, s20, s11
	s_mul_hi_u32 s4, s20, s10
	s_mul_i32 s2, s20, s10
	s_add_i32 s3, s4, s3
	s_delay_alu instid0(SALU_CYCLE_1) | instskip(NEXT) | instid1(SALU_CYCLE_1)
	s_lshl_b64 s[2:3], s[2:3], 1
	s_add_u32 s2, s14, s2
	s_addc_u32 s3, s15, s3
	s_ashr_i32 s4, s16, 31
	s_delay_alu instid0(SALU_CYCLE_1) | instskip(SKIP_2) | instid1(SALU_CYCLE_1)
	s_mul_i32 s4, s6, s4
	s_load_b32 s6, s[0:1], 0x8c
	s_add_i32 s0, s33, s4
	s_add_i32 s35, s0, s36
	s_delay_alu instid0(SALU_CYCLE_1) | instskip(NEXT) | instid1(SALU_CYCLE_1)
	s_lshl_b64 s[0:1], s[34:35], 1
	s_add_u32 s0, s22, s0
	s_addc_u32 s8, s23, s1
	s_ashr_i32 s1, s17, 31
	s_delay_alu instid0(SALU_CYCLE_1) | instskip(NEXT) | instid1(SALU_CYCLE_1)
	s_mul_i32 s5, s5, s1
	s_add_i32 s1, s7, s5
	s_delay_alu instid0(SALU_CYCLE_1) | instskip(NEXT) | instid1(SALU_CYCLE_1)
	s_add_i32 s29, s1, s21
	s_lshl_b64 s[4:5], s[28:29], 1
	s_delay_alu instid0(SALU_CYCLE_1)
	s_add_u32 s1, s0, s4
	s_addc_u32 s4, s8, s5
	s_waitcnt lgkmcnt(0)
	s_and_b32 s5, s6, 0xffff
	s_mov_b32 s6, 0
	.p2align	6
.LBB31_12:                              ; =>This Inner Loop Header: Depth=1
	v_ashrrev_i32_e32 v1, 31, v0
	s_delay_alu instid0(VALU_DEP_1) | instskip(SKIP_1) | instid1(VALU_DEP_2)
	v_lshlrev_b64 v[1:2], 1, v[0:1]
	v_add_nc_u32_e32 v0, s5, v0
	v_add_co_u32 v3, vcc_lo, s2, v1
	s_delay_alu instid0(VALU_DEP_3) | instskip(NEXT) | instid1(VALU_DEP_3)
	v_add_co_ci_u32_e32 v4, vcc_lo, s3, v2, vcc_lo
	v_cmp_le_i32_e32 vcc_lo, s18, v0
	v_add_co_u32 v1, s0, s1, v1
	global_load_u16 v3, v[3:4], off
	v_add_co_ci_u32_e64 v2, s0, s4, v2, s0
	s_or_b32 s6, vcc_lo, s6
	s_waitcnt vmcnt(0)
	global_store_b16 v[1:2], v3, off
	s_and_not1_b32 exec_lo, exec_lo, s6
	s_cbranch_execnz .LBB31_12
.LBB31_13:
	s_nop 0
	s_sendmsg sendmsg(MSG_DEALLOC_VGPRS)
	s_endpgm
.LBB31_14:
                                        ; implicit-def: $sgpr6_sgpr7
	s_branch .LBB31_6
	.section	.rodata,"a",@progbits
	.p2align	6, 0x0
	.amdhsa_kernel _ZN4vllm38concat_and_cache_mla_rope_fused_kernelIN3c108BFloat16EfLb0EttLNS_18Fp8KVCacheDataTypeE0EEEvPKlPT_S7_PKS6_PKT0_illlliPT3_S5_iiiiPKf
		.amdhsa_group_segment_fixed_size 0
		.amdhsa_private_segment_fixed_size 0
		.amdhsa_kernarg_size 384
		.amdhsa_user_sgpr_count 15
		.amdhsa_user_sgpr_dispatch_ptr 0
		.amdhsa_user_sgpr_queue_ptr 0
		.amdhsa_user_sgpr_kernarg_segment_ptr 1
		.amdhsa_user_sgpr_dispatch_id 0
		.amdhsa_user_sgpr_private_segment_size 0
		.amdhsa_wavefront_size32 1
		.amdhsa_uses_dynamic_stack 0
		.amdhsa_enable_private_segment 0
		.amdhsa_system_sgpr_workgroup_id_x 1
		.amdhsa_system_sgpr_workgroup_id_y 0
		.amdhsa_system_sgpr_workgroup_id_z 0
		.amdhsa_system_sgpr_workgroup_info 0
		.amdhsa_system_vgpr_workitem_id 0
		.amdhsa_next_free_vgpr 20
		.amdhsa_next_free_sgpr 43
		.amdhsa_reserve_vcc 1
		.amdhsa_float_round_mode_32 0
		.amdhsa_float_round_mode_16_64 0
		.amdhsa_float_denorm_mode_32 3
		.amdhsa_float_denorm_mode_16_64 3
		.amdhsa_dx10_clamp 1
		.amdhsa_ieee_mode 1
		.amdhsa_fp16_overflow 0
		.amdhsa_workgroup_processor_mode 1
		.amdhsa_memory_ordered 1
		.amdhsa_forward_progress 0
		.amdhsa_shared_vgpr_count 0
		.amdhsa_exception_fp_ieee_invalid_op 0
		.amdhsa_exception_fp_denorm_src 0
		.amdhsa_exception_fp_ieee_div_zero 0
		.amdhsa_exception_fp_ieee_overflow 0
		.amdhsa_exception_fp_ieee_underflow 0
		.amdhsa_exception_fp_ieee_inexact 0
		.amdhsa_exception_int_div_zero 0
	.end_amdhsa_kernel
	.section	.text._ZN4vllm38concat_and_cache_mla_rope_fused_kernelIN3c108BFloat16EfLb0EttLNS_18Fp8KVCacheDataTypeE0EEEvPKlPT_S7_PKS6_PKT0_illlliPT3_S5_iiiiPKf,"axG",@progbits,_ZN4vllm38concat_and_cache_mla_rope_fused_kernelIN3c108BFloat16EfLb0EttLNS_18Fp8KVCacheDataTypeE0EEEvPKlPT_S7_PKS6_PKT0_illlliPT3_S5_iiiiPKf,comdat
.Lfunc_end31:
	.size	_ZN4vllm38concat_and_cache_mla_rope_fused_kernelIN3c108BFloat16EfLb0EttLNS_18Fp8KVCacheDataTypeE0EEEvPKlPT_S7_PKS6_PKT0_illlliPT3_S5_iiiiPKf, .Lfunc_end31-_ZN4vllm38concat_and_cache_mla_rope_fused_kernelIN3c108BFloat16EfLb0EttLNS_18Fp8KVCacheDataTypeE0EEEvPKlPT_S7_PKS6_PKT0_illlliPT3_S5_iiiiPKf
                                        ; -- End function
	.section	.AMDGPU.csdata,"",@progbits
; Kernel info:
; codeLenInByte = 3080
; NumSgprs: 45
; NumVgprs: 20
; ScratchSize: 0
; MemoryBound: 0
; FloatMode: 240
; IeeeMode: 1
; LDSByteSize: 0 bytes/workgroup (compile time only)
; SGPRBlocks: 5
; VGPRBlocks: 2
; NumSGPRsForWavesPerEU: 45
; NumVGPRsForWavesPerEU: 20
; Occupancy: 16
; WaveLimiterHint : 1
; COMPUTE_PGM_RSRC2:SCRATCH_EN: 0
; COMPUTE_PGM_RSRC2:USER_SGPR: 15
; COMPUTE_PGM_RSRC2:TRAP_HANDLER: 0
; COMPUTE_PGM_RSRC2:TGID_X_EN: 1
; COMPUTE_PGM_RSRC2:TGID_Y_EN: 0
; COMPUTE_PGM_RSRC2:TGID_Z_EN: 0
; COMPUTE_PGM_RSRC2:TIDIG_COMP_CNT: 0
	.section	.text._ZN4vllm38concat_and_cache_mla_rope_fused_kernelIN3c108BFloat16ENS1_4HalfELb1EttLNS_18Fp8KVCacheDataTypeE0EEEvPKlPT_S8_PKS7_PKT0_illlliPT3_S6_iiiiPKf,"axG",@progbits,_ZN4vllm38concat_and_cache_mla_rope_fused_kernelIN3c108BFloat16ENS1_4HalfELb1EttLNS_18Fp8KVCacheDataTypeE0EEEvPKlPT_S8_PKS7_PKT0_illlliPT3_S6_iiiiPKf,comdat
	.protected	_ZN4vllm38concat_and_cache_mla_rope_fused_kernelIN3c108BFloat16ENS1_4HalfELb1EttLNS_18Fp8KVCacheDataTypeE0EEEvPKlPT_S8_PKS7_PKT0_illlliPT3_S6_iiiiPKf ; -- Begin function _ZN4vllm38concat_and_cache_mla_rope_fused_kernelIN3c108BFloat16ENS1_4HalfELb1EttLNS_18Fp8KVCacheDataTypeE0EEEvPKlPT_S8_PKS7_PKT0_illlliPT3_S6_iiiiPKf
	.globl	_ZN4vllm38concat_and_cache_mla_rope_fused_kernelIN3c108BFloat16ENS1_4HalfELb1EttLNS_18Fp8KVCacheDataTypeE0EEEvPKlPT_S8_PKS7_PKT0_illlliPT3_S6_iiiiPKf
	.p2align	8
	.type	_ZN4vllm38concat_and_cache_mla_rope_fused_kernelIN3c108BFloat16ENS1_4HalfELb1EttLNS_18Fp8KVCacheDataTypeE0EEEvPKlPT_S8_PKS7_PKT0_illlliPT3_S6_iiiiPKf,@function
_ZN4vllm38concat_and_cache_mla_rope_fused_kernelIN3c108BFloat16ENS1_4HalfELb1EttLNS_18Fp8KVCacheDataTypeE0EEEvPKlPT_S8_PKS7_PKT0_illlliPT3_S6_iiiiPKf: ; @_ZN4vllm38concat_and_cache_mla_rope_fused_kernelIN3c108BFloat16ENS1_4HalfELb1EttLNS_18Fp8KVCacheDataTypeE0EEEvPKlPT_S8_PKS7_PKT0_illlliPT3_S6_iiiiPKf
; %bb.0:
	s_load_b64 s[4:5], s[0:1], 0x60
	s_mov_b32 s20, s15
	s_mov_b32 s21, 0
	s_delay_alu instid0(SALU_CYCLE_1)
	s_lshl_b64 s[2:3], s[20:21], 3
	s_waitcnt lgkmcnt(0)
	s_add_u32 s4, s4, s2
	s_addc_u32 s5, s5, s3
	s_load_b64 s[30:31], s[4:5], 0x0
	s_waitcnt lgkmcnt(0)
	v_cmp_lt_i64_e64 s4, s[30:31], 0
	s_delay_alu instid0(VALU_DEP_1)
	s_and_b32 vcc_lo, exec_lo, s4
	s_cbranch_vccnz .LBB32_13
; %bb.1:
	s_clause 0x2
	s_load_b32 s16, s[0:1], 0x28
	s_load_b64 s[4:5], s[0:1], 0x0
	s_load_b128 s[12:15], s[0:1], 0x10
	s_waitcnt lgkmcnt(0)
	s_ashr_i32 s17, s16, 31
	s_add_u32 s2, s4, s2
	s_addc_u32 s3, s5, s3
	s_load_b64 s[2:3], s[2:3], 0x0
	s_clause 0x3
	s_load_b64 s[26:27], s[0:1], 0x20
	s_load_b32 s18, s[0:1], 0x50
	s_load_b64 s[22:23], s[0:1], 0x58
	s_load_b256 s[4:11], s[0:1], 0x30
	s_waitcnt lgkmcnt(0)
	s_mul_i32 s17, s2, s17
	s_mul_hi_u32 s19, s2, s16
	s_mul_i32 s3, s3, s16
	s_add_i32 s17, s19, s17
	s_mul_i32 s2, s2, s16
	s_add_i32 s3, s17, s3
	s_mov_b32 s17, exec_lo
	s_lshl_b64 s[28:29], s[2:3], 1
	s_delay_alu instid0(SALU_CYCLE_1) | instskip(SKIP_2) | instid1(SALU_CYCLE_1)
	s_add_u32 s21, s26, s28
	s_addc_u32 s33, s27, s29
	s_lshr_b32 s2, s16, 31
	s_add_i32 s16, s16, s2
	s_delay_alu instid0(SALU_CYCLE_1) | instskip(NEXT) | instid1(SALU_CYCLE_1)
	s_ashr_i32 s24, s16, 1
	s_mul_i32 s16, s24, s18
	s_delay_alu instid0(SALU_CYCLE_1)
	v_cmpx_gt_i32_e64 s16, v0
	s_cbranch_execz .LBB32_4
; %bb.2:
	s_clause 0x1
	s_load_b64 s[2:3], s[0:1], 0x8
	s_load_b32 s35, s[0:1], 0x8c
	s_mul_i32 s5, s20, s5
	s_mul_hi_u32 s18, s20, s4
	s_mul_i32 s4, s20, s4
	s_add_i32 s5, s18, s5
	s_ashr_i32 s25, s24, 31
	s_lshl_b64 s[4:5], s[4:5], 1
	s_mov_b32 s36, 0
	s_waitcnt lgkmcnt(0)
	s_add_u32 s18, s2, s4
	s_addc_u32 s19, s3, s5
	s_abs_i32 s34, s24
	s_and_b32 s35, s35, 0xffff
	v_cvt_f32_u32_e32 v1, s34
	s_sub_i32 s2, 0, s34
	s_sub_i32 s37, 0, s24
	s_lshl_b64 s[4:5], s[24:25], 1
	s_delay_alu instid0(VALU_DEP_1) | instskip(SKIP_2) | instid1(VALU_DEP_1)
	v_rcp_iflag_f32_e32 v1, v1
	s_waitcnt_depctr 0xfff
	v_mul_f32_e32 v1, 0x4f7ffffe, v1
	v_cvt_u32_f32_e32 v1, v1
	s_delay_alu instid0(VALU_DEP_1) | instskip(NEXT) | instid1(VALU_DEP_1)
	v_mul_lo_u32 v2, s2, v1
	v_mul_hi_u32 v2, v1, v2
	s_delay_alu instid0(VALU_DEP_1)
	v_dual_mov_b32 v1, v0 :: v_dual_add_nc_u32 v2, v1, v2
.LBB32_3:                               ; =>This Inner Loop Header: Depth=1
	s_delay_alu instid0(VALU_DEP_1) | instskip(SKIP_1) | instid1(VALU_DEP_2)
	v_sub_nc_u32_e32 v3, 0, v1
	v_ashrrev_i32_e32 v4, 31, v1
	v_max_i32_e32 v3, v1, v3
	s_delay_alu instid0(VALU_DEP_2) | instskip(NEXT) | instid1(VALU_DEP_2)
	v_xor_b32_e32 v4, s25, v4
	v_mul_hi_u32 v5, v3, v2
	s_delay_alu instid0(VALU_DEP_1) | instskip(SKIP_1) | instid1(VALU_DEP_2)
	v_mul_lo_u32 v6, v5, s34
	v_add_nc_u32_e32 v7, 1, v5
	v_sub_nc_u32_e32 v3, v3, v6
	s_delay_alu instid0(VALU_DEP_1) | instskip(SKIP_1) | instid1(VALU_DEP_4)
	v_subrev_nc_u32_e32 v6, s34, v3
	v_cmp_le_u32_e32 vcc_lo, s34, v3
	v_cndmask_b32_e32 v5, v5, v7, vcc_lo
	s_delay_alu instid0(VALU_DEP_1) | instskip(NEXT) | instid1(VALU_DEP_1)
	v_dual_cndmask_b32 v3, v3, v6 :: v_dual_add_nc_u32 v6, 1, v5
	v_cmp_le_u32_e32 vcc_lo, s34, v3
	s_delay_alu instid0(VALU_DEP_2) | instskip(NEXT) | instid1(VALU_DEP_1)
	v_cndmask_b32_e32 v3, v5, v6, vcc_lo
	v_xor_b32_e32 v3, v3, v4
	s_delay_alu instid0(VALU_DEP_1) | instskip(NEXT) | instid1(VALU_DEP_1)
	v_sub_nc_u32_e32 v7, v3, v4
	v_mad_u64_u32 v[3:4], null, s37, v7, v[1:2]
	v_ashrrev_i32_e32 v8, 31, v7
	v_mul_lo_u32 v9, v7, s7
	v_mad_u64_u32 v[5:6], null, v7, s6, 0
	v_add_nc_u32_e32 v1, s35, v1
	s_delay_alu instid0(VALU_DEP_4) | instskip(SKIP_1) | instid1(VALU_DEP_1)
	v_mul_lo_u32 v7, v8, s6
	v_ashrrev_i32_e32 v4, 31, v3
	v_lshlrev_b64 v[3:4], 1, v[3:4]
	s_delay_alu instid0(VALU_DEP_3) | instskip(NEXT) | instid1(VALU_DEP_2)
	v_add3_u32 v6, v6, v9, v7
	v_add_co_u32 v7, vcc_lo, s21, v3
	s_delay_alu instid0(VALU_DEP_3) | instskip(NEXT) | instid1(VALU_DEP_3)
	v_add_co_ci_u32_e32 v8, vcc_lo, s33, v4, vcc_lo
	v_lshlrev_b64 v[5:6], 1, v[5:6]
	global_load_u16 v9, v[7:8], off
	v_add_co_u32 v7, vcc_lo, v7, s4
	v_add_co_ci_u32_e32 v8, vcc_lo, s5, v8, vcc_lo
	v_add_co_u32 v5, vcc_lo, s18, v5
	v_add_co_ci_u32_e32 v6, vcc_lo, s19, v6, vcc_lo
	global_load_u16 v7, v[7:8], off
	v_add_co_u32 v3, vcc_lo, v5, v3
	v_add_co_ci_u32_e32 v4, vcc_lo, v6, v4, vcc_lo
	s_delay_alu instid0(VALU_DEP_2) | instskip(NEXT) | instid1(VALU_DEP_2)
	v_add_co_u32 v5, vcc_lo, v3, s4
	v_add_co_ci_u32_e32 v6, vcc_lo, s5, v4, vcc_lo
	s_clause 0x1
	global_load_u16 v8, v[3:4], off
	global_load_u16 v10, v[5:6], off
	s_waitcnt vmcnt(3)
	v_cvt_f32_f16_e32 v11, v9
	v_cmp_o_f16_e32 vcc_lo, v9, v9
	s_delay_alu instid0(VALU_DEP_2) | instskip(SKIP_2) | instid1(VALU_DEP_2)
	v_bfe_u32 v13, v11, 16, 1
	s_waitcnt vmcnt(2)
	v_cvt_f32_f16_e32 v12, v7
	v_add3_u32 v11, v11, v13, 0x7fff
	s_delay_alu instid0(VALU_DEP_2) | instskip(NEXT) | instid1(VALU_DEP_2)
	v_bfe_u32 v13, v12, 16, 1
	v_and_b32_e32 v11, 0xffff0000, v11
	s_delay_alu instid0(VALU_DEP_2)
	v_add3_u32 v12, v12, v13, 0x7fff
	s_waitcnt vmcnt(1)
	v_lshlrev_b32_e32 v8, 16, v8
	s_waitcnt vmcnt(0)
	v_dual_cndmask_b32 v9, 0x7fc00000, v11 :: v_dual_lshlrev_b32 v10, 16, v10
	v_cmp_o_f16_e32 vcc_lo, v7, v7
	v_and_b32_e32 v11, 0xffff0000, v12
	s_delay_alu instid0(VALU_DEP_3) | instskip(NEXT) | instid1(VALU_DEP_2)
	v_mul_f32_e32 v7, v9, v8
	v_cndmask_b32_e32 v11, 0x7fc00000, v11, vcc_lo
	s_delay_alu instid0(VALU_DEP_2) | instskip(SKIP_1) | instid1(VALU_DEP_3)
	v_bfe_u32 v12, v7, 16, 1
	v_cmp_o_f32_e64 s2, v7, v7
	v_mul_f32_e32 v8, v11, v8
	s_delay_alu instid0(VALU_DEP_3) | instskip(SKIP_2) | instid1(VALU_DEP_4)
	v_add3_u32 v12, v7, v12, 0x7fff
	v_mul_f32_e32 v9, v9, v10
	v_mul_f32_e32 v10, v11, v10
	v_bfe_u32 v14, v8, 16, 1
	s_delay_alu instid0(VALU_DEP_4) | instskip(NEXT) | instid1(VALU_DEP_4)
	v_and_b32_e32 v12, 0xffff0000, v12
	v_bfe_u32 v11, v9, 16, 1
	s_delay_alu instid0(VALU_DEP_4) | instskip(NEXT) | instid1(VALU_DEP_4)
	v_bfe_u32 v13, v10, 16, 1
	v_add3_u32 v14, v8, v14, 0x7fff
	v_cmp_o_f32_e32 vcc_lo, v9, v9
	s_delay_alu instid0(VALU_DEP_4) | instskip(NEXT) | instid1(VALU_DEP_4)
	v_add3_u32 v11, v9, v11, 0x7fff
	v_add3_u32 v13, v10, v13, 0x7fff
	v_cndmask_b32_e64 v9, 0x7fc00000, v12, s2
	v_and_b32_e32 v12, 0xffff0000, v14
	v_cmp_o_f32_e64 s2, v10, v10
	v_and_b32_e32 v11, 0xffff0000, v11
	s_delay_alu instid0(VALU_DEP_1) | instskip(SKIP_4) | instid1(VALU_DEP_3)
	v_cndmask_b32_e32 v11, 0x7fc00000, v11, vcc_lo
	v_cmp_o_f32_e32 vcc_lo, v8, v8
	v_cndmask_b32_e32 v8, 0x7fc00000, v12, vcc_lo
	v_and_b32_e32 v7, 0xffff0000, v13
	v_cmp_le_i32_e32 vcc_lo, s16, v1
	v_add_f32_e32 v8, v11, v8
	s_delay_alu instid0(VALU_DEP_3) | instskip(SKIP_1) | instid1(VALU_DEP_2)
	v_cndmask_b32_e64 v7, 0x7fc00000, v7, s2
	s_or_b32 s36, vcc_lo, s36
	v_bfe_u32 v10, v8, 16, 1
	s_delay_alu instid0(VALU_DEP_2) | instskip(SKIP_1) | instid1(VALU_DEP_3)
	v_sub_f32_e32 v7, v9, v7
	v_cmp_o_f32_e64 s2, v8, v8
	v_add3_u32 v10, v8, v10, 0x7fff
	s_delay_alu instid0(VALU_DEP_3) | instskip(SKIP_1) | instid1(VALU_DEP_3)
	v_bfe_u32 v9, v7, 16, 1
	v_cmp_o_f32_e64 s3, v7, v7
	v_lshrrev_b32_e32 v10, 16, v10
	s_delay_alu instid0(VALU_DEP_3) | instskip(NEXT) | instid1(VALU_DEP_2)
	v_add3_u32 v9, v7, v9, 0x7fff
	v_cndmask_b32_e64 v8, 0x7fc0, v10, s2
	s_delay_alu instid0(VALU_DEP_2) | instskip(NEXT) | instid1(VALU_DEP_1)
	v_lshrrev_b32_e32 v9, 16, v9
	v_cndmask_b32_e64 v7, 0x7fc0, v9, s3
	s_clause 0x1
	global_store_b16 v[3:4], v7, off
	global_store_b16 v[5:6], v8, off
	s_and_not1_b32 exec_lo, exec_lo, s36
	s_cbranch_execnz .LBB32_3
.LBB32_4:
	s_or_b32 exec_lo, exec_lo, s17
	s_load_b128 s[16:19], s[0:1], 0x68
	s_waitcnt lgkmcnt(0)
	s_ashr_i32 s3, s19, 31
	s_mov_b32 s2, s19
	s_delay_alu instid0(SALU_CYCLE_1) | instskip(SKIP_1) | instid1(SALU_CYCLE_1)
	s_or_b64 s[4:5], s[30:31], s[2:3]
	s_mov_b32 s4, 0
	s_cmp_lg_u64 s[4:5], 0
	s_cbranch_scc0 .LBB32_14
; %bb.5:
	s_add_u32 s34, s2, s3
	s_mov_b32 s6, s3
	s_mov_b32 s7, s3
	s_addc_u32 s35, s3, s3
	s_delay_alu instid0(SALU_CYCLE_1) | instskip(NEXT) | instid1(SALU_CYCLE_1)
	s_xor_b64 s[34:35], s[34:35], s[6:7]
	v_cvt_f32_u32_e32 v1, s34
	v_cvt_f32_u32_e32 v2, s35
	s_sub_u32 s25, 0, s34
	s_subb_u32 s36, 0, s35
	s_delay_alu instid0(VALU_DEP_1) | instskip(NEXT) | instid1(VALU_DEP_1)
	v_fmamk_f32 v1, v2, 0x4f800000, v1
	v_rcp_f32_e32 v1, v1
	s_waitcnt_depctr 0xfff
	v_mul_f32_e32 v1, 0x5f7ffffc, v1
	s_delay_alu instid0(VALU_DEP_1) | instskip(NEXT) | instid1(VALU_DEP_1)
	v_mul_f32_e32 v2, 0x2f800000, v1
	v_trunc_f32_e32 v2, v2
	s_delay_alu instid0(VALU_DEP_1) | instskip(SKIP_1) | instid1(VALU_DEP_2)
	v_fmamk_f32 v1, v2, 0xcf800000, v1
	v_cvt_u32_f32_e32 v2, v2
	v_cvt_u32_f32_e32 v1, v1
	s_delay_alu instid0(VALU_DEP_2) | instskip(NEXT) | instid1(VALU_DEP_2)
	v_readfirstlane_b32 s5, v2
	v_readfirstlane_b32 s19, v1
	s_delay_alu instid0(VALU_DEP_2) | instskip(NEXT) | instid1(VALU_DEP_1)
	s_mul_i32 s37, s25, s5
	s_mul_hi_u32 s39, s25, s19
	s_mul_i32 s38, s36, s19
	s_add_i32 s37, s39, s37
	s_mul_i32 s40, s25, s19
	s_add_i32 s37, s37, s38
	s_mul_hi_u32 s39, s19, s40
	s_mul_hi_u32 s41, s5, s40
	s_mul_i32 s38, s5, s40
	s_mul_hi_u32 s40, s19, s37
	s_mul_i32 s19, s19, s37
	s_mul_hi_u32 s42, s5, s37
	s_add_u32 s19, s39, s19
	s_addc_u32 s39, 0, s40
	s_add_u32 s19, s19, s38
	s_mul_i32 s37, s5, s37
	s_addc_u32 s19, s39, s41
	s_addc_u32 s38, s42, 0
	s_add_u32 s19, s19, s37
	s_addc_u32 s37, 0, s38
	v_add_co_u32 v1, s19, v1, s19
	s_delay_alu instid0(VALU_DEP_1) | instskip(SKIP_1) | instid1(VALU_DEP_1)
	s_cmp_lg_u32 s19, 0
	s_addc_u32 s5, s5, s37
	v_readfirstlane_b32 s19, v1
	s_mul_i32 s37, s25, s5
	s_delay_alu instid0(VALU_DEP_1)
	s_mul_hi_u32 s38, s25, s19
	s_mul_i32 s36, s36, s19
	s_add_i32 s37, s38, s37
	s_mul_i32 s25, s25, s19
	s_add_i32 s37, s37, s36
	s_mul_hi_u32 s38, s5, s25
	s_mul_i32 s39, s5, s25
	s_mul_hi_u32 s25, s19, s25
	s_mul_hi_u32 s40, s19, s37
	s_mul_i32 s19, s19, s37
	s_mul_hi_u32 s36, s5, s37
	s_add_u32 s19, s25, s19
	s_addc_u32 s25, 0, s40
	s_add_u32 s19, s19, s39
	s_mul_i32 s37, s5, s37
	s_addc_u32 s19, s25, s38
	s_addc_u32 s25, s36, 0
	s_add_u32 s19, s19, s37
	s_addc_u32 s25, 0, s25
	v_add_co_u32 v1, s19, v1, s19
	s_delay_alu instid0(VALU_DEP_1) | instskip(SKIP_2) | instid1(VALU_DEP_1)
	s_cmp_lg_u32 s19, 0
	s_addc_u32 s5, s5, s25
	s_ashr_i32 s36, s31, 31
	v_readfirstlane_b32 s19, v1
	s_add_u32 s38, s30, s36
	s_mov_b32 s37, s36
	s_addc_u32 s39, s31, s36
	s_delay_alu instid0(SALU_CYCLE_1) | instskip(NEXT) | instid1(SALU_CYCLE_1)
	s_xor_b64 s[38:39], s[38:39], s[36:37]
	s_mul_i32 s40, s38, s5
	s_mul_hi_u32 s41, s38, s19
	s_mul_hi_u32 s25, s38, s5
	;; [unrolled: 1-line block ×3, first 2 shown]
	s_mul_i32 s19, s39, s19
	s_add_u32 s40, s41, s40
	s_addc_u32 s25, 0, s25
	s_mul_hi_u32 s42, s39, s5
	s_add_u32 s19, s40, s19
	s_mul_i32 s5, s39, s5
	s_addc_u32 s19, s25, s43
	s_addc_u32 s25, s42, 0
	s_add_u32 s5, s19, s5
	s_addc_u32 s19, 0, s25
	s_mul_i32 s42, s34, s5
	s_mul_hi_u32 s25, s34, s5
	s_mul_i32 s41, s34, s19
	v_sub_co_u32 v1, s38, s38, s42
	s_mul_i32 s40, s35, s5
	s_add_i32 s25, s25, s41
	s_delay_alu instid0(SALU_CYCLE_1) | instskip(NEXT) | instid1(VALU_DEP_1)
	s_add_i32 s25, s25, s40
	v_sub_co_u32 v2, s41, v1, s34
	s_sub_i32 s40, s39, s25
	s_cmp_lg_u32 s38, 0
	s_subb_u32 s40, s40, s35
	s_cmp_lg_u32 s41, 0
	v_readfirstlane_b32 s41, v2
	s_subb_u32 s40, s40, 0
	s_delay_alu instid0(SALU_CYCLE_1) | instskip(SKIP_1) | instid1(VALU_DEP_1)
	s_cmp_ge_u32 s40, s35
	s_cselect_b32 s42, -1, 0
	s_cmp_ge_u32 s41, s34
	s_cselect_b32 s41, -1, 0
	s_cmp_eq_u32 s40, s35
	s_cselect_b32 s40, s41, s42
	s_add_u32 s41, s5, 1
	s_addc_u32 s42, s19, 0
	s_add_u32 s43, s5, 2
	s_addc_u32 s44, s19, 0
	s_cmp_lg_u32 s40, 0
	s_cselect_b32 s40, s43, s41
	s_cselect_b32 s41, s44, s42
	s_cmp_lg_u32 s38, 0
	v_readfirstlane_b32 s38, v1
	s_subb_u32 s25, s39, s25
	s_delay_alu instid0(SALU_CYCLE_1) | instskip(SKIP_1) | instid1(VALU_DEP_1)
	s_cmp_ge_u32 s25, s35
	s_cselect_b32 s39, -1, 0
	s_cmp_ge_u32 s38, s34
	s_cselect_b32 s34, -1, 0
	s_cmp_eq_u32 s25, s35
	s_cselect_b32 s25, s34, s39
	s_delay_alu instid0(SALU_CYCLE_1) | instskip(SKIP_3) | instid1(SALU_CYCLE_1)
	s_cmp_lg_u32 s25, 0
	s_cselect_b32 s35, s41, s19
	s_cselect_b32 s34, s40, s5
	s_xor_b64 s[6:7], s[36:37], s[6:7]
	s_xor_b64 s[34:35], s[34:35], s[6:7]
	s_delay_alu instid0(SALU_CYCLE_1)
	s_sub_u32 s6, s34, s6
	s_subb_u32 s7, s35, s7
	s_and_not1_b32 vcc_lo, exec_lo, s4
	s_cbranch_vccnz .LBB32_7
.LBB32_6:
	v_cvt_f32_u32_e32 v1, s2
	s_sub_i32 s5, 0, s2
	s_delay_alu instid0(VALU_DEP_1) | instskip(SKIP_2) | instid1(VALU_DEP_1)
	v_rcp_iflag_f32_e32 v1, v1
	s_waitcnt_depctr 0xfff
	v_mul_f32_e32 v1, 0x4f7ffffe, v1
	v_cvt_u32_f32_e32 v1, v1
	s_delay_alu instid0(VALU_DEP_1) | instskip(NEXT) | instid1(VALU_DEP_1)
	v_readfirstlane_b32 s4, v1
	s_mul_i32 s5, s5, s4
	s_delay_alu instid0(SALU_CYCLE_1) | instskip(NEXT) | instid1(SALU_CYCLE_1)
	s_mul_hi_u32 s5, s4, s5
	s_add_i32 s4, s4, s5
	s_delay_alu instid0(SALU_CYCLE_1) | instskip(NEXT) | instid1(SALU_CYCLE_1)
	s_mul_hi_u32 s4, s30, s4
	s_mul_i32 s5, s4, s2
	s_add_i32 s6, s4, 1
	s_sub_i32 s5, s30, s5
	s_delay_alu instid0(SALU_CYCLE_1)
	s_sub_i32 s7, s5, s2
	s_cmp_ge_u32 s5, s2
	s_cselect_b32 s4, s6, s4
	s_cselect_b32 s5, s7, s5
	s_add_i32 s6, s4, 1
	s_cmp_ge_u32 s5, s2
	s_mov_b32 s7, 0
	s_cselect_b32 s6, s6, s4
.LBB32_7:
	s_delay_alu instid0(SALU_CYCLE_1)
	s_mul_i32 s3, s6, s3
	s_mul_hi_u32 s4, s6, s2
	s_mul_hi_u32 s38, s6, s16
	s_add_i32 s3, s4, s3
	s_mul_i32 s4, s7, s2
	s_mul_i32 s2, s6, s2
	s_add_i32 s3, s3, s4
	s_sub_u32 s36, s30, s2
	s_subb_u32 s37, s31, s3
	s_mul_i32 s39, s7, s16
	s_mul_i32 s34, s6, s16
	s_mul_hi_u32 s7, s36, s17
	s_mul_i32 s37, s37, s17
	s_mul_i32 s30, s36, s17
	s_mov_b32 s40, exec_lo
	v_cmpx_gt_i32_e64 s24, v0
	s_cbranch_execz .LBB32_10
; %bb.8:
	s_mul_i32 s3, s20, s9
	s_mul_hi_u32 s4, s20, s8
	s_mul_i32 s2, s20, s8
	s_add_i32 s3, s4, s3
	s_ashr_i32 s25, s24, 31
	s_lshl_b64 s[2:3], s[2:3], 1
	s_load_b32 s41, s[0:1], 0x8c
	s_add_u32 s8, s12, s2
	s_addc_u32 s9, s13, s3
	s_ashr_i32 s4, s16, 31
	s_ashr_i32 s5, s17, 31
	s_mul_i32 s4, s6, s4
	s_mul_i32 s5, s36, s5
	s_add_i32 s4, s38, s4
	s_add_i32 s5, s7, s5
	;; [unrolled: 1-line block ×4, first 2 shown]
	s_lshl_b64 s[4:5], s[34:35], 1
	s_lshl_b64 s[42:43], s[30:31], 1
	v_dual_mov_b32 v2, v0 :: v_dual_lshlrev_b32 v1, 1, v0
	s_add_u32 s44, s4, s42
	s_addc_u32 s45, s5, s43
	s_add_u32 s31, s44, s22
	s_addc_u32 s35, s45, s23
	s_ashr_i32 s19, s18, 31
	s_delay_alu instid0(SALU_CYCLE_1) | instskip(NEXT) | instid1(SALU_CYCLE_1)
	s_lshl_b64 s[4:5], s[18:19], 1
	s_add_u32 s19, s31, s4
	s_addc_u32 s31, s35, s5
	s_waitcnt lgkmcnt(0)
	s_and_b32 s35, s41, 0xffff
	s_lshl_b64 s[42:43], s[24:25], 1
	s_lshl_b32 s25, s35, 1
	s_add_u32 s28, s28, s42
	s_addc_u32 s29, s29, s43
	s_add_u32 s26, s26, s28
	s_addc_u32 s27, s27, s29
	;; [unrolled: 2-line block ×6, first 2 shown]
	s_add_u32 s28, s22, s2
	s_mov_b32 s41, 0
	s_addc_u32 s29, s23, s3
.LBB32_9:                               ; =>This Inner Loop Header: Depth=1
	v_add_co_u32 v3, s2, s21, v1
	s_delay_alu instid0(VALU_DEP_1) | instskip(SKIP_1) | instid1(VALU_DEP_1)
	v_add_co_ci_u32_e64 v4, null, s33, 0, s2
	v_add_co_u32 v5, s2, s26, v1
	v_add_co_ci_u32_e64 v6, null, s27, 0, s2
	v_add_co_u32 v7, s2, s12, v1
	s_delay_alu instid0(VALU_DEP_1) | instskip(SKIP_1) | instid1(VALU_DEP_1)
	v_add_co_ci_u32_e64 v8, null, s13, 0, s2
	v_add_co_u32 v9, s2, s8, v1
	v_add_co_ci_u32_e64 v10, null, s9, 0, s2
	global_load_u16 v11, v[3:4], off
	global_load_u16 v12, v[5:6], off
	;; [unrolled: 1-line block ×4, first 2 shown]
	v_add_co_u32 v3, s2, s19, v1
	s_delay_alu instid0(VALU_DEP_1) | instskip(SKIP_1) | instid1(VALU_DEP_1)
	v_add_co_ci_u32_e64 v4, null, s31, 0, s2
	v_add_co_u32 v5, s2, s28, v1
	v_add_co_ci_u32_e64 v6, null, s29, 0, s2
	s_add_u32 s21, s21, s25
	s_addc_u32 s33, s33, 0
	s_add_u32 s26, s26, s25
	s_addc_u32 s27, s27, 0
	;; [unrolled: 2-line block ×6, first 2 shown]
	s_waitcnt vmcnt(3)
	v_cvt_f32_f16_e32 v15, v11
	s_waitcnt vmcnt(2)
	v_cvt_f32_f16_e32 v16, v12
	v_cmp_o_f16_e64 s2, v12, v12
	s_waitcnt vmcnt(0)
	v_lshlrev_b32_e32 v14, 16, v14
	v_cmp_o_f16_e64 s3, v11, v11
	v_bfe_u32 v17, v15, 16, 1
	v_bfe_u32 v18, v16, 16, 1
	s_delay_alu instid0(VALU_DEP_2) | instskip(NEXT) | instid1(VALU_DEP_2)
	v_add3_u32 v15, v15, v17, 0x7fff
	v_add3_u32 v16, v16, v18, 0x7fff
	s_delay_alu instid0(VALU_DEP_1) | instskip(NEXT) | instid1(VALU_DEP_1)
	v_and_b32_e32 v16, 0xffff0000, v16
	v_cndmask_b32_e64 v12, 0x7fc00000, v16, s2
	v_lshlrev_b32_e32 v13, 16, v13
	s_delay_alu instid0(VALU_DEP_1) | instskip(NEXT) | instid1(VALU_DEP_1)
	v_dual_mul_f32 v16, v12, v13 :: v_dual_and_b32 v15, 0xffff0000, v15
	v_cndmask_b32_e64 v11, 0x7fc00000, v15, s3
	v_mul_f32_e32 v12, v12, v14
	v_add_nc_u32_e32 v2, s35, v2
	s_delay_alu instid0(VALU_DEP_4) | instskip(NEXT) | instid1(VALU_DEP_4)
	v_cmp_o_f32_e64 s2, v16, v16
	v_mul_f32_e32 v15, v11, v14
	v_mul_f32_e32 v11, v11, v13
	v_bfe_u32 v14, v16, 16, 1
	v_bfe_u32 v18, v12, 16, 1
	v_cmp_o_f32_e64 s3, v12, v12
	v_bfe_u32 v13, v15, 16, 1
	v_bfe_u32 v17, v11, 16, 1
	v_add3_u32 v14, v16, v14, 0x7fff
	v_add3_u32 v18, v12, v18, 0x7fff
	v_cmp_o_f32_e64 s4, v11, v11
	v_add3_u32 v13, v15, v13, 0x7fff
	v_add3_u32 v17, v11, v17, 0x7fff
	v_and_b32_e32 v14, 0xffff0000, v14
	v_cmp_o_f32_e64 s5, v15, v15
	v_cmp_le_i32_e32 vcc_lo, s24, v2
	v_and_b32_e32 v13, 0xffff0000, v13
	v_and_b32_e32 v16, 0xffff0000, v17
	v_cndmask_b32_e64 v12, 0x7fc00000, v14, s2
	s_or_b32 s41, vcc_lo, s41
	s_delay_alu instid0(VALU_DEP_3) | instskip(NEXT) | instid1(VALU_DEP_3)
	v_cndmask_b32_e64 v11, 0x7fc00000, v13, s5
	v_cndmask_b32_e64 v14, 0x7fc00000, v16, s4
	v_and_b32_e32 v17, 0xffff0000, v18
	s_delay_alu instid0(VALU_DEP_3) | instskip(NEXT) | instid1(VALU_DEP_2)
	v_sub_f32_e32 v11, v11, v12
	v_cndmask_b32_e64 v13, 0x7fc00000, v17, s3
	s_delay_alu instid0(VALU_DEP_2) | instskip(NEXT) | instid1(VALU_DEP_2)
	v_cmp_o_f32_e64 s3, v11, v11
	v_add_f32_e32 v12, v14, v13
	v_bfe_u32 v13, v11, 16, 1
	s_delay_alu instid0(VALU_DEP_2) | instskip(NEXT) | instid1(VALU_DEP_2)
	v_bfe_u32 v14, v12, 16, 1
	v_add3_u32 v13, v11, v13, 0x7fff
	v_cmp_o_f32_e64 s2, v12, v12
	s_delay_alu instid0(VALU_DEP_3) | instskip(NEXT) | instid1(VALU_DEP_3)
	v_add3_u32 v14, v12, v14, 0x7fff
	v_lshrrev_b32_e32 v13, 16, v13
	s_delay_alu instid0(VALU_DEP_2) | instskip(NEXT) | instid1(VALU_DEP_2)
	v_lshrrev_b32_e32 v14, 16, v14
	v_cndmask_b32_e64 v11, 0x7fc0, v13, s3
	s_delay_alu instid0(VALU_DEP_2)
	v_cndmask_b32_e64 v12, 0x7fc0, v14, s2
	global_store_b16 v[9:10], v11, off
	global_store_b16 v[7:8], v12, off
	;; [unrolled: 1-line block ×4, first 2 shown]
	s_and_not1_b32 exec_lo, exec_lo, s41
	s_cbranch_execnz .LBB32_9
.LBB32_10:
	s_or_b32 exec_lo, exec_lo, s40
	s_delay_alu instid0(SALU_CYCLE_1)
	s_mov_b32 s2, exec_lo
	v_cmpx_gt_i32_e64 s18, v0
	s_cbranch_execz .LBB32_13
; %bb.11:
	s_mul_i32 s3, s20, s11
	s_mul_hi_u32 s4, s20, s10
	s_mul_i32 s2, s20, s10
	s_add_i32 s3, s4, s3
	s_delay_alu instid0(SALU_CYCLE_1) | instskip(NEXT) | instid1(SALU_CYCLE_1)
	s_lshl_b64 s[2:3], s[2:3], 1
	s_add_u32 s2, s14, s2
	s_addc_u32 s3, s15, s3
	s_ashr_i32 s4, s16, 31
	s_delay_alu instid0(SALU_CYCLE_1) | instskip(SKIP_2) | instid1(SALU_CYCLE_1)
	s_mul_i32 s4, s6, s4
	s_load_b32 s6, s[0:1], 0x8c
	s_add_i32 s0, s38, s4
	s_add_i32 s35, s0, s39
	s_delay_alu instid0(SALU_CYCLE_1) | instskip(NEXT) | instid1(SALU_CYCLE_1)
	s_lshl_b64 s[0:1], s[34:35], 1
	s_add_u32 s0, s22, s0
	s_addc_u32 s8, s23, s1
	s_ashr_i32 s1, s17, 31
	s_delay_alu instid0(SALU_CYCLE_1) | instskip(NEXT) | instid1(SALU_CYCLE_1)
	s_mul_i32 s36, s36, s1
	s_add_i32 s1, s7, s36
	s_delay_alu instid0(SALU_CYCLE_1) | instskip(NEXT) | instid1(SALU_CYCLE_1)
	s_add_i32 s31, s1, s37
	s_lshl_b64 s[4:5], s[30:31], 1
	s_delay_alu instid0(SALU_CYCLE_1)
	s_add_u32 s1, s0, s4
	s_addc_u32 s4, s8, s5
	s_waitcnt lgkmcnt(0)
	s_and_b32 s5, s6, 0xffff
	s_mov_b32 s6, 0
	.p2align	6
.LBB32_12:                              ; =>This Inner Loop Header: Depth=1
	v_ashrrev_i32_e32 v1, 31, v0
	s_delay_alu instid0(VALU_DEP_1) | instskip(SKIP_1) | instid1(VALU_DEP_2)
	v_lshlrev_b64 v[1:2], 1, v[0:1]
	v_add_nc_u32_e32 v0, s5, v0
	v_add_co_u32 v3, vcc_lo, s2, v1
	s_delay_alu instid0(VALU_DEP_3) | instskip(NEXT) | instid1(VALU_DEP_3)
	v_add_co_ci_u32_e32 v4, vcc_lo, s3, v2, vcc_lo
	v_cmp_le_i32_e32 vcc_lo, s18, v0
	v_add_co_u32 v1, s0, s1, v1
	global_load_u16 v3, v[3:4], off
	v_add_co_ci_u32_e64 v2, s0, s4, v2, s0
	s_or_b32 s6, vcc_lo, s6
	s_waitcnt vmcnt(0)
	global_store_b16 v[1:2], v3, off
	s_and_not1_b32 exec_lo, exec_lo, s6
	s_cbranch_execnz .LBB32_12
.LBB32_13:
	s_nop 0
	s_sendmsg sendmsg(MSG_DEALLOC_VGPRS)
	s_endpgm
.LBB32_14:
                                        ; implicit-def: $sgpr6_sgpr7
	s_branch .LBB32_6
	.section	.rodata,"a",@progbits
	.p2align	6, 0x0
	.amdhsa_kernel _ZN4vllm38concat_and_cache_mla_rope_fused_kernelIN3c108BFloat16ENS1_4HalfELb1EttLNS_18Fp8KVCacheDataTypeE0EEEvPKlPT_S8_PKS7_PKT0_illlliPT3_S6_iiiiPKf
		.amdhsa_group_segment_fixed_size 0
		.amdhsa_private_segment_fixed_size 0
		.amdhsa_kernarg_size 384
		.amdhsa_user_sgpr_count 15
		.amdhsa_user_sgpr_dispatch_ptr 0
		.amdhsa_user_sgpr_queue_ptr 0
		.amdhsa_user_sgpr_kernarg_segment_ptr 1
		.amdhsa_user_sgpr_dispatch_id 0
		.amdhsa_user_sgpr_private_segment_size 0
		.amdhsa_wavefront_size32 1
		.amdhsa_uses_dynamic_stack 0
		.amdhsa_enable_private_segment 0
		.amdhsa_system_sgpr_workgroup_id_x 1
		.amdhsa_system_sgpr_workgroup_id_y 0
		.amdhsa_system_sgpr_workgroup_id_z 0
		.amdhsa_system_sgpr_workgroup_info 0
		.amdhsa_system_vgpr_workitem_id 0
		.amdhsa_next_free_vgpr 19
		.amdhsa_next_free_sgpr 46
		.amdhsa_reserve_vcc 1
		.amdhsa_float_round_mode_32 0
		.amdhsa_float_round_mode_16_64 0
		.amdhsa_float_denorm_mode_32 3
		.amdhsa_float_denorm_mode_16_64 3
		.amdhsa_dx10_clamp 1
		.amdhsa_ieee_mode 1
		.amdhsa_fp16_overflow 0
		.amdhsa_workgroup_processor_mode 1
		.amdhsa_memory_ordered 1
		.amdhsa_forward_progress 0
		.amdhsa_shared_vgpr_count 0
		.amdhsa_exception_fp_ieee_invalid_op 0
		.amdhsa_exception_fp_denorm_src 0
		.amdhsa_exception_fp_ieee_div_zero 0
		.amdhsa_exception_fp_ieee_overflow 0
		.amdhsa_exception_fp_ieee_underflow 0
		.amdhsa_exception_fp_ieee_inexact 0
		.amdhsa_exception_int_div_zero 0
	.end_amdhsa_kernel
	.section	.text._ZN4vllm38concat_and_cache_mla_rope_fused_kernelIN3c108BFloat16ENS1_4HalfELb1EttLNS_18Fp8KVCacheDataTypeE0EEEvPKlPT_S8_PKS7_PKT0_illlliPT3_S6_iiiiPKf,"axG",@progbits,_ZN4vllm38concat_and_cache_mla_rope_fused_kernelIN3c108BFloat16ENS1_4HalfELb1EttLNS_18Fp8KVCacheDataTypeE0EEEvPKlPT_S8_PKS7_PKT0_illlliPT3_S6_iiiiPKf,comdat
.Lfunc_end32:
	.size	_ZN4vllm38concat_and_cache_mla_rope_fused_kernelIN3c108BFloat16ENS1_4HalfELb1EttLNS_18Fp8KVCacheDataTypeE0EEEvPKlPT_S8_PKS7_PKT0_illlliPT3_S6_iiiiPKf, .Lfunc_end32-_ZN4vllm38concat_and_cache_mla_rope_fused_kernelIN3c108BFloat16ENS1_4HalfELb1EttLNS_18Fp8KVCacheDataTypeE0EEEvPKlPT_S8_PKS7_PKT0_illlliPT3_S6_iiiiPKf
                                        ; -- End function
	.section	.AMDGPU.csdata,"",@progbits
; Kernel info:
; codeLenInByte = 3192
; NumSgprs: 48
; NumVgprs: 19
; ScratchSize: 0
; MemoryBound: 0
; FloatMode: 240
; IeeeMode: 1
; LDSByteSize: 0 bytes/workgroup (compile time only)
; SGPRBlocks: 5
; VGPRBlocks: 2
; NumSGPRsForWavesPerEU: 48
; NumVGPRsForWavesPerEU: 19
; Occupancy: 16
; WaveLimiterHint : 1
; COMPUTE_PGM_RSRC2:SCRATCH_EN: 0
; COMPUTE_PGM_RSRC2:USER_SGPR: 15
; COMPUTE_PGM_RSRC2:TRAP_HANDLER: 0
; COMPUTE_PGM_RSRC2:TGID_X_EN: 1
; COMPUTE_PGM_RSRC2:TGID_Y_EN: 0
; COMPUTE_PGM_RSRC2:TGID_Z_EN: 0
; COMPUTE_PGM_RSRC2:TIDIG_COMP_CNT: 0
	.section	.text._ZN4vllm38concat_and_cache_mla_rope_fused_kernelIN3c108BFloat16ENS1_4HalfELb0EttLNS_18Fp8KVCacheDataTypeE0EEEvPKlPT_S8_PKS7_PKT0_illlliPT3_S6_iiiiPKf,"axG",@progbits,_ZN4vllm38concat_and_cache_mla_rope_fused_kernelIN3c108BFloat16ENS1_4HalfELb0EttLNS_18Fp8KVCacheDataTypeE0EEEvPKlPT_S8_PKS7_PKT0_illlliPT3_S6_iiiiPKf,comdat
	.protected	_ZN4vllm38concat_and_cache_mla_rope_fused_kernelIN3c108BFloat16ENS1_4HalfELb0EttLNS_18Fp8KVCacheDataTypeE0EEEvPKlPT_S8_PKS7_PKT0_illlliPT3_S6_iiiiPKf ; -- Begin function _ZN4vllm38concat_and_cache_mla_rope_fused_kernelIN3c108BFloat16ENS1_4HalfELb0EttLNS_18Fp8KVCacheDataTypeE0EEEvPKlPT_S8_PKS7_PKT0_illlliPT3_S6_iiiiPKf
	.globl	_ZN4vllm38concat_and_cache_mla_rope_fused_kernelIN3c108BFloat16ENS1_4HalfELb0EttLNS_18Fp8KVCacheDataTypeE0EEEvPKlPT_S8_PKS7_PKT0_illlliPT3_S6_iiiiPKf
	.p2align	8
	.type	_ZN4vllm38concat_and_cache_mla_rope_fused_kernelIN3c108BFloat16ENS1_4HalfELb0EttLNS_18Fp8KVCacheDataTypeE0EEEvPKlPT_S8_PKS7_PKT0_illlliPT3_S6_iiiiPKf,@function
_ZN4vllm38concat_and_cache_mla_rope_fused_kernelIN3c108BFloat16ENS1_4HalfELb0EttLNS_18Fp8KVCacheDataTypeE0EEEvPKlPT_S8_PKS7_PKT0_illlliPT3_S6_iiiiPKf: ; @_ZN4vllm38concat_and_cache_mla_rope_fused_kernelIN3c108BFloat16ENS1_4HalfELb0EttLNS_18Fp8KVCacheDataTypeE0EEEvPKlPT_S8_PKS7_PKT0_illlliPT3_S6_iiiiPKf
; %bb.0:
	s_load_b64 s[4:5], s[0:1], 0x60
	s_mov_b32 s16, s15
	s_mov_b32 s17, 0
	s_delay_alu instid0(SALU_CYCLE_1)
	s_lshl_b64 s[2:3], s[16:17], 3
	s_waitcnt lgkmcnt(0)
	s_add_u32 s4, s4, s2
	s_addc_u32 s5, s5, s3
	s_load_b64 s[24:25], s[4:5], 0x0
	s_waitcnt lgkmcnt(0)
	v_cmp_lt_i64_e64 s4, s[24:25], 0
	s_delay_alu instid0(VALU_DEP_1)
	s_and_b32 vcc_lo, exec_lo, s4
	s_cbranch_vccnz .LBB33_13
; %bb.1:
	s_clause 0x3
	s_load_b32 s17, s[0:1], 0x28
	s_load_b64 s[4:5], s[0:1], 0x0
	s_load_b128 s[12:15], s[0:1], 0x10
	s_load_b32 s21, s[0:1], 0x50
	v_lshlrev_b32_e32 v3, 1, v0
	s_waitcnt lgkmcnt(0)
	s_ashr_i32 s28, s17, 31
	s_add_u32 s2, s4, s2
	s_addc_u32 s3, s5, s3
	s_load_b64 s[26:27], s[2:3], 0x0
	s_clause 0x2
	s_load_b64 s[22:23], s[0:1], 0x20
	s_load_b64 s[18:19], s[0:1], 0x58
	s_load_b256 s[4:11], s[0:1], 0x30
	s_lshr_b32 s2, s17, 31
	s_delay_alu instid0(SALU_CYCLE_1) | instskip(NEXT) | instid1(SALU_CYCLE_1)
	s_add_i32 s2, s17, s2
	s_ashr_i32 s20, s2, 1
	s_delay_alu instid0(SALU_CYCLE_1)
	s_mul_i32 s3, s20, s21
	s_waitcnt lgkmcnt(0)
	s_mul_i32 s2, s26, s28
	s_mul_hi_u32 s21, s26, s17
	s_mul_i32 s27, s27, s17
	s_add_i32 s2, s21, s2
	s_mul_i32 s26, s26, s17
	s_add_i32 s27, s2, s27
	s_mov_b32 s17, exec_lo
	v_cmpx_gt_i32_e64 s3, v0
	s_cbranch_execz .LBB33_4
; %bb.2:
	s_load_b64 s[30:31], s[0:1], 0x8
	s_lshl_b64 s[28:29], s[26:27], 1
	s_mul_i32 s2, s16, s5
	s_mul_hi_u32 s5, s16, s4
	s_add_u32 s28, s22, s28
	s_mul_i32 s4, s16, s4
	s_addc_u32 s29, s23, s29
	s_add_i32 s5, s5, s2
	s_load_b32 s2, s[0:1], 0x8c
	s_lshl_b64 s[4:5], s[4:5], 1
	s_ashr_i32 s21, s20, 31
	s_mov_b32 s34, 0
	s_waitcnt lgkmcnt(0)
	s_add_u32 s30, s30, s4
	s_addc_u32 s31, s31, s5
	s_abs_i32 s33, s20
	s_sub_i32 s36, 0, s20
	v_cvt_f32_u32_e32 v1, s33
	s_sub_i32 s4, 0, s33
	s_and_b32 s35, s2, 0xffff
	s_delay_alu instid0(VALU_DEP_1)
	v_rcp_iflag_f32_e32 v1, v1
	s_lshl_b32 s2, s20, 1
	s_lshl_b32 s38, s35, 1
	s_sub_i32 s37, 0, s2
	s_waitcnt_depctr 0xfff
	v_mul_f32_e32 v1, 0x4f7ffffe, v1
	s_delay_alu instid0(VALU_DEP_1) | instskip(NEXT) | instid1(VALU_DEP_1)
	v_cvt_u32_f32_e32 v2, v1
	v_mul_lo_u32 v1, s4, v2
	s_lshl_b64 s[4:5], s[20:21], 1
	s_delay_alu instid0(VALU_DEP_1) | instskip(NEXT) | instid1(VALU_DEP_1)
	v_mul_hi_u32 v4, v2, v1
	v_dual_mov_b32 v1, v3 :: v_dual_add_nc_u32 v4, v2, v4
	v_mov_b32_e32 v2, v0
.LBB33_3:                               ; =>This Inner Loop Header: Depth=1
	s_delay_alu instid0(VALU_DEP_1) | instskip(SKIP_1) | instid1(VALU_DEP_2)
	v_sub_nc_u32_e32 v5, 0, v2
	v_ashrrev_i32_e32 v6, 31, v2
	v_max_i32_e32 v5, v2, v5
	s_delay_alu instid0(VALU_DEP_2) | instskip(NEXT) | instid1(VALU_DEP_2)
	v_xor_b32_e32 v6, s21, v6
	v_mul_hi_u32 v7, v5, v4
	s_delay_alu instid0(VALU_DEP_1) | instskip(SKIP_1) | instid1(VALU_DEP_2)
	v_mul_lo_u32 v8, v7, s33
	v_add_nc_u32_e32 v9, 1, v7
	v_sub_nc_u32_e32 v5, v5, v8
	s_delay_alu instid0(VALU_DEP_1) | instskip(SKIP_1) | instid1(VALU_DEP_4)
	v_subrev_nc_u32_e32 v8, s33, v5
	v_cmp_le_u32_e32 vcc_lo, s33, v5
	v_cndmask_b32_e32 v7, v7, v9, vcc_lo
	s_delay_alu instid0(VALU_DEP_1) | instskip(NEXT) | instid1(VALU_DEP_1)
	v_dual_cndmask_b32 v5, v5, v8 :: v_dual_add_nc_u32 v8, 1, v7
	v_cmp_le_u32_e32 vcc_lo, s33, v5
	s_delay_alu instid0(VALU_DEP_2) | instskip(NEXT) | instid1(VALU_DEP_1)
	v_cndmask_b32_e32 v5, v7, v8, vcc_lo
	v_xor_b32_e32 v5, v5, v6
	s_delay_alu instid0(VALU_DEP_1) | instskip(NEXT) | instid1(VALU_DEP_1)
	v_sub_nc_u32_e32 v11, v5, v6
	v_mad_u64_u32 v[5:6], null, s36, v11, v[2:3]
	v_ashrrev_i32_e32 v6, 31, v11
	v_mul_lo_u32 v12, v11, s7
	v_mad_u64_u32 v[7:8], null, v11, s6, 0
	v_mad_u64_u32 v[9:10], null, s37, v11, v[1:2]
	s_delay_alu instid0(VALU_DEP_4) | instskip(SKIP_3) | instid1(VALU_DEP_3)
	v_mul_lo_u32 v11, v6, s6
	v_ashrrev_i32_e32 v6, 31, v5
	v_add_nc_u32_e32 v2, s35, v2
	v_add_nc_u32_e32 v1, s38, v1
	v_lshlrev_b64 v[5:6], 1, v[5:6]
	v_ashrrev_i32_e32 v10, 31, v9
	v_add3_u32 v8, v8, v12, v11
	s_delay_alu instid0(VALU_DEP_3) | instskip(NEXT) | instid1(VALU_DEP_4)
	v_add_co_u32 v5, vcc_lo, s28, v5
	v_add_co_ci_u32_e32 v6, vcc_lo, s29, v6, vcc_lo
	s_delay_alu instid0(VALU_DEP_3)
	v_lshlrev_b64 v[7:8], 1, v[7:8]
	v_lshlrev_b64 v[9:10], 1, v[9:10]
	global_load_u16 v11, v[5:6], off
	v_add_co_u32 v5, vcc_lo, v5, s4
	v_add_co_ci_u32_e32 v6, vcc_lo, s5, v6, vcc_lo
	v_add_co_u32 v7, vcc_lo, s30, v7
	v_add_co_ci_u32_e32 v8, vcc_lo, s31, v8, vcc_lo
	global_load_u16 v12, v[5:6], off
	v_add_co_u32 v5, vcc_lo, v7, v9
	v_add_co_ci_u32_e32 v6, vcc_lo, v8, v10, vcc_lo
	global_load_b32 v7, v[5:6], off
	s_waitcnt vmcnt(2)
	v_cvt_f32_f16_e32 v8, v11
	v_cmp_o_f16_e32 vcc_lo, v11, v11
	s_delay_alu instid0(VALU_DEP_2) | instskip(SKIP_2) | instid1(VALU_DEP_2)
	v_bfe_u32 v10, v8, 16, 1
	s_waitcnt vmcnt(1)
	v_cvt_f32_f16_e32 v9, v12
	v_add3_u32 v8, v8, v10, 0x7fff
	s_delay_alu instid0(VALU_DEP_2) | instskip(NEXT) | instid1(VALU_DEP_2)
	v_bfe_u32 v10, v9, 16, 1
	v_and_b32_e32 v8, 0xffff0000, v8
	s_waitcnt vmcnt(0)
	v_lshlrev_b32_e32 v13, 16, v7
	v_and_b32_e32 v7, 0xffff0000, v7
	v_add3_u32 v9, v9, v10, 0x7fff
	v_cndmask_b32_e32 v8, 0x7fc00000, v8, vcc_lo
	v_cmp_o_f16_e32 vcc_lo, v12, v12
	s_delay_alu instid0(VALU_DEP_3) | instskip(NEXT) | instid1(VALU_DEP_3)
	v_and_b32_e32 v9, 0xffff0000, v9
	v_mul_f32_e32 v10, v8, v13
	s_delay_alu instid0(VALU_DEP_2) | instskip(NEXT) | instid1(VALU_DEP_2)
	v_dual_mul_f32 v8, v8, v7 :: v_dual_cndmask_b32 v9, 0x7fc00000, v9
	v_bfe_u32 v11, v10, 16, 1
	s_delay_alu instid0(VALU_DEP_2) | instskip(SKIP_2) | instid1(VALU_DEP_4)
	v_bfe_u32 v12, v8, 16, 1
	v_cmp_o_f32_e32 vcc_lo, v10, v10
	v_cmp_o_f32_e64 s2, v8, v8
	v_add3_u32 v11, v10, v11, 0x7fff
	s_delay_alu instid0(VALU_DEP_4) | instskip(SKIP_2) | instid1(VALU_DEP_4)
	v_add3_u32 v12, v8, v12, 0x7fff
	v_mul_f32_e32 v7, v9, v7
	v_mul_f32_e32 v9, v9, v13
	v_and_b32_e32 v11, 0xffff0000, v11
	s_delay_alu instid0(VALU_DEP_4) | instskip(NEXT) | instid1(VALU_DEP_4)
	v_and_b32_e32 v12, 0xffff0000, v12
	v_bfe_u32 v13, v7, 16, 1
	s_delay_alu instid0(VALU_DEP_4) | instskip(NEXT) | instid1(VALU_DEP_4)
	v_bfe_u32 v14, v9, 16, 1
	v_cndmask_b32_e32 v11, 0x7fc00000, v11, vcc_lo
	s_delay_alu instid0(VALU_DEP_4) | instskip(NEXT) | instid1(VALU_DEP_4)
	v_cndmask_b32_e64 v12, 0x7fc00000, v12, s2
	v_add3_u32 v13, v7, v13, 0x7fff
	s_delay_alu instid0(VALU_DEP_4) | instskip(SKIP_1) | instid1(VALU_DEP_3)
	v_add3_u32 v14, v9, v14, 0x7fff
	v_cmp_o_f32_e64 s2, v7, v7
	v_and_b32_e32 v8, 0xffff0000, v13
	s_delay_alu instid0(VALU_DEP_3) | instskip(SKIP_1) | instid1(VALU_DEP_3)
	v_and_b32_e32 v10, 0xffff0000, v14
	v_cmp_o_f32_e32 vcc_lo, v9, v9
	v_cndmask_b32_e64 v7, 0x7fc00000, v8, s2
	s_delay_alu instid0(VALU_DEP_1) | instskip(NEXT) | instid1(VALU_DEP_1)
	v_dual_cndmask_b32 v8, 0x7fc00000, v10 :: v_dual_sub_f32 v7, v11, v7
	v_add_f32_e32 v8, v12, v8
	s_delay_alu instid0(VALU_DEP_2) | instskip(SKIP_1) | instid1(VALU_DEP_3)
	v_bfe_u32 v9, v7, 16, 1
	v_cmp_o_f32_e64 s2, v7, v7
	v_bfe_u32 v10, v8, 16, 1
	v_cmp_o_f32_e32 vcc_lo, v8, v8
	s_delay_alu instid0(VALU_DEP_4) | instskip(NEXT) | instid1(VALU_DEP_3)
	v_add3_u32 v9, v7, v9, 0x7fff
	v_add3_u32 v10, v8, v10, 0x7fff
	s_delay_alu instid0(VALU_DEP_2) | instskip(NEXT) | instid1(VALU_DEP_2)
	v_lshrrev_b32_e32 v9, 16, v9
	v_lshrrev_b32_e32 v10, 16, v10
	s_delay_alu instid0(VALU_DEP_2) | instskip(NEXT) | instid1(VALU_DEP_2)
	v_cndmask_b32_e64 v7, 0x7fc0, v9, s2
	v_cndmask_b32_e32 v8, 0x7fc0, v10, vcc_lo
	v_cmp_le_i32_e32 vcc_lo, s3, v2
	s_delay_alu instid0(VALU_DEP_2)
	v_perm_b32 v7, v8, v7, 0x5040100
	s_or_b32 s34, vcc_lo, s34
	global_store_b32 v[5:6], v7, off
	s_and_not1_b32 exec_lo, exec_lo, s34
	s_cbranch_execnz .LBB33_3
.LBB33_4:
	s_or_b32 exec_lo, exec_lo, s17
	s_load_b128 s[4:7], s[0:1], 0x68
	s_waitcnt lgkmcnt(0)
	s_ashr_i32 s3, s7, 31
	s_mov_b32 s2, s7
	s_delay_alu instid0(SALU_CYCLE_1) | instskip(SKIP_1) | instid1(SALU_CYCLE_1)
	s_or_b64 s[30:31], s[24:25], s[2:3]
	s_mov_b32 s30, 0
	s_cmp_lg_u64 s[30:31], 0
	s_cbranch_scc0 .LBB33_14
; %bb.5:
	s_add_u32 s34, s2, s3
	s_mov_b32 s28, s3
	s_mov_b32 s29, s3
	s_addc_u32 s35, s3, s3
	s_delay_alu instid0(SALU_CYCLE_1) | instskip(NEXT) | instid1(SALU_CYCLE_1)
	s_xor_b64 s[34:35], s[34:35], s[28:29]
	v_cvt_f32_u32_e32 v1, s34
	v_cvt_f32_u32_e32 v2, s35
	s_sub_u32 s21, 0, s34
	s_subb_u32 s31, 0, s35
	s_delay_alu instid0(VALU_DEP_1) | instskip(NEXT) | instid1(VALU_DEP_1)
	v_fmamk_f32 v1, v2, 0x4f800000, v1
	v_rcp_f32_e32 v1, v1
	s_waitcnt_depctr 0xfff
	v_mul_f32_e32 v1, 0x5f7ffffc, v1
	s_delay_alu instid0(VALU_DEP_1) | instskip(NEXT) | instid1(VALU_DEP_1)
	v_mul_f32_e32 v2, 0x2f800000, v1
	v_trunc_f32_e32 v2, v2
	s_delay_alu instid0(VALU_DEP_1) | instskip(SKIP_1) | instid1(VALU_DEP_2)
	v_fmamk_f32 v1, v2, 0xcf800000, v1
	v_cvt_u32_f32_e32 v2, v2
	v_cvt_u32_f32_e32 v1, v1
	s_delay_alu instid0(VALU_DEP_2) | instskip(NEXT) | instid1(VALU_DEP_2)
	v_readfirstlane_b32 s7, v2
	v_readfirstlane_b32 s17, v1
	s_delay_alu instid0(VALU_DEP_2) | instskip(NEXT) | instid1(VALU_DEP_1)
	s_mul_i32 s33, s21, s7
	s_mul_hi_u32 s37, s21, s17
	s_mul_i32 s36, s31, s17
	s_add_i32 s33, s37, s33
	s_mul_i32 s38, s21, s17
	s_add_i32 s33, s33, s36
	s_mul_hi_u32 s37, s17, s38
	s_mul_hi_u32 s39, s7, s38
	s_mul_i32 s36, s7, s38
	s_mul_hi_u32 s38, s17, s33
	s_mul_i32 s17, s17, s33
	s_mul_hi_u32 s40, s7, s33
	s_add_u32 s17, s37, s17
	s_addc_u32 s37, 0, s38
	s_add_u32 s17, s17, s36
	s_mul_i32 s33, s7, s33
	s_addc_u32 s17, s37, s39
	s_addc_u32 s36, s40, 0
	s_add_u32 s17, s17, s33
	s_addc_u32 s33, 0, s36
	v_add_co_u32 v1, s17, v1, s17
	s_delay_alu instid0(VALU_DEP_1) | instskip(SKIP_1) | instid1(VALU_DEP_1)
	s_cmp_lg_u32 s17, 0
	s_addc_u32 s7, s7, s33
	v_readfirstlane_b32 s17, v1
	s_mul_i32 s33, s21, s7
	s_delay_alu instid0(VALU_DEP_1)
	s_mul_hi_u32 s36, s21, s17
	s_mul_i32 s31, s31, s17
	s_add_i32 s33, s36, s33
	s_mul_i32 s21, s21, s17
	s_add_i32 s33, s33, s31
	s_mul_hi_u32 s36, s7, s21
	s_mul_i32 s37, s7, s21
	s_mul_hi_u32 s21, s17, s21
	s_mul_hi_u32 s38, s17, s33
	s_mul_i32 s17, s17, s33
	s_mul_hi_u32 s31, s7, s33
	s_add_u32 s17, s21, s17
	s_addc_u32 s21, 0, s38
	s_add_u32 s17, s17, s37
	s_mul_i32 s33, s7, s33
	s_addc_u32 s17, s21, s36
	s_addc_u32 s21, s31, 0
	s_add_u32 s17, s17, s33
	s_addc_u32 s21, 0, s21
	v_add_co_u32 v1, s17, v1, s17
	s_delay_alu instid0(VALU_DEP_1) | instskip(SKIP_2) | instid1(VALU_DEP_1)
	s_cmp_lg_u32 s17, 0
	s_addc_u32 s7, s7, s21
	s_ashr_i32 s36, s25, 31
	v_readfirstlane_b32 s17, v1
	s_add_u32 s38, s24, s36
	s_mov_b32 s37, s36
	s_addc_u32 s39, s25, s36
	s_delay_alu instid0(SALU_CYCLE_1) | instskip(NEXT) | instid1(SALU_CYCLE_1)
	s_xor_b64 s[38:39], s[38:39], s[36:37]
	s_mul_i32 s31, s38, s7
	s_mul_hi_u32 s33, s38, s17
	s_mul_hi_u32 s21, s38, s7
	;; [unrolled: 1-line block ×3, first 2 shown]
	s_mul_i32 s17, s39, s17
	s_add_u32 s31, s33, s31
	s_addc_u32 s21, 0, s21
	s_mul_hi_u32 s40, s39, s7
	s_add_u32 s17, s31, s17
	s_mul_i32 s7, s39, s7
	s_addc_u32 s17, s21, s41
	s_addc_u32 s21, s40, 0
	s_add_u32 s7, s17, s7
	s_addc_u32 s17, 0, s21
	s_mul_hi_u32 s21, s34, s7
	s_mul_i32 s33, s34, s17
	s_mul_i32 s40, s34, s7
	s_add_i32 s21, s21, s33
	v_sub_co_u32 v1, s33, s38, s40
	s_mul_i32 s31, s35, s7
	s_delay_alu instid0(SALU_CYCLE_1) | instskip(NEXT) | instid1(VALU_DEP_1)
	s_add_i32 s21, s21, s31
	v_sub_co_u32 v2, s38, v1, s34
	s_sub_i32 s31, s39, s21
	s_cmp_lg_u32 s33, 0
	s_subb_u32 s31, s31, s35
	s_cmp_lg_u32 s38, 0
	v_readfirstlane_b32 s38, v2
	s_subb_u32 s31, s31, 0
	s_delay_alu instid0(SALU_CYCLE_1) | instskip(SKIP_1) | instid1(VALU_DEP_1)
	s_cmp_ge_u32 s31, s35
	s_cselect_b32 s40, -1, 0
	s_cmp_ge_u32 s38, s34
	s_cselect_b32 s38, -1, 0
	s_cmp_eq_u32 s31, s35
	s_cselect_b32 s31, s38, s40
	s_add_u32 s38, s7, 1
	s_addc_u32 s40, s17, 0
	s_add_u32 s41, s7, 2
	s_addc_u32 s42, s17, 0
	s_cmp_lg_u32 s31, 0
	s_cselect_b32 s31, s41, s38
	s_cselect_b32 s38, s42, s40
	s_cmp_lg_u32 s33, 0
	v_readfirstlane_b32 s33, v1
	s_subb_u32 s21, s39, s21
	s_delay_alu instid0(SALU_CYCLE_1) | instskip(SKIP_1) | instid1(VALU_DEP_1)
	s_cmp_ge_u32 s21, s35
	s_cselect_b32 s39, -1, 0
	s_cmp_ge_u32 s33, s34
	s_cselect_b32 s33, -1, 0
	s_cmp_eq_u32 s21, s35
	s_cselect_b32 s21, s33, s39
	s_delay_alu instid0(SALU_CYCLE_1) | instskip(SKIP_3) | instid1(SALU_CYCLE_1)
	s_cmp_lg_u32 s21, 0
	s_cselect_b32 s35, s38, s17
	s_cselect_b32 s34, s31, s7
	s_xor_b64 s[28:29], s[36:37], s[28:29]
	s_xor_b64 s[34:35], s[34:35], s[28:29]
	s_delay_alu instid0(SALU_CYCLE_1)
	s_sub_u32 s28, s34, s28
	s_subb_u32 s29, s35, s29
	s_and_not1_b32 vcc_lo, exec_lo, s30
	s_cbranch_vccnz .LBB33_7
.LBB33_6:
	v_cvt_f32_u32_e32 v1, s2
	s_sub_i32 s17, 0, s2
	s_mov_b32 s29, 0
	s_delay_alu instid0(VALU_DEP_1) | instskip(SKIP_2) | instid1(VALU_DEP_1)
	v_rcp_iflag_f32_e32 v1, v1
	s_waitcnt_depctr 0xfff
	v_mul_f32_e32 v1, 0x4f7ffffe, v1
	v_cvt_u32_f32_e32 v1, v1
	s_delay_alu instid0(VALU_DEP_1) | instskip(NEXT) | instid1(VALU_DEP_1)
	v_readfirstlane_b32 s7, v1
	s_mul_i32 s17, s17, s7
	s_delay_alu instid0(SALU_CYCLE_1) | instskip(NEXT) | instid1(SALU_CYCLE_1)
	s_mul_hi_u32 s17, s7, s17
	s_add_i32 s7, s7, s17
	s_delay_alu instid0(SALU_CYCLE_1) | instskip(NEXT) | instid1(SALU_CYCLE_1)
	s_mul_hi_u32 s7, s24, s7
	s_mul_i32 s17, s7, s2
	s_add_i32 s21, s7, 1
	s_sub_i32 s17, s24, s17
	s_delay_alu instid0(SALU_CYCLE_1)
	s_sub_i32 s28, s17, s2
	s_cmp_ge_u32 s17, s2
	s_cselect_b32 s7, s21, s7
	s_cselect_b32 s17, s28, s17
	s_add_i32 s21, s7, 1
	s_cmp_ge_u32 s17, s2
	s_cselect_b32 s28, s21, s7
.LBB33_7:
	s_delay_alu instid0(SALU_CYCLE_1)
	s_mul_i32 s3, s28, s3
	s_mul_hi_u32 s7, s28, s2
	s_mul_hi_u32 s34, s28, s4
	s_add_i32 s3, s7, s3
	s_mul_i32 s7, s29, s2
	s_mul_i32 s2, s28, s2
	s_add_i32 s3, s3, s7
	s_sub_u32 s17, s24, s2
	s_subb_u32 s33, s25, s3
	s_mul_i32 s35, s29, s4
	s_mul_i32 s30, s28, s4
	s_mul_hi_u32 s29, s17, s5
	s_mul_i32 s33, s33, s5
	s_mul_i32 s24, s17, s5
	s_mov_b32 s36, exec_lo
	v_cmpx_gt_i32_e64 s20, v0
	s_cbranch_execz .LBB33_10
; %bb.8:
	s_load_b32 s25, s[0:1], 0x8c
	s_lshl_b64 s[2:3], s[26:27], 1
	s_ashr_i32 s21, s20, 31
	s_ashr_i32 s31, s4, 31
	;; [unrolled: 1-line block ×4, first 2 shown]
	s_mul_i32 s9, s9, s16
	s_mul_hi_u32 s27, s8, s16
	s_mul_i32 s38, s8, s16
	s_mul_i32 s31, s28, s31
	;; [unrolled: 1-line block ×3, first 2 shown]
	v_lshlrev_b32_e32 v5, 2, v0
	v_mov_b32_e32 v7, v0
	s_waitcnt lgkmcnt(0)
	s_and_b32 s26, s25, 0xffff
	s_add_u32 s25, s22, s2
	s_addc_u32 s23, s23, s3
	s_add_i32 s39, s27, s9
	s_lshl_b64 s[8:9], s[20:21], 1
	s_lshl_b64 s[2:3], s[38:39], 1
	v_add_co_u32 v1, s21, s25, v3
	s_lshl_b32 s22, s26, 1
	v_add_co_ci_u32_e64 v2, null, s23, 0, s21
	s_add_u32 s23, s12, s2
	s_addc_u32 s27, s13, s3
	s_add_i32 s2, s34, s31
	s_add_i32 s3, s29, s37
	;; [unrolled: 1-line block ×4, first 2 shown]
	s_lshl_b64 s[2:3], s[30:31], 1
	s_lshl_b64 s[12:13], s[24:25], 1
	s_lshl_b32 s21, s26, 2
	s_add_u32 s12, s2, s12
	s_addc_u32 s13, s3, s13
	s_lshl_b64 s[2:3], s[6:7], 1
	v_add_co_u32 v3, s7, s23, v5
	s_add_u32 s2, s18, s2
	s_addc_u32 s3, s19, s3
	s_add_u32 s2, s2, s12
	s_addc_u32 s3, s3, s13
	v_add_co_u32 v5, s2, s2, v5
	v_add_co_ci_u32_e64 v4, null, s27, 0, s7
	v_add_co_ci_u32_e64 v6, null, s3, 0, s2
	s_mov_b32 s7, 0
	s_mov_b64 s[12:13], 0
.LBB33_9:                               ; =>This Inner Loop Header: Depth=1
	global_load_u16 v12, v[1:2], off
	v_add_co_u32 v8, vcc_lo, v1, s8
	v_add_co_ci_u32_e32 v9, vcc_lo, s9, v2, vcc_lo
	v_add_co_u32 v10, vcc_lo, v3, s12
	v_add_co_ci_u32_e32 v11, vcc_lo, s13, v4, vcc_lo
	global_load_u16 v8, v[8:9], off
	global_load_b32 v9, v[10:11], off
	v_add_nc_u32_e32 v7, s26, v7
	s_waitcnt vmcnt(2)
	v_cvt_f32_f16_e32 v13, v12
	v_cmp_o_f16_e32 vcc_lo, v12, v12
	s_delay_alu instid0(VALU_DEP_2) | instskip(SKIP_2) | instid1(VALU_DEP_2)
	v_bfe_u32 v14, v13, 16, 1
	s_waitcnt vmcnt(1)
	v_cvt_f32_f16_e32 v15, v8
	v_add3_u32 v13, v13, v14, 0x7fff
	s_waitcnt vmcnt(0)
	v_lshlrev_b32_e32 v16, 16, v9
	s_delay_alu instid0(VALU_DEP_3) | instskip(NEXT) | instid1(VALU_DEP_3)
	v_bfe_u32 v14, v15, 16, 1
	v_and_b32_e32 v13, 0xffff0000, v13
	s_delay_alu instid0(VALU_DEP_2) | instskip(NEXT) | instid1(VALU_DEP_2)
	v_add3_u32 v14, v15, v14, 0x7fff
	v_cndmask_b32_e32 v12, 0x7fc00000, v13, vcc_lo
	v_and_b32_e32 v9, 0xffff0000, v9
	v_cmp_o_f16_e32 vcc_lo, v8, v8
	s_delay_alu instid0(VALU_DEP_3) | instskip(NEXT) | instid1(VALU_DEP_3)
	v_dual_mul_f32 v8, v12, v16 :: v_dual_and_b32 v13, 0xffff0000, v14
	v_mul_f32_e32 v12, v12, v9
	s_delay_alu instid0(VALU_DEP_2) | instskip(NEXT) | instid1(VALU_DEP_3)
	v_cndmask_b32_e32 v13, 0x7fc00000, v13, vcc_lo
	v_bfe_u32 v14, v8, 16, 1
	s_delay_alu instid0(VALU_DEP_3) | instskip(SKIP_2) | instid1(VALU_DEP_4)
	v_bfe_u32 v15, v12, 16, 1
	v_cmp_o_f32_e32 vcc_lo, v8, v8
	v_cmp_o_f32_e64 s2, v12, v12
	v_add3_u32 v14, v8, v14, 0x7fff
	v_mul_f32_e32 v9, v13, v9
	v_mul_f32_e32 v13, v13, v16
	v_add3_u32 v15, v12, v15, 0x7fff
	s_delay_alu instid0(VALU_DEP_4) | instskip(NEXT) | instid1(VALU_DEP_4)
	v_and_b32_e32 v14, 0xffff0000, v14
	v_bfe_u32 v16, v9, 16, 1
	s_delay_alu instid0(VALU_DEP_4) | instskip(NEXT) | instid1(VALU_DEP_4)
	v_bfe_u32 v17, v13, 16, 1
	v_and_b32_e32 v15, 0xffff0000, v15
	s_delay_alu instid0(VALU_DEP_4) | instskip(NEXT) | instid1(VALU_DEP_4)
	v_cndmask_b32_e32 v14, 0x7fc00000, v14, vcc_lo
	v_add3_u32 v16, v9, v16, 0x7fff
	s_delay_alu instid0(VALU_DEP_4) | instskip(SKIP_3) | instid1(VALU_DEP_4)
	v_add3_u32 v17, v13, v17, 0x7fff
	v_cmp_o_f32_e32 vcc_lo, v13, v13
	v_cndmask_b32_e64 v15, 0x7fc00000, v15, s2
	v_cmp_o_f32_e64 s2, v9, v9
	v_and_b32_e32 v12, 0xffff0000, v17
	s_delay_alu instid0(VALU_DEP_1) | instskip(NEXT) | instid1(VALU_DEP_1)
	v_cndmask_b32_e32 v9, 0x7fc00000, v12, vcc_lo
	v_dual_add_f32 v13, v15, v9 :: v_dual_and_b32 v8, 0xffff0000, v16
	s_delay_alu instid0(VALU_DEP_1) | instskip(NEXT) | instid1(VALU_DEP_2)
	v_cndmask_b32_e64 v8, 0x7fc00000, v8, s2
	v_bfe_u32 v15, v13, 16, 1
	s_delay_alu instid0(VALU_DEP_2) | instskip(SKIP_2) | instid1(VALU_DEP_4)
	v_sub_f32_e32 v12, v14, v8
	v_cmp_o_f32_e64 s2, v13, v13
	v_add_co_u32 v8, vcc_lo, v5, s12
	v_add3_u32 v15, v13, v15, 0x7fff
	s_delay_alu instid0(VALU_DEP_4) | instskip(SKIP_2) | instid1(VALU_DEP_4)
	v_bfe_u32 v14, v12, 16, 1
	v_cmp_o_f32_e64 s3, v12, v12
	v_add_co_ci_u32_e32 v9, vcc_lo, s13, v6, vcc_lo
	v_lshrrev_b32_e32 v15, 16, v15
	s_delay_alu instid0(VALU_DEP_4) | instskip(SKIP_2) | instid1(VALU_DEP_3)
	v_add3_u32 v14, v12, v14, 0x7fff
	v_add_co_u32 v1, vcc_lo, v1, s22
	v_add_co_ci_u32_e32 v2, vcc_lo, 0, v2, vcc_lo
	v_lshrrev_b32_e32 v14, 16, v14
	v_cndmask_b32_e64 v13, 0x7fc0, v15, s2
	v_cmp_le_i32_e32 vcc_lo, s20, v7
	s_add_u32 s12, s12, s21
	s_addc_u32 s13, s13, 0
	v_cndmask_b32_e64 v12, 0x7fc0, v14, s3
	s_or_b32 s7, vcc_lo, s7
	s_delay_alu instid0(VALU_DEP_1)
	v_perm_b32 v12, v13, v12, 0x5040100
	global_store_b32 v[10:11], v12, off
	global_store_b32 v[8:9], v12, off
	s_and_not1_b32 exec_lo, exec_lo, s7
	s_cbranch_execnz .LBB33_9
.LBB33_10:
	s_or_b32 exec_lo, exec_lo, s36
	s_delay_alu instid0(SALU_CYCLE_1)
	s_mov_b32 s2, exec_lo
	v_cmpx_gt_i32_e64 s6, v0
	s_cbranch_execz .LBB33_13
; %bb.11:
	s_mul_i32 s3, s16, s11
	s_mul_hi_u32 s7, s16, s10
	s_mul_i32 s2, s16, s10
	s_add_i32 s3, s7, s3
	s_load_b32 s7, s[0:1], 0x8c
	s_lshl_b64 s[2:3], s[2:3], 1
	s_delay_alu instid0(SALU_CYCLE_1) | instskip(SKIP_2) | instid1(SALU_CYCLE_1)
	s_add_u32 s2, s14, s2
	s_addc_u32 s3, s15, s3
	s_ashr_i32 s4, s4, 31
	s_mul_i32 s4, s28, s4
	s_delay_alu instid0(SALU_CYCLE_1) | instskip(NEXT) | instid1(SALU_CYCLE_1)
	s_add_i32 s0, s34, s4
	s_add_i32 s31, s0, s35
	s_delay_alu instid0(SALU_CYCLE_1) | instskip(NEXT) | instid1(SALU_CYCLE_1)
	s_lshl_b64 s[0:1], s[30:31], 1
	s_add_u32 s0, s18, s0
	s_addc_u32 s8, s19, s1
	s_ashr_i32 s1, s5, 31
	s_delay_alu instid0(SALU_CYCLE_1) | instskip(NEXT) | instid1(SALU_CYCLE_1)
	s_mul_i32 s17, s17, s1
	s_add_i32 s1, s29, s17
	s_delay_alu instid0(SALU_CYCLE_1) | instskip(NEXT) | instid1(SALU_CYCLE_1)
	s_add_i32 s25, s1, s33
	s_lshl_b64 s[4:5], s[24:25], 1
	s_delay_alu instid0(SALU_CYCLE_1)
	s_add_u32 s1, s0, s4
	s_addc_u32 s4, s8, s5
	s_waitcnt lgkmcnt(0)
	s_and_b32 s5, s7, 0xffff
	s_mov_b32 s7, 0
	.p2align	6
.LBB33_12:                              ; =>This Inner Loop Header: Depth=1
	v_ashrrev_i32_e32 v1, 31, v0
	s_delay_alu instid0(VALU_DEP_1) | instskip(SKIP_1) | instid1(VALU_DEP_2)
	v_lshlrev_b64 v[1:2], 1, v[0:1]
	v_add_nc_u32_e32 v0, s5, v0
	v_add_co_u32 v3, vcc_lo, s2, v1
	s_delay_alu instid0(VALU_DEP_3) | instskip(NEXT) | instid1(VALU_DEP_3)
	v_add_co_ci_u32_e32 v4, vcc_lo, s3, v2, vcc_lo
	v_cmp_le_i32_e32 vcc_lo, s6, v0
	v_add_co_u32 v1, s0, s1, v1
	global_load_u16 v3, v[3:4], off
	v_add_co_ci_u32_e64 v2, s0, s4, v2, s0
	s_or_b32 s7, vcc_lo, s7
	s_waitcnt vmcnt(0)
	global_store_b16 v[1:2], v3, off
	s_and_not1_b32 exec_lo, exec_lo, s7
	s_cbranch_execnz .LBB33_12
.LBB33_13:
	s_nop 0
	s_sendmsg sendmsg(MSG_DEALLOC_VGPRS)
	s_endpgm
.LBB33_14:
                                        ; implicit-def: $sgpr28_sgpr29
	s_branch .LBB33_6
	.section	.rodata,"a",@progbits
	.p2align	6, 0x0
	.amdhsa_kernel _ZN4vllm38concat_and_cache_mla_rope_fused_kernelIN3c108BFloat16ENS1_4HalfELb0EttLNS_18Fp8KVCacheDataTypeE0EEEvPKlPT_S8_PKS7_PKT0_illlliPT3_S6_iiiiPKf
		.amdhsa_group_segment_fixed_size 0
		.amdhsa_private_segment_fixed_size 0
		.amdhsa_kernarg_size 384
		.amdhsa_user_sgpr_count 15
		.amdhsa_user_sgpr_dispatch_ptr 0
		.amdhsa_user_sgpr_queue_ptr 0
		.amdhsa_user_sgpr_kernarg_segment_ptr 1
		.amdhsa_user_sgpr_dispatch_id 0
		.amdhsa_user_sgpr_private_segment_size 0
		.amdhsa_wavefront_size32 1
		.amdhsa_uses_dynamic_stack 0
		.amdhsa_enable_private_segment 0
		.amdhsa_system_sgpr_workgroup_id_x 1
		.amdhsa_system_sgpr_workgroup_id_y 0
		.amdhsa_system_sgpr_workgroup_id_z 0
		.amdhsa_system_sgpr_workgroup_info 0
		.amdhsa_system_vgpr_workitem_id 0
		.amdhsa_next_free_vgpr 18
		.amdhsa_next_free_sgpr 43
		.amdhsa_reserve_vcc 1
		.amdhsa_float_round_mode_32 0
		.amdhsa_float_round_mode_16_64 0
		.amdhsa_float_denorm_mode_32 3
		.amdhsa_float_denorm_mode_16_64 3
		.amdhsa_dx10_clamp 1
		.amdhsa_ieee_mode 1
		.amdhsa_fp16_overflow 0
		.amdhsa_workgroup_processor_mode 1
		.amdhsa_memory_ordered 1
		.amdhsa_forward_progress 0
		.amdhsa_shared_vgpr_count 0
		.amdhsa_exception_fp_ieee_invalid_op 0
		.amdhsa_exception_fp_denorm_src 0
		.amdhsa_exception_fp_ieee_div_zero 0
		.amdhsa_exception_fp_ieee_overflow 0
		.amdhsa_exception_fp_ieee_underflow 0
		.amdhsa_exception_fp_ieee_inexact 0
		.amdhsa_exception_int_div_zero 0
	.end_amdhsa_kernel
	.section	.text._ZN4vllm38concat_and_cache_mla_rope_fused_kernelIN3c108BFloat16ENS1_4HalfELb0EttLNS_18Fp8KVCacheDataTypeE0EEEvPKlPT_S8_PKS7_PKT0_illlliPT3_S6_iiiiPKf,"axG",@progbits,_ZN4vllm38concat_and_cache_mla_rope_fused_kernelIN3c108BFloat16ENS1_4HalfELb0EttLNS_18Fp8KVCacheDataTypeE0EEEvPKlPT_S8_PKS7_PKT0_illlliPT3_S6_iiiiPKf,comdat
.Lfunc_end33:
	.size	_ZN4vllm38concat_and_cache_mla_rope_fused_kernelIN3c108BFloat16ENS1_4HalfELb0EttLNS_18Fp8KVCacheDataTypeE0EEEvPKlPT_S8_PKS7_PKT0_illlliPT3_S6_iiiiPKf, .Lfunc_end33-_ZN4vllm38concat_and_cache_mla_rope_fused_kernelIN3c108BFloat16ENS1_4HalfELb0EttLNS_18Fp8KVCacheDataTypeE0EEEvPKlPT_S8_PKS7_PKT0_illlliPT3_S6_iiiiPKf
                                        ; -- End function
	.section	.AMDGPU.csdata,"",@progbits
; Kernel info:
; codeLenInByte = 3088
; NumSgprs: 45
; NumVgprs: 18
; ScratchSize: 0
; MemoryBound: 0
; FloatMode: 240
; IeeeMode: 1
; LDSByteSize: 0 bytes/workgroup (compile time only)
; SGPRBlocks: 5
; VGPRBlocks: 2
; NumSGPRsForWavesPerEU: 45
; NumVGPRsForWavesPerEU: 18
; Occupancy: 16
; WaveLimiterHint : 1
; COMPUTE_PGM_RSRC2:SCRATCH_EN: 0
; COMPUTE_PGM_RSRC2:USER_SGPR: 15
; COMPUTE_PGM_RSRC2:TRAP_HANDLER: 0
; COMPUTE_PGM_RSRC2:TGID_X_EN: 1
; COMPUTE_PGM_RSRC2:TGID_Y_EN: 0
; COMPUTE_PGM_RSRC2:TGID_Z_EN: 0
; COMPUTE_PGM_RSRC2:TIDIG_COMP_CNT: 0
	.section	.text._ZN4vllm38concat_and_cache_mla_rope_fused_kernelIN3c108BFloat16ES2_Lb1EttLNS_18Fp8KVCacheDataTypeE0EEEvPKlPT_S7_PKS6_PKT0_illlliPT3_S5_iiiiPKf,"axG",@progbits,_ZN4vllm38concat_and_cache_mla_rope_fused_kernelIN3c108BFloat16ES2_Lb1EttLNS_18Fp8KVCacheDataTypeE0EEEvPKlPT_S7_PKS6_PKT0_illlliPT3_S5_iiiiPKf,comdat
	.protected	_ZN4vllm38concat_and_cache_mla_rope_fused_kernelIN3c108BFloat16ES2_Lb1EttLNS_18Fp8KVCacheDataTypeE0EEEvPKlPT_S7_PKS6_PKT0_illlliPT3_S5_iiiiPKf ; -- Begin function _ZN4vllm38concat_and_cache_mla_rope_fused_kernelIN3c108BFloat16ES2_Lb1EttLNS_18Fp8KVCacheDataTypeE0EEEvPKlPT_S7_PKS6_PKT0_illlliPT3_S5_iiiiPKf
	.globl	_ZN4vllm38concat_and_cache_mla_rope_fused_kernelIN3c108BFloat16ES2_Lb1EttLNS_18Fp8KVCacheDataTypeE0EEEvPKlPT_S7_PKS6_PKT0_illlliPT3_S5_iiiiPKf
	.p2align	8
	.type	_ZN4vllm38concat_and_cache_mla_rope_fused_kernelIN3c108BFloat16ES2_Lb1EttLNS_18Fp8KVCacheDataTypeE0EEEvPKlPT_S7_PKS6_PKT0_illlliPT3_S5_iiiiPKf,@function
_ZN4vllm38concat_and_cache_mla_rope_fused_kernelIN3c108BFloat16ES2_Lb1EttLNS_18Fp8KVCacheDataTypeE0EEEvPKlPT_S7_PKS6_PKT0_illlliPT3_S5_iiiiPKf: ; @_ZN4vllm38concat_and_cache_mla_rope_fused_kernelIN3c108BFloat16ES2_Lb1EttLNS_18Fp8KVCacheDataTypeE0EEEvPKlPT_S7_PKS6_PKT0_illlliPT3_S5_iiiiPKf
; %bb.0:
	s_load_b64 s[4:5], s[0:1], 0x60
	s_mov_b32 s20, s15
	s_mov_b32 s21, 0
	s_delay_alu instid0(SALU_CYCLE_1)
	s_lshl_b64 s[2:3], s[20:21], 3
	s_waitcnt lgkmcnt(0)
	s_add_u32 s4, s4, s2
	s_addc_u32 s5, s5, s3
	s_load_b64 s[30:31], s[4:5], 0x0
	s_waitcnt lgkmcnt(0)
	v_cmp_lt_i64_e64 s4, s[30:31], 0
	s_delay_alu instid0(VALU_DEP_1)
	s_and_b32 vcc_lo, exec_lo, s4
	s_cbranch_vccnz .LBB34_13
; %bb.1:
	s_clause 0x2
	s_load_b32 s16, s[0:1], 0x28
	s_load_b64 s[4:5], s[0:1], 0x0
	s_load_b128 s[12:15], s[0:1], 0x10
	s_waitcnt lgkmcnt(0)
	s_ashr_i32 s17, s16, 31
	s_add_u32 s2, s4, s2
	s_addc_u32 s3, s5, s3
	s_load_b64 s[2:3], s[2:3], 0x0
	s_clause 0x3
	s_load_b64 s[26:27], s[0:1], 0x20
	s_load_b32 s18, s[0:1], 0x50
	s_load_b64 s[22:23], s[0:1], 0x58
	s_load_b256 s[4:11], s[0:1], 0x30
	s_waitcnt lgkmcnt(0)
	s_mul_i32 s17, s2, s17
	s_mul_hi_u32 s19, s2, s16
	s_mul_i32 s3, s3, s16
	s_add_i32 s17, s19, s17
	s_mul_i32 s2, s2, s16
	s_add_i32 s3, s17, s3
	s_mov_b32 s17, exec_lo
	s_lshl_b64 s[28:29], s[2:3], 1
	s_delay_alu instid0(SALU_CYCLE_1) | instskip(SKIP_2) | instid1(SALU_CYCLE_1)
	s_add_u32 s21, s26, s28
	s_addc_u32 s33, s27, s29
	s_lshr_b32 s2, s16, 31
	s_add_i32 s16, s16, s2
	s_delay_alu instid0(SALU_CYCLE_1) | instskip(NEXT) | instid1(SALU_CYCLE_1)
	s_ashr_i32 s24, s16, 1
	s_mul_i32 s16, s24, s18
	s_delay_alu instid0(SALU_CYCLE_1)
	v_cmpx_gt_i32_e64 s16, v0
	s_cbranch_execz .LBB34_4
; %bb.2:
	s_clause 0x1
	s_load_b64 s[2:3], s[0:1], 0x8
	s_load_b32 s35, s[0:1], 0x8c
	s_mul_i32 s5, s20, s5
	s_mul_hi_u32 s18, s20, s4
	s_mul_i32 s4, s20, s4
	s_add_i32 s5, s18, s5
	s_ashr_i32 s25, s24, 31
	s_lshl_b64 s[4:5], s[4:5], 1
	s_mov_b32 s36, 0
	s_waitcnt lgkmcnt(0)
	s_add_u32 s18, s2, s4
	s_addc_u32 s19, s3, s5
	s_abs_i32 s34, s24
	s_and_b32 s35, s35, 0xffff
	v_cvt_f32_u32_e32 v1, s34
	s_sub_i32 s2, 0, s34
	s_sub_i32 s37, 0, s24
	s_lshl_b64 s[4:5], s[24:25], 1
	s_delay_alu instid0(VALU_DEP_1) | instskip(SKIP_2) | instid1(VALU_DEP_1)
	v_rcp_iflag_f32_e32 v1, v1
	s_waitcnt_depctr 0xfff
	v_mul_f32_e32 v1, 0x4f7ffffe, v1
	v_cvt_u32_f32_e32 v1, v1
	s_delay_alu instid0(VALU_DEP_1) | instskip(NEXT) | instid1(VALU_DEP_1)
	v_mul_lo_u32 v2, s2, v1
	v_mul_hi_u32 v2, v1, v2
	s_delay_alu instid0(VALU_DEP_1)
	v_dual_mov_b32 v1, v0 :: v_dual_add_nc_u32 v2, v1, v2
.LBB34_3:                               ; =>This Inner Loop Header: Depth=1
	s_delay_alu instid0(VALU_DEP_1) | instskip(SKIP_1) | instid1(VALU_DEP_2)
	v_sub_nc_u32_e32 v3, 0, v1
	v_ashrrev_i32_e32 v4, 31, v1
	v_max_i32_e32 v3, v1, v3
	s_delay_alu instid0(VALU_DEP_2) | instskip(NEXT) | instid1(VALU_DEP_2)
	v_xor_b32_e32 v4, s25, v4
	v_mul_hi_u32 v5, v3, v2
	s_delay_alu instid0(VALU_DEP_1) | instskip(SKIP_1) | instid1(VALU_DEP_2)
	v_mul_lo_u32 v6, v5, s34
	v_add_nc_u32_e32 v7, 1, v5
	v_sub_nc_u32_e32 v3, v3, v6
	s_delay_alu instid0(VALU_DEP_1) | instskip(SKIP_1) | instid1(VALU_DEP_4)
	v_subrev_nc_u32_e32 v6, s34, v3
	v_cmp_le_u32_e32 vcc_lo, s34, v3
	v_cndmask_b32_e32 v5, v5, v7, vcc_lo
	s_delay_alu instid0(VALU_DEP_1) | instskip(NEXT) | instid1(VALU_DEP_1)
	v_dual_cndmask_b32 v3, v3, v6 :: v_dual_add_nc_u32 v6, 1, v5
	v_cmp_le_u32_e32 vcc_lo, s34, v3
	s_delay_alu instid0(VALU_DEP_2) | instskip(NEXT) | instid1(VALU_DEP_1)
	v_cndmask_b32_e32 v3, v5, v6, vcc_lo
	v_xor_b32_e32 v3, v3, v4
	s_delay_alu instid0(VALU_DEP_1) | instskip(NEXT) | instid1(VALU_DEP_1)
	v_sub_nc_u32_e32 v7, v3, v4
	v_mad_u64_u32 v[3:4], null, s37, v7, v[1:2]
	v_ashrrev_i32_e32 v8, 31, v7
	v_mul_lo_u32 v9, v7, s7
	v_mad_u64_u32 v[5:6], null, v7, s6, 0
	v_add_nc_u32_e32 v1, s35, v1
	s_delay_alu instid0(VALU_DEP_4) | instskip(SKIP_1) | instid1(VALU_DEP_1)
	v_mul_lo_u32 v7, v8, s6
	v_ashrrev_i32_e32 v4, 31, v3
	v_lshlrev_b64 v[3:4], 1, v[3:4]
	s_delay_alu instid0(VALU_DEP_3) | instskip(NEXT) | instid1(VALU_DEP_2)
	v_add3_u32 v6, v6, v9, v7
	v_add_co_u32 v7, vcc_lo, s21, v3
	s_delay_alu instid0(VALU_DEP_2) | instskip(NEXT) | instid1(VALU_DEP_4)
	v_lshlrev_b64 v[5:6], 1, v[5:6]
	v_add_co_ci_u32_e32 v8, vcc_lo, s33, v4, vcc_lo
	s_delay_alu instid0(VALU_DEP_3) | instskip(NEXT) | instid1(VALU_DEP_2)
	v_add_co_u32 v9, vcc_lo, v7, s4
	v_add_co_ci_u32_e32 v10, vcc_lo, s5, v8, vcc_lo
	s_delay_alu instid0(VALU_DEP_4)
	v_add_co_u32 v5, vcc_lo, s18, v5
	v_add_co_ci_u32_e32 v6, vcc_lo, s19, v6, vcc_lo
	global_load_u16 v7, v[7:8], off
	v_add_co_u32 v3, vcc_lo, v5, v3
	v_add_co_ci_u32_e32 v4, vcc_lo, v6, v4, vcc_lo
	global_load_u16 v8, v[9:10], off
	v_add_co_u32 v5, vcc_lo, v3, s4
	v_add_co_ci_u32_e32 v6, vcc_lo, s5, v4, vcc_lo
	s_clause 0x1
	global_load_u16 v9, v[3:4], off
	global_load_u16 v10, v[5:6], off
	s_waitcnt vmcnt(3)
	v_lshlrev_b32_e32 v7, 16, v7
	s_waitcnt vmcnt(2)
	v_lshlrev_b32_e32 v8, 16, v8
	;; [unrolled: 2-line block ×3, first 2 shown]
	s_waitcnt vmcnt(0)
	s_delay_alu instid0(VALU_DEP_1) | instskip(SKIP_1) | instid1(VALU_DEP_2)
	v_dual_mul_f32 v11, v7, v9 :: v_dual_lshlrev_b32 v10, 16, v10
	v_mul_f32_e32 v9, v8, v9
	v_mul_f32_e32 v8, v8, v10
	v_mul_f32_e32 v7, v7, v10
	s_delay_alu instid0(VALU_DEP_4) | instskip(NEXT) | instid1(VALU_DEP_4)
	v_bfe_u32 v12, v11, 16, 1
	v_bfe_u32 v10, v9, 16, 1
	s_delay_alu instid0(VALU_DEP_4) | instskip(NEXT) | instid1(VALU_DEP_4)
	v_bfe_u32 v13, v8, 16, 1
	v_bfe_u32 v14, v7, 16, 1
	v_cmp_o_f32_e64 s2, v11, v11
	v_add3_u32 v12, v11, v12, 0x7fff
	v_add3_u32 v10, v9, v10, 0x7fff
	;; [unrolled: 1-line block ×4, first 2 shown]
	s_delay_alu instid0(VALU_DEP_4) | instskip(NEXT) | instid1(VALU_DEP_4)
	v_and_b32_e32 v12, 0xffff0000, v12
	v_and_b32_e32 v10, 0xffff0000, v10
	v_cmp_o_f32_e32 vcc_lo, v9, v9
	v_and_b32_e32 v9, 0xffff0000, v13
	s_delay_alu instid0(VALU_DEP_4) | instskip(SKIP_3) | instid1(VALU_DEP_3)
	v_cndmask_b32_e64 v11, 0x7fc00000, v12, s2
	v_cmp_o_f32_e64 s2, v8, v8
	v_cndmask_b32_e32 v10, 0x7fc00000, v10, vcc_lo
	v_cmp_o_f32_e32 vcc_lo, v7, v7
	v_cndmask_b32_e64 v7, 0x7fc00000, v9, s2
	s_delay_alu instid0(VALU_DEP_1) | instskip(NEXT) | instid1(VALU_DEP_1)
	v_dual_sub_f32 v7, v11, v7 :: v_dual_and_b32 v12, 0xffff0000, v14
	v_cndmask_b32_e32 v8, 0x7fc00000, v12, vcc_lo
	v_cmp_le_i32_e32 vcc_lo, s16, v1
	s_delay_alu instid0(VALU_DEP_3) | instskip(NEXT) | instid1(VALU_DEP_3)
	v_bfe_u32 v9, v7, 16, 1
	v_add_f32_e32 v8, v10, v8
	v_cmp_o_f32_e64 s3, v7, v7
	s_or_b32 s36, vcc_lo, s36
	s_delay_alu instid0(VALU_DEP_3) | instskip(NEXT) | instid1(VALU_DEP_3)
	v_add3_u32 v9, v7, v9, 0x7fff
	v_bfe_u32 v10, v8, 16, 1
	v_cmp_o_f32_e64 s2, v8, v8
	s_delay_alu instid0(VALU_DEP_3) | instskip(NEXT) | instid1(VALU_DEP_3)
	v_lshrrev_b32_e32 v9, 16, v9
	v_add3_u32 v10, v8, v10, 0x7fff
	s_delay_alu instid0(VALU_DEP_2) | instskip(NEXT) | instid1(VALU_DEP_2)
	v_cndmask_b32_e64 v7, 0x7fc0, v9, s3
	v_lshrrev_b32_e32 v10, 16, v10
	s_delay_alu instid0(VALU_DEP_1)
	v_cndmask_b32_e64 v8, 0x7fc0, v10, s2
	s_clause 0x1
	global_store_b16 v[3:4], v7, off
	global_store_b16 v[5:6], v8, off
	s_and_not1_b32 exec_lo, exec_lo, s36
	s_cbranch_execnz .LBB34_3
.LBB34_4:
	s_or_b32 exec_lo, exec_lo, s17
	s_load_b128 s[16:19], s[0:1], 0x68
	s_waitcnt lgkmcnt(0)
	s_ashr_i32 s3, s19, 31
	s_mov_b32 s2, s19
	s_delay_alu instid0(SALU_CYCLE_1) | instskip(SKIP_1) | instid1(SALU_CYCLE_1)
	s_or_b64 s[4:5], s[30:31], s[2:3]
	s_mov_b32 s4, 0
	s_cmp_lg_u64 s[4:5], 0
	s_cbranch_scc0 .LBB34_14
; %bb.5:
	s_add_u32 s34, s2, s3
	s_mov_b32 s6, s3
	s_mov_b32 s7, s3
	s_addc_u32 s35, s3, s3
	s_delay_alu instid0(SALU_CYCLE_1) | instskip(NEXT) | instid1(SALU_CYCLE_1)
	s_xor_b64 s[34:35], s[34:35], s[6:7]
	v_cvt_f32_u32_e32 v1, s34
	v_cvt_f32_u32_e32 v2, s35
	s_sub_u32 s25, 0, s34
	s_subb_u32 s36, 0, s35
	s_delay_alu instid0(VALU_DEP_1) | instskip(NEXT) | instid1(VALU_DEP_1)
	v_fmamk_f32 v1, v2, 0x4f800000, v1
	v_rcp_f32_e32 v1, v1
	s_waitcnt_depctr 0xfff
	v_mul_f32_e32 v1, 0x5f7ffffc, v1
	s_delay_alu instid0(VALU_DEP_1) | instskip(NEXT) | instid1(VALU_DEP_1)
	v_mul_f32_e32 v2, 0x2f800000, v1
	v_trunc_f32_e32 v2, v2
	s_delay_alu instid0(VALU_DEP_1) | instskip(SKIP_1) | instid1(VALU_DEP_2)
	v_fmamk_f32 v1, v2, 0xcf800000, v1
	v_cvt_u32_f32_e32 v2, v2
	v_cvt_u32_f32_e32 v1, v1
	s_delay_alu instid0(VALU_DEP_2) | instskip(NEXT) | instid1(VALU_DEP_2)
	v_readfirstlane_b32 s5, v2
	v_readfirstlane_b32 s19, v1
	s_delay_alu instid0(VALU_DEP_2) | instskip(NEXT) | instid1(VALU_DEP_1)
	s_mul_i32 s37, s25, s5
	s_mul_hi_u32 s39, s25, s19
	s_mul_i32 s38, s36, s19
	s_add_i32 s37, s39, s37
	s_mul_i32 s40, s25, s19
	s_add_i32 s37, s37, s38
	s_mul_hi_u32 s39, s19, s40
	s_mul_hi_u32 s41, s5, s40
	s_mul_i32 s38, s5, s40
	s_mul_hi_u32 s40, s19, s37
	s_mul_i32 s19, s19, s37
	s_mul_hi_u32 s42, s5, s37
	s_add_u32 s19, s39, s19
	s_addc_u32 s39, 0, s40
	s_add_u32 s19, s19, s38
	s_mul_i32 s37, s5, s37
	s_addc_u32 s19, s39, s41
	s_addc_u32 s38, s42, 0
	s_add_u32 s19, s19, s37
	s_addc_u32 s37, 0, s38
	v_add_co_u32 v1, s19, v1, s19
	s_delay_alu instid0(VALU_DEP_1) | instskip(SKIP_1) | instid1(VALU_DEP_1)
	s_cmp_lg_u32 s19, 0
	s_addc_u32 s5, s5, s37
	v_readfirstlane_b32 s19, v1
	s_mul_i32 s37, s25, s5
	s_delay_alu instid0(VALU_DEP_1)
	s_mul_hi_u32 s38, s25, s19
	s_mul_i32 s36, s36, s19
	s_add_i32 s37, s38, s37
	s_mul_i32 s25, s25, s19
	s_add_i32 s37, s37, s36
	s_mul_hi_u32 s38, s5, s25
	s_mul_i32 s39, s5, s25
	s_mul_hi_u32 s25, s19, s25
	s_mul_hi_u32 s40, s19, s37
	s_mul_i32 s19, s19, s37
	s_mul_hi_u32 s36, s5, s37
	s_add_u32 s19, s25, s19
	s_addc_u32 s25, 0, s40
	s_add_u32 s19, s19, s39
	s_mul_i32 s37, s5, s37
	s_addc_u32 s19, s25, s38
	s_addc_u32 s25, s36, 0
	s_add_u32 s19, s19, s37
	s_addc_u32 s25, 0, s25
	v_add_co_u32 v1, s19, v1, s19
	s_delay_alu instid0(VALU_DEP_1) | instskip(SKIP_2) | instid1(VALU_DEP_1)
	s_cmp_lg_u32 s19, 0
	s_addc_u32 s5, s5, s25
	s_ashr_i32 s36, s31, 31
	v_readfirstlane_b32 s19, v1
	s_add_u32 s38, s30, s36
	s_mov_b32 s37, s36
	s_addc_u32 s39, s31, s36
	s_delay_alu instid0(SALU_CYCLE_1) | instskip(NEXT) | instid1(SALU_CYCLE_1)
	s_xor_b64 s[38:39], s[38:39], s[36:37]
	s_mul_i32 s40, s38, s5
	s_mul_hi_u32 s41, s38, s19
	s_mul_hi_u32 s25, s38, s5
	;; [unrolled: 1-line block ×3, first 2 shown]
	s_mul_i32 s19, s39, s19
	s_add_u32 s40, s41, s40
	s_addc_u32 s25, 0, s25
	s_mul_hi_u32 s42, s39, s5
	s_add_u32 s19, s40, s19
	s_mul_i32 s5, s39, s5
	s_addc_u32 s19, s25, s43
	s_addc_u32 s25, s42, 0
	s_add_u32 s5, s19, s5
	s_addc_u32 s19, 0, s25
	s_mul_i32 s42, s34, s5
	s_mul_hi_u32 s25, s34, s5
	s_mul_i32 s41, s34, s19
	v_sub_co_u32 v1, s38, s38, s42
	s_mul_i32 s40, s35, s5
	s_add_i32 s25, s25, s41
	s_delay_alu instid0(SALU_CYCLE_1) | instskip(NEXT) | instid1(VALU_DEP_1)
	s_add_i32 s25, s25, s40
	v_sub_co_u32 v2, s41, v1, s34
	s_sub_i32 s40, s39, s25
	s_cmp_lg_u32 s38, 0
	s_subb_u32 s40, s40, s35
	s_cmp_lg_u32 s41, 0
	v_readfirstlane_b32 s41, v2
	s_subb_u32 s40, s40, 0
	s_delay_alu instid0(SALU_CYCLE_1) | instskip(SKIP_1) | instid1(VALU_DEP_1)
	s_cmp_ge_u32 s40, s35
	s_cselect_b32 s42, -1, 0
	s_cmp_ge_u32 s41, s34
	s_cselect_b32 s41, -1, 0
	s_cmp_eq_u32 s40, s35
	s_cselect_b32 s40, s41, s42
	s_add_u32 s41, s5, 1
	s_addc_u32 s42, s19, 0
	s_add_u32 s43, s5, 2
	s_addc_u32 s44, s19, 0
	s_cmp_lg_u32 s40, 0
	s_cselect_b32 s40, s43, s41
	s_cselect_b32 s41, s44, s42
	s_cmp_lg_u32 s38, 0
	v_readfirstlane_b32 s38, v1
	s_subb_u32 s25, s39, s25
	s_delay_alu instid0(SALU_CYCLE_1) | instskip(SKIP_1) | instid1(VALU_DEP_1)
	s_cmp_ge_u32 s25, s35
	s_cselect_b32 s39, -1, 0
	s_cmp_ge_u32 s38, s34
	s_cselect_b32 s34, -1, 0
	s_cmp_eq_u32 s25, s35
	s_cselect_b32 s25, s34, s39
	s_delay_alu instid0(SALU_CYCLE_1) | instskip(SKIP_3) | instid1(SALU_CYCLE_1)
	s_cmp_lg_u32 s25, 0
	s_cselect_b32 s35, s41, s19
	s_cselect_b32 s34, s40, s5
	s_xor_b64 s[6:7], s[36:37], s[6:7]
	s_xor_b64 s[34:35], s[34:35], s[6:7]
	s_delay_alu instid0(SALU_CYCLE_1)
	s_sub_u32 s6, s34, s6
	s_subb_u32 s7, s35, s7
	s_and_not1_b32 vcc_lo, exec_lo, s4
	s_cbranch_vccnz .LBB34_7
.LBB34_6:
	v_cvt_f32_u32_e32 v1, s2
	s_sub_i32 s5, 0, s2
	s_delay_alu instid0(VALU_DEP_1) | instskip(SKIP_2) | instid1(VALU_DEP_1)
	v_rcp_iflag_f32_e32 v1, v1
	s_waitcnt_depctr 0xfff
	v_mul_f32_e32 v1, 0x4f7ffffe, v1
	v_cvt_u32_f32_e32 v1, v1
	s_delay_alu instid0(VALU_DEP_1) | instskip(NEXT) | instid1(VALU_DEP_1)
	v_readfirstlane_b32 s4, v1
	s_mul_i32 s5, s5, s4
	s_delay_alu instid0(SALU_CYCLE_1) | instskip(NEXT) | instid1(SALU_CYCLE_1)
	s_mul_hi_u32 s5, s4, s5
	s_add_i32 s4, s4, s5
	s_delay_alu instid0(SALU_CYCLE_1) | instskip(NEXT) | instid1(SALU_CYCLE_1)
	s_mul_hi_u32 s4, s30, s4
	s_mul_i32 s5, s4, s2
	s_add_i32 s6, s4, 1
	s_sub_i32 s5, s30, s5
	s_delay_alu instid0(SALU_CYCLE_1)
	s_sub_i32 s7, s5, s2
	s_cmp_ge_u32 s5, s2
	s_cselect_b32 s4, s6, s4
	s_cselect_b32 s5, s7, s5
	s_add_i32 s6, s4, 1
	s_cmp_ge_u32 s5, s2
	s_mov_b32 s7, 0
	s_cselect_b32 s6, s6, s4
.LBB34_7:
	s_delay_alu instid0(SALU_CYCLE_1)
	s_mul_i32 s3, s6, s3
	s_mul_hi_u32 s4, s6, s2
	s_mul_hi_u32 s38, s6, s16
	s_add_i32 s3, s4, s3
	s_mul_i32 s4, s7, s2
	s_mul_i32 s2, s6, s2
	s_add_i32 s3, s3, s4
	s_sub_u32 s36, s30, s2
	s_subb_u32 s37, s31, s3
	s_mul_i32 s39, s7, s16
	s_mul_i32 s34, s6, s16
	s_mul_hi_u32 s7, s36, s17
	s_mul_i32 s37, s37, s17
	s_mul_i32 s30, s36, s17
	s_mov_b32 s40, exec_lo
	v_cmpx_gt_i32_e64 s24, v0
	s_cbranch_execz .LBB34_10
; %bb.8:
	s_mul_i32 s3, s20, s9
	s_mul_hi_u32 s4, s20, s8
	s_mul_i32 s2, s20, s8
	s_add_i32 s3, s4, s3
	s_ashr_i32 s25, s24, 31
	s_lshl_b64 s[2:3], s[2:3], 1
	s_load_b32 s41, s[0:1], 0x8c
	s_add_u32 s8, s12, s2
	s_addc_u32 s9, s13, s3
	s_ashr_i32 s4, s16, 31
	s_ashr_i32 s5, s17, 31
	s_mul_i32 s4, s6, s4
	s_mul_i32 s5, s36, s5
	s_add_i32 s4, s38, s4
	s_add_i32 s5, s7, s5
	;; [unrolled: 1-line block ×4, first 2 shown]
	s_lshl_b64 s[4:5], s[34:35], 1
	s_lshl_b64 s[42:43], s[30:31], 1
	v_dual_mov_b32 v2, v0 :: v_dual_lshlrev_b32 v1, 1, v0
	s_add_u32 s44, s4, s42
	s_addc_u32 s45, s5, s43
	s_add_u32 s31, s44, s22
	s_addc_u32 s35, s45, s23
	s_ashr_i32 s19, s18, 31
	s_delay_alu instid0(SALU_CYCLE_1) | instskip(NEXT) | instid1(SALU_CYCLE_1)
	s_lshl_b64 s[4:5], s[18:19], 1
	s_add_u32 s19, s31, s4
	s_addc_u32 s31, s35, s5
	s_waitcnt lgkmcnt(0)
	s_and_b32 s35, s41, 0xffff
	s_lshl_b64 s[42:43], s[24:25], 1
	s_lshl_b32 s25, s35, 1
	s_add_u32 s28, s28, s42
	s_addc_u32 s29, s29, s43
	s_add_u32 s26, s26, s28
	s_addc_u32 s27, s27, s29
	;; [unrolled: 2-line block ×6, first 2 shown]
	s_add_u32 s28, s22, s2
	s_mov_b32 s41, 0
	s_addc_u32 s29, s23, s3
.LBB34_9:                               ; =>This Inner Loop Header: Depth=1
	v_add_co_u32 v3, s2, s21, v1
	s_delay_alu instid0(VALU_DEP_1) | instskip(SKIP_1) | instid1(VALU_DEP_1)
	v_add_co_ci_u32_e64 v4, null, s33, 0, s2
	v_add_co_u32 v5, s2, s8, v1
	v_add_co_ci_u32_e64 v6, null, s9, 0, s2
	v_add_co_u32 v7, s2, s12, v1
	s_delay_alu instid0(VALU_DEP_1) | instskip(SKIP_1) | instid1(VALU_DEP_1)
	v_add_co_ci_u32_e64 v8, null, s13, 0, s2
	v_add_co_u32 v9, s2, s26, v1
	v_add_co_ci_u32_e64 v10, null, s27, 0, s2
	global_load_u16 v11, v[7:8], off
	global_load_u16 v12, v[5:6], off
	;; [unrolled: 1-line block ×4, first 2 shown]
	v_add_co_u32 v3, s2, s19, v1
	s_delay_alu instid0(VALU_DEP_1) | instskip(SKIP_1) | instid1(VALU_DEP_1)
	v_add_co_ci_u32_e64 v4, null, s31, 0, s2
	v_add_co_u32 v9, s2, s28, v1
	v_add_co_ci_u32_e64 v10, null, s29, 0, s2
	s_add_u32 s21, s21, s25
	s_addc_u32 s33, s33, 0
	s_add_u32 s26, s26, s25
	s_addc_u32 s27, s27, 0
	;; [unrolled: 2-line block ×6, first 2 shown]
	s_waitcnt vmcnt(0)
	v_lshlrev_b32_e32 v14, 16, v14
	v_lshlrev_b32_e32 v13, 16, v13
	;; [unrolled: 1-line block ×4, first 2 shown]
	s_delay_alu instid0(VALU_DEP_2) | instskip(SKIP_1) | instid1(VALU_DEP_3)
	v_dual_mul_f32 v15, v13, v12 :: v_dual_add_nc_u32 v2, s35, v2
	v_mul_f32_e32 v12, v14, v12
	v_mul_f32_e32 v16, v14, v11
	;; [unrolled: 1-line block ×3, first 2 shown]
	s_delay_alu instid0(VALU_DEP_4)
	v_cmp_le_i32_e32 vcc_lo, s24, v2
	v_bfe_u32 v13, v15, 16, 1
	v_bfe_u32 v17, v12, 16, 1
	;; [unrolled: 1-line block ×4, first 2 shown]
	v_cmp_o_f32_e64 s2, v16, v16
	v_add3_u32 v13, v15, v13, 0x7fff
	v_add3_u32 v17, v12, v17, 0x7fff
	;; [unrolled: 1-line block ×4, first 2 shown]
	v_cmp_o_f32_e64 s4, v12, v12
	v_and_b32_e32 v13, 0xffff0000, v13
	v_and_b32_e32 v16, 0xffff0000, v17
	;; [unrolled: 1-line block ×3, first 2 shown]
	v_cmp_o_f32_e64 s5, v15, v15
	v_cmp_o_f32_e64 s3, v11, v11
	s_or_b32 s41, vcc_lo, s41
	s_delay_alu instid0(VALU_DEP_3) | instskip(SKIP_3) | instid1(VALU_DEP_2)
	v_cndmask_b32_e64 v12, 0x7fc00000, v14, s2
	v_cndmask_b32_e64 v14, 0x7fc00000, v16, s4
	v_and_b32_e32 v17, 0xffff0000, v18
	v_cndmask_b32_e64 v11, 0x7fc00000, v13, s5
	v_cndmask_b32_e64 v13, 0x7fc00000, v17, s3
	s_delay_alu instid0(VALU_DEP_1) | instskip(NEXT) | instid1(VALU_DEP_1)
	v_dual_sub_f32 v11, v11, v12 :: v_dual_add_f32 v12, v14, v13
	v_bfe_u32 v13, v11, 16, 1
	v_cmp_o_f32_e64 s3, v11, v11
	s_delay_alu instid0(VALU_DEP_3) | instskip(NEXT) | instid1(VALU_DEP_3)
	v_bfe_u32 v14, v12, 16, 1
	v_add3_u32 v13, v11, v13, 0x7fff
	v_cmp_o_f32_e64 s2, v12, v12
	s_delay_alu instid0(VALU_DEP_3) | instskip(NEXT) | instid1(VALU_DEP_3)
	v_add3_u32 v14, v12, v14, 0x7fff
	v_lshrrev_b32_e32 v13, 16, v13
	s_delay_alu instid0(VALU_DEP_2) | instskip(NEXT) | instid1(VALU_DEP_2)
	v_lshrrev_b32_e32 v14, 16, v14
	v_cndmask_b32_e64 v11, 0x7fc0, v13, s3
	s_delay_alu instid0(VALU_DEP_2)
	v_cndmask_b32_e64 v12, 0x7fc0, v14, s2
	global_store_b16 v[5:6], v11, off
	global_store_b16 v[7:8], v12, off
	;; [unrolled: 1-line block ×4, first 2 shown]
	s_and_not1_b32 exec_lo, exec_lo, s41
	s_cbranch_execnz .LBB34_9
.LBB34_10:
	s_or_b32 exec_lo, exec_lo, s40
	s_delay_alu instid0(SALU_CYCLE_1)
	s_mov_b32 s2, exec_lo
	v_cmpx_gt_i32_e64 s18, v0
	s_cbranch_execz .LBB34_13
; %bb.11:
	s_mul_i32 s3, s20, s11
	s_mul_hi_u32 s4, s20, s10
	s_mul_i32 s2, s20, s10
	s_add_i32 s3, s4, s3
	s_delay_alu instid0(SALU_CYCLE_1) | instskip(NEXT) | instid1(SALU_CYCLE_1)
	s_lshl_b64 s[2:3], s[2:3], 1
	s_add_u32 s2, s14, s2
	s_addc_u32 s3, s15, s3
	s_ashr_i32 s4, s16, 31
	s_delay_alu instid0(SALU_CYCLE_1) | instskip(SKIP_2) | instid1(SALU_CYCLE_1)
	s_mul_i32 s4, s6, s4
	s_load_b32 s6, s[0:1], 0x8c
	s_add_i32 s0, s38, s4
	s_add_i32 s35, s0, s39
	s_delay_alu instid0(SALU_CYCLE_1) | instskip(NEXT) | instid1(SALU_CYCLE_1)
	s_lshl_b64 s[0:1], s[34:35], 1
	s_add_u32 s0, s22, s0
	s_addc_u32 s8, s23, s1
	s_ashr_i32 s1, s17, 31
	s_delay_alu instid0(SALU_CYCLE_1) | instskip(NEXT) | instid1(SALU_CYCLE_1)
	s_mul_i32 s36, s36, s1
	s_add_i32 s1, s7, s36
	s_delay_alu instid0(SALU_CYCLE_1) | instskip(NEXT) | instid1(SALU_CYCLE_1)
	s_add_i32 s31, s1, s37
	s_lshl_b64 s[4:5], s[30:31], 1
	s_delay_alu instid0(SALU_CYCLE_1)
	s_add_u32 s1, s0, s4
	s_addc_u32 s4, s8, s5
	s_waitcnt lgkmcnt(0)
	s_and_b32 s5, s6, 0xffff
	s_mov_b32 s6, 0
	.p2align	6
.LBB34_12:                              ; =>This Inner Loop Header: Depth=1
	v_ashrrev_i32_e32 v1, 31, v0
	s_delay_alu instid0(VALU_DEP_1) | instskip(SKIP_1) | instid1(VALU_DEP_2)
	v_lshlrev_b64 v[1:2], 1, v[0:1]
	v_add_nc_u32_e32 v0, s5, v0
	v_add_co_u32 v3, vcc_lo, s2, v1
	s_delay_alu instid0(VALU_DEP_3) | instskip(NEXT) | instid1(VALU_DEP_3)
	v_add_co_ci_u32_e32 v4, vcc_lo, s3, v2, vcc_lo
	v_cmp_le_i32_e32 vcc_lo, s18, v0
	v_add_co_u32 v1, s0, s1, v1
	global_load_u16 v3, v[3:4], off
	v_add_co_ci_u32_e64 v2, s0, s4, v2, s0
	s_or_b32 s6, vcc_lo, s6
	s_waitcnt vmcnt(0)
	global_store_b16 v[1:2], v3, off
	s_and_not1_b32 exec_lo, exec_lo, s6
	s_cbranch_execnz .LBB34_12
.LBB34_13:
	s_nop 0
	s_sendmsg sendmsg(MSG_DEALLOC_VGPRS)
	s_endpgm
.LBB34_14:
                                        ; implicit-def: $sgpr6_sgpr7
	s_branch .LBB34_6
	.section	.rodata,"a",@progbits
	.p2align	6, 0x0
	.amdhsa_kernel _ZN4vllm38concat_and_cache_mla_rope_fused_kernelIN3c108BFloat16ES2_Lb1EttLNS_18Fp8KVCacheDataTypeE0EEEvPKlPT_S7_PKS6_PKT0_illlliPT3_S5_iiiiPKf
		.amdhsa_group_segment_fixed_size 0
		.amdhsa_private_segment_fixed_size 0
		.amdhsa_kernarg_size 384
		.amdhsa_user_sgpr_count 15
		.amdhsa_user_sgpr_dispatch_ptr 0
		.amdhsa_user_sgpr_queue_ptr 0
		.amdhsa_user_sgpr_kernarg_segment_ptr 1
		.amdhsa_user_sgpr_dispatch_id 0
		.amdhsa_user_sgpr_private_segment_size 0
		.amdhsa_wavefront_size32 1
		.amdhsa_uses_dynamic_stack 0
		.amdhsa_enable_private_segment 0
		.amdhsa_system_sgpr_workgroup_id_x 1
		.amdhsa_system_sgpr_workgroup_id_y 0
		.amdhsa_system_sgpr_workgroup_id_z 0
		.amdhsa_system_sgpr_workgroup_info 0
		.amdhsa_system_vgpr_workitem_id 0
		.amdhsa_next_free_vgpr 19
		.amdhsa_next_free_sgpr 46
		.amdhsa_reserve_vcc 1
		.amdhsa_float_round_mode_32 0
		.amdhsa_float_round_mode_16_64 0
		.amdhsa_float_denorm_mode_32 3
		.amdhsa_float_denorm_mode_16_64 3
		.amdhsa_dx10_clamp 1
		.amdhsa_ieee_mode 1
		.amdhsa_fp16_overflow 0
		.amdhsa_workgroup_processor_mode 1
		.amdhsa_memory_ordered 1
		.amdhsa_forward_progress 0
		.amdhsa_shared_vgpr_count 0
		.amdhsa_exception_fp_ieee_invalid_op 0
		.amdhsa_exception_fp_denorm_src 0
		.amdhsa_exception_fp_ieee_div_zero 0
		.amdhsa_exception_fp_ieee_overflow 0
		.amdhsa_exception_fp_ieee_underflow 0
		.amdhsa_exception_fp_ieee_inexact 0
		.amdhsa_exception_int_div_zero 0
	.end_amdhsa_kernel
	.section	.text._ZN4vllm38concat_and_cache_mla_rope_fused_kernelIN3c108BFloat16ES2_Lb1EttLNS_18Fp8KVCacheDataTypeE0EEEvPKlPT_S7_PKS6_PKT0_illlliPT3_S5_iiiiPKf,"axG",@progbits,_ZN4vllm38concat_and_cache_mla_rope_fused_kernelIN3c108BFloat16ES2_Lb1EttLNS_18Fp8KVCacheDataTypeE0EEEvPKlPT_S7_PKS6_PKT0_illlliPT3_S5_iiiiPKf,comdat
.Lfunc_end34:
	.size	_ZN4vllm38concat_and_cache_mla_rope_fused_kernelIN3c108BFloat16ES2_Lb1EttLNS_18Fp8KVCacheDataTypeE0EEEvPKlPT_S7_PKS6_PKT0_illlliPT3_S5_iiiiPKf, .Lfunc_end34-_ZN4vllm38concat_and_cache_mla_rope_fused_kernelIN3c108BFloat16ES2_Lb1EttLNS_18Fp8KVCacheDataTypeE0EEEvPKlPT_S7_PKS6_PKT0_illlliPT3_S5_iiiiPKf
                                        ; -- End function
	.section	.AMDGPU.csdata,"",@progbits
; Kernel info:
; codeLenInByte = 2984
; NumSgprs: 48
; NumVgprs: 19
; ScratchSize: 0
; MemoryBound: 0
; FloatMode: 240
; IeeeMode: 1
; LDSByteSize: 0 bytes/workgroup (compile time only)
; SGPRBlocks: 5
; VGPRBlocks: 2
; NumSGPRsForWavesPerEU: 48
; NumVGPRsForWavesPerEU: 19
; Occupancy: 16
; WaveLimiterHint : 1
; COMPUTE_PGM_RSRC2:SCRATCH_EN: 0
; COMPUTE_PGM_RSRC2:USER_SGPR: 15
; COMPUTE_PGM_RSRC2:TRAP_HANDLER: 0
; COMPUTE_PGM_RSRC2:TGID_X_EN: 1
; COMPUTE_PGM_RSRC2:TGID_Y_EN: 0
; COMPUTE_PGM_RSRC2:TGID_Z_EN: 0
; COMPUTE_PGM_RSRC2:TIDIG_COMP_CNT: 0
	.section	.text._ZN4vllm38concat_and_cache_mla_rope_fused_kernelIN3c108BFloat16ES2_Lb0EttLNS_18Fp8KVCacheDataTypeE0EEEvPKlPT_S7_PKS6_PKT0_illlliPT3_S5_iiiiPKf,"axG",@progbits,_ZN4vllm38concat_and_cache_mla_rope_fused_kernelIN3c108BFloat16ES2_Lb0EttLNS_18Fp8KVCacheDataTypeE0EEEvPKlPT_S7_PKS6_PKT0_illlliPT3_S5_iiiiPKf,comdat
	.protected	_ZN4vllm38concat_and_cache_mla_rope_fused_kernelIN3c108BFloat16ES2_Lb0EttLNS_18Fp8KVCacheDataTypeE0EEEvPKlPT_S7_PKS6_PKT0_illlliPT3_S5_iiiiPKf ; -- Begin function _ZN4vllm38concat_and_cache_mla_rope_fused_kernelIN3c108BFloat16ES2_Lb0EttLNS_18Fp8KVCacheDataTypeE0EEEvPKlPT_S7_PKS6_PKT0_illlliPT3_S5_iiiiPKf
	.globl	_ZN4vllm38concat_and_cache_mla_rope_fused_kernelIN3c108BFloat16ES2_Lb0EttLNS_18Fp8KVCacheDataTypeE0EEEvPKlPT_S7_PKS6_PKT0_illlliPT3_S5_iiiiPKf
	.p2align	8
	.type	_ZN4vllm38concat_and_cache_mla_rope_fused_kernelIN3c108BFloat16ES2_Lb0EttLNS_18Fp8KVCacheDataTypeE0EEEvPKlPT_S7_PKS6_PKT0_illlliPT3_S5_iiiiPKf,@function
_ZN4vllm38concat_and_cache_mla_rope_fused_kernelIN3c108BFloat16ES2_Lb0EttLNS_18Fp8KVCacheDataTypeE0EEEvPKlPT_S7_PKS6_PKT0_illlliPT3_S5_iiiiPKf: ; @_ZN4vllm38concat_and_cache_mla_rope_fused_kernelIN3c108BFloat16ES2_Lb0EttLNS_18Fp8KVCacheDataTypeE0EEEvPKlPT_S7_PKS6_PKT0_illlliPT3_S5_iiiiPKf
; %bb.0:
	s_load_b64 s[4:5], s[0:1], 0x60
	s_mov_b32 s20, s15
	s_mov_b32 s21, 0
	s_delay_alu instid0(SALU_CYCLE_1)
	s_lshl_b64 s[2:3], s[20:21], 3
	s_waitcnt lgkmcnt(0)
	s_add_u32 s4, s4, s2
	s_addc_u32 s5, s5, s3
	s_load_b64 s[28:29], s[4:5], 0x0
	s_waitcnt lgkmcnt(0)
	v_cmp_lt_i64_e64 s4, s[28:29], 0
	s_delay_alu instid0(VALU_DEP_1)
	s_and_b32 vcc_lo, exec_lo, s4
	s_cbranch_vccnz .LBB35_13
; %bb.1:
	s_clause 0x3
	s_load_b32 s16, s[0:1], 0x28
	s_load_b64 s[4:5], s[0:1], 0x0
	s_load_b128 s[12:15], s[0:1], 0x10
	s_load_b32 s17, s[0:1], 0x50
	v_lshlrev_b32_e32 v3, 1, v0
	s_waitcnt lgkmcnt(0)
	s_ashr_i32 s19, s16, 31
	s_add_u32 s2, s4, s2
	s_addc_u32 s3, s5, s3
	s_lshr_b32 s18, s16, 31
	s_load_b64 s[2:3], s[2:3], 0x0
	s_clause 0x2
	s_load_b64 s[26:27], s[0:1], 0x20
	s_load_b64 s[22:23], s[0:1], 0x58
	s_load_b256 s[4:11], s[0:1], 0x30
	s_add_i32 s18, s16, s18
	s_delay_alu instid0(SALU_CYCLE_1) | instskip(NEXT) | instid1(SALU_CYCLE_1)
	s_ashr_i32 s24, s18, 1
	s_mul_i32 s18, s24, s17
	s_waitcnt lgkmcnt(0)
	s_mul_i32 s17, s2, s19
	s_mul_hi_u32 s19, s2, s16
	s_mul_i32 s3, s3, s16
	s_add_i32 s17, s19, s17
	s_mul_i32 s30, s2, s16
	s_add_i32 s31, s17, s3
	s_mov_b32 s19, exec_lo
	v_cmpx_gt_i32_e64 s18, v0
	s_cbranch_execz .LBB35_4
; %bb.2:
	s_load_b64 s[2:3], s[0:1], 0x8
	s_lshl_b64 s[16:17], s[30:31], 1
	s_mul_i32 s25, s20, s5
	s_mul_hi_u32 s33, s20, s4
	s_add_u32 s5, s26, s16
	s_mul_i32 s34, s20, s4
	s_load_b32 s4, s[0:1], 0x8c
	s_addc_u32 s21, s27, s17
	s_add_i32 s35, s33, s25
	s_ashr_i32 s25, s24, 31
	s_lshl_b64 s[16:17], s[34:35], 1
	s_mov_b32 s36, 0
	s_waitcnt lgkmcnt(0)
	s_add_u32 s33, s2, s16
	s_addc_u32 s34, s3, s17
	s_abs_i32 s35, s24
	s_sub_i32 s38, 0, s24
	v_cvt_f32_u32_e32 v1, s35
	s_sub_i32 s2, 0, s35
	s_and_b32 s37, s4, 0xffff
	s_lshl_b64 s[16:17], s[24:25], 1
	s_lshl_b32 s40, s37, 1
	v_rcp_iflag_f32_e32 v1, v1
	s_waitcnt_depctr 0xfff
	v_mul_f32_e32 v1, 0x4f7ffffe, v1
	s_delay_alu instid0(VALU_DEP_1) | instskip(NEXT) | instid1(VALU_DEP_1)
	v_cvt_u32_f32_e32 v2, v1
	v_mul_lo_u32 v1, s2, v2
	s_lshl_b32 s2, s24, 1
	s_delay_alu instid0(SALU_CYCLE_1) | instskip(NEXT) | instid1(VALU_DEP_1)
	s_sub_i32 s39, 0, s2
	v_mul_hi_u32 v4, v2, v1
	s_delay_alu instid0(VALU_DEP_1)
	v_dual_mov_b32 v1, v3 :: v_dual_add_nc_u32 v4, v2, v4
	v_mov_b32_e32 v2, v0
.LBB35_3:                               ; =>This Inner Loop Header: Depth=1
	s_delay_alu instid0(VALU_DEP_1) | instskip(SKIP_1) | instid1(VALU_DEP_2)
	v_sub_nc_u32_e32 v5, 0, v2
	v_ashrrev_i32_e32 v6, 31, v2
	v_max_i32_e32 v5, v2, v5
	s_delay_alu instid0(VALU_DEP_2) | instskip(NEXT) | instid1(VALU_DEP_2)
	v_xor_b32_e32 v6, s25, v6
	v_mul_hi_u32 v7, v5, v4
	s_delay_alu instid0(VALU_DEP_1) | instskip(SKIP_1) | instid1(VALU_DEP_2)
	v_mul_lo_u32 v8, v7, s35
	v_add_nc_u32_e32 v9, 1, v7
	v_sub_nc_u32_e32 v5, v5, v8
	s_delay_alu instid0(VALU_DEP_1) | instskip(SKIP_1) | instid1(VALU_DEP_4)
	v_subrev_nc_u32_e32 v8, s35, v5
	v_cmp_le_u32_e32 vcc_lo, s35, v5
	v_cndmask_b32_e32 v7, v7, v9, vcc_lo
	s_delay_alu instid0(VALU_DEP_1) | instskip(NEXT) | instid1(VALU_DEP_1)
	v_dual_cndmask_b32 v5, v5, v8 :: v_dual_add_nc_u32 v8, 1, v7
	v_cmp_le_u32_e32 vcc_lo, s35, v5
	s_delay_alu instid0(VALU_DEP_2) | instskip(NEXT) | instid1(VALU_DEP_1)
	v_cndmask_b32_e32 v5, v7, v8, vcc_lo
	v_xor_b32_e32 v5, v5, v6
	s_delay_alu instid0(VALU_DEP_1) | instskip(NEXT) | instid1(VALU_DEP_1)
	v_sub_nc_u32_e32 v11, v5, v6
	v_mad_u64_u32 v[5:6], null, s38, v11, v[2:3]
	v_ashrrev_i32_e32 v6, 31, v11
	v_mul_lo_u32 v12, v11, s7
	v_mad_u64_u32 v[7:8], null, v11, s6, 0
	v_mad_u64_u32 v[9:10], null, s39, v11, v[1:2]
	s_delay_alu instid0(VALU_DEP_4) | instskip(SKIP_3) | instid1(VALU_DEP_3)
	v_mul_lo_u32 v11, v6, s6
	v_ashrrev_i32_e32 v6, 31, v5
	v_add_nc_u32_e32 v2, s37, v2
	v_add_nc_u32_e32 v1, s40, v1
	v_lshlrev_b64 v[5:6], 1, v[5:6]
	v_ashrrev_i32_e32 v10, 31, v9
	v_add3_u32 v8, v8, v12, v11
	s_delay_alu instid0(VALU_DEP_3) | instskip(NEXT) | instid1(VALU_DEP_2)
	v_add_co_u32 v5, vcc_lo, s5, v5
	v_lshlrev_b64 v[7:8], 1, v[7:8]
	v_add_co_ci_u32_e32 v6, vcc_lo, s21, v6, vcc_lo
	s_delay_alu instid0(VALU_DEP_3) | instskip(SKIP_1) | instid1(VALU_DEP_3)
	v_add_co_u32 v11, vcc_lo, v5, s16
	v_lshlrev_b64 v[9:10], 1, v[9:10]
	v_add_co_ci_u32_e32 v12, vcc_lo, s17, v6, vcc_lo
	v_add_co_u32 v7, vcc_lo, s33, v7
	v_add_co_ci_u32_e32 v8, vcc_lo, s34, v8, vcc_lo
	global_load_u16 v13, v[5:6], off
	v_add_co_u32 v5, vcc_lo, v7, v9
	v_add_co_ci_u32_e32 v6, vcc_lo, v8, v10, vcc_lo
	global_load_u16 v7, v[11:12], off
	global_load_b32 v8, v[5:6], off
	s_waitcnt vmcnt(2)
	v_lshlrev_b32_e32 v9, 16, v13
	s_waitcnt vmcnt(1)
	v_lshlrev_b32_e32 v7, 16, v7
	s_waitcnt vmcnt(0)
	v_and_b32_e32 v10, 0xffff0000, v8
	s_delay_alu instid0(VALU_DEP_1) | instskip(NEXT) | instid1(VALU_DEP_1)
	v_dual_mul_f32 v11, v7, v10 :: v_dual_lshlrev_b32 v8, 16, v8
	v_dual_mul_f32 v7, v8, v7 :: v_dual_mul_f32 v10, v9, v10
	s_delay_alu instid0(VALU_DEP_2) | instskip(NEXT) | instid1(VALU_DEP_2)
	v_cmp_o_f32_e32 vcc_lo, v11, v11
	v_bfe_u32 v14, v7, 16, 1
	s_delay_alu instid0(VALU_DEP_3) | instskip(SKIP_1) | instid1(VALU_DEP_3)
	v_bfe_u32 v12, v10, 16, 1
	v_cmp_o_f32_e64 s4, v10, v10
	v_add3_u32 v14, v7, v14, 0x7fff
	v_mul_f32_e32 v9, v9, v8
	v_bfe_u32 v8, v11, 16, 1
	v_add3_u32 v12, v10, v12, 0x7fff
	s_delay_alu instid0(VALU_DEP_4) | instskip(NEXT) | instid1(VALU_DEP_4)
	v_and_b32_e32 v14, 0xffff0000, v14
	v_bfe_u32 v13, v9, 16, 1
	s_delay_alu instid0(VALU_DEP_4) | instskip(SKIP_1) | instid1(VALU_DEP_3)
	v_add3_u32 v8, v11, v8, 0x7fff
	v_cmp_o_f32_e64 s3, v9, v9
	v_add3_u32 v13, v9, v13, 0x7fff
	s_delay_alu instid0(VALU_DEP_3) | instskip(SKIP_1) | instid1(VALU_DEP_3)
	v_and_b32_e32 v8, 0xffff0000, v8
	v_cmp_o_f32_e64 s2, v7, v7
	v_and_b32_e32 v13, 0xffff0000, v13
	s_delay_alu instid0(VALU_DEP_3) | instskip(NEXT) | instid1(VALU_DEP_3)
	v_cndmask_b32_e32 v8, 0x7fc00000, v8, vcc_lo
	v_cndmask_b32_e64 v10, 0x7fc00000, v14, s2
	v_and_b32_e32 v12, 0xffff0000, v12
	s_delay_alu instid0(VALU_DEP_4) | instskip(NEXT) | instid1(VALU_DEP_2)
	v_cndmask_b32_e64 v9, 0x7fc00000, v13, s3
	v_cndmask_b32_e64 v7, 0x7fc00000, v12, s4
	s_delay_alu instid0(VALU_DEP_1) | instskip(NEXT) | instid1(VALU_DEP_1)
	v_dual_sub_f32 v8, v9, v8 :: v_dual_add_f32 v7, v10, v7
	v_bfe_u32 v9, v8, 16, 1
	v_cmp_o_f32_e64 s2, v8, v8
	s_delay_alu instid0(VALU_DEP_3) | instskip(SKIP_1) | instid1(VALU_DEP_4)
	v_bfe_u32 v10, v7, 16, 1
	v_cmp_o_f32_e32 vcc_lo, v7, v7
	v_add3_u32 v9, v8, v9, 0x7fff
	s_delay_alu instid0(VALU_DEP_3) | instskip(NEXT) | instid1(VALU_DEP_2)
	v_add3_u32 v10, v7, v10, 0x7fff
	v_lshrrev_b32_e32 v9, 16, v9
	s_delay_alu instid0(VALU_DEP_2) | instskip(NEXT) | instid1(VALU_DEP_2)
	v_lshrrev_b32_e32 v10, 16, v10
	v_cndmask_b32_e64 v7, 0x7fc0, v9, s2
	s_delay_alu instid0(VALU_DEP_2) | instskip(SKIP_1) | instid1(VALU_DEP_2)
	v_cndmask_b32_e32 v8, 0x7fc0, v10, vcc_lo
	v_cmp_le_i32_e32 vcc_lo, s18, v2
	v_perm_b32 v7, v8, v7, 0x5040100
	s_or_b32 s36, vcc_lo, s36
	global_store_b32 v[5:6], v7, off
	s_and_not1_b32 exec_lo, exec_lo, s36
	s_cbranch_execnz .LBB35_3
.LBB35_4:
	s_or_b32 exec_lo, exec_lo, s19
	s_load_b128 s[16:19], s[0:1], 0x68
	s_waitcnt lgkmcnt(0)
	s_ashr_i32 s3, s19, 31
	s_mov_b32 s2, s19
	s_delay_alu instid0(SALU_CYCLE_1) | instskip(SKIP_1) | instid1(SALU_CYCLE_1)
	s_or_b64 s[4:5], s[28:29], s[2:3]
	s_mov_b32 s4, 0
	s_cmp_lg_u64 s[4:5], 0
	s_cbranch_scc0 .LBB35_14
; %bb.5:
	s_add_u32 s34, s2, s3
	s_mov_b32 s6, s3
	s_mov_b32 s7, s3
	s_addc_u32 s35, s3, s3
	s_delay_alu instid0(SALU_CYCLE_1) | instskip(NEXT) | instid1(SALU_CYCLE_1)
	s_xor_b64 s[34:35], s[34:35], s[6:7]
	v_cvt_f32_u32_e32 v1, s34
	v_cvt_f32_u32_e32 v2, s35
	s_sub_u32 s21, 0, s34
	s_subb_u32 s25, 0, s35
	s_delay_alu instid0(VALU_DEP_1) | instskip(NEXT) | instid1(VALU_DEP_1)
	v_fmamk_f32 v1, v2, 0x4f800000, v1
	v_rcp_f32_e32 v1, v1
	s_waitcnt_depctr 0xfff
	v_mul_f32_e32 v1, 0x5f7ffffc, v1
	s_delay_alu instid0(VALU_DEP_1) | instskip(NEXT) | instid1(VALU_DEP_1)
	v_mul_f32_e32 v2, 0x2f800000, v1
	v_trunc_f32_e32 v2, v2
	s_delay_alu instid0(VALU_DEP_1) | instskip(SKIP_1) | instid1(VALU_DEP_2)
	v_fmamk_f32 v1, v2, 0xcf800000, v1
	v_cvt_u32_f32_e32 v2, v2
	v_cvt_u32_f32_e32 v1, v1
	s_delay_alu instid0(VALU_DEP_2) | instskip(NEXT) | instid1(VALU_DEP_2)
	v_readfirstlane_b32 s5, v2
	v_readfirstlane_b32 s19, v1
	s_delay_alu instid0(VALU_DEP_2) | instskip(NEXT) | instid1(VALU_DEP_1)
	s_mul_i32 s33, s21, s5
	s_mul_hi_u32 s37, s21, s19
	s_mul_i32 s36, s25, s19
	s_add_i32 s33, s37, s33
	s_mul_i32 s38, s21, s19
	s_add_i32 s33, s33, s36
	s_mul_hi_u32 s37, s19, s38
	s_mul_hi_u32 s39, s5, s38
	s_mul_i32 s36, s5, s38
	s_mul_hi_u32 s38, s19, s33
	s_mul_i32 s19, s19, s33
	s_mul_hi_u32 s40, s5, s33
	s_add_u32 s19, s37, s19
	s_addc_u32 s37, 0, s38
	s_add_u32 s19, s19, s36
	s_mul_i32 s33, s5, s33
	s_addc_u32 s19, s37, s39
	s_addc_u32 s36, s40, 0
	s_add_u32 s19, s19, s33
	s_addc_u32 s33, 0, s36
	v_add_co_u32 v1, s19, v1, s19
	s_delay_alu instid0(VALU_DEP_1) | instskip(SKIP_1) | instid1(VALU_DEP_1)
	s_cmp_lg_u32 s19, 0
	s_addc_u32 s5, s5, s33
	v_readfirstlane_b32 s19, v1
	s_mul_i32 s33, s21, s5
	s_delay_alu instid0(VALU_DEP_1)
	s_mul_hi_u32 s36, s21, s19
	s_mul_i32 s25, s25, s19
	s_add_i32 s33, s36, s33
	s_mul_i32 s21, s21, s19
	s_add_i32 s33, s33, s25
	s_mul_hi_u32 s36, s5, s21
	s_mul_i32 s37, s5, s21
	s_mul_hi_u32 s21, s19, s21
	s_mul_hi_u32 s38, s19, s33
	s_mul_i32 s19, s19, s33
	s_mul_hi_u32 s25, s5, s33
	s_add_u32 s19, s21, s19
	s_addc_u32 s21, 0, s38
	s_add_u32 s19, s19, s37
	s_mul_i32 s33, s5, s33
	s_addc_u32 s19, s21, s36
	s_addc_u32 s21, s25, 0
	s_add_u32 s19, s19, s33
	s_addc_u32 s21, 0, s21
	v_add_co_u32 v1, s19, v1, s19
	s_delay_alu instid0(VALU_DEP_1) | instskip(SKIP_2) | instid1(VALU_DEP_1)
	s_cmp_lg_u32 s19, 0
	s_addc_u32 s5, s5, s21
	s_ashr_i32 s36, s29, 31
	v_readfirstlane_b32 s19, v1
	s_add_u32 s38, s28, s36
	s_mov_b32 s37, s36
	s_addc_u32 s39, s29, s36
	s_delay_alu instid0(SALU_CYCLE_1) | instskip(NEXT) | instid1(SALU_CYCLE_1)
	s_xor_b64 s[38:39], s[38:39], s[36:37]
	s_mul_i32 s25, s38, s5
	s_mul_hi_u32 s33, s38, s19
	s_mul_hi_u32 s21, s38, s5
	;; [unrolled: 1-line block ×3, first 2 shown]
	s_mul_i32 s19, s39, s19
	s_add_u32 s25, s33, s25
	s_addc_u32 s21, 0, s21
	s_mul_hi_u32 s40, s39, s5
	s_add_u32 s19, s25, s19
	s_mul_i32 s5, s39, s5
	s_addc_u32 s19, s21, s41
	s_addc_u32 s21, s40, 0
	s_add_u32 s5, s19, s5
	s_addc_u32 s19, 0, s21
	s_mul_hi_u32 s21, s34, s5
	s_mul_i32 s33, s34, s19
	s_mul_i32 s40, s34, s5
	s_add_i32 s21, s21, s33
	v_sub_co_u32 v1, s33, s38, s40
	s_mul_i32 s25, s35, s5
	s_delay_alu instid0(SALU_CYCLE_1) | instskip(NEXT) | instid1(VALU_DEP_1)
	s_add_i32 s21, s21, s25
	v_sub_co_u32 v2, s38, v1, s34
	s_sub_i32 s25, s39, s21
	s_cmp_lg_u32 s33, 0
	s_subb_u32 s25, s25, s35
	s_cmp_lg_u32 s38, 0
	v_readfirstlane_b32 s38, v2
	s_subb_u32 s25, s25, 0
	s_delay_alu instid0(SALU_CYCLE_1) | instskip(SKIP_1) | instid1(VALU_DEP_1)
	s_cmp_ge_u32 s25, s35
	s_cselect_b32 s40, -1, 0
	s_cmp_ge_u32 s38, s34
	s_cselect_b32 s38, -1, 0
	s_cmp_eq_u32 s25, s35
	s_cselect_b32 s25, s38, s40
	s_add_u32 s38, s5, 1
	s_addc_u32 s40, s19, 0
	s_add_u32 s41, s5, 2
	s_addc_u32 s42, s19, 0
	s_cmp_lg_u32 s25, 0
	s_cselect_b32 s25, s41, s38
	s_cselect_b32 s38, s42, s40
	s_cmp_lg_u32 s33, 0
	v_readfirstlane_b32 s33, v1
	s_subb_u32 s21, s39, s21
	s_delay_alu instid0(SALU_CYCLE_1) | instskip(SKIP_1) | instid1(VALU_DEP_1)
	s_cmp_ge_u32 s21, s35
	s_cselect_b32 s39, -1, 0
	s_cmp_ge_u32 s33, s34
	s_cselect_b32 s33, -1, 0
	s_cmp_eq_u32 s21, s35
	s_cselect_b32 s21, s33, s39
	s_delay_alu instid0(SALU_CYCLE_1) | instskip(SKIP_3) | instid1(SALU_CYCLE_1)
	s_cmp_lg_u32 s21, 0
	s_cselect_b32 s35, s38, s19
	s_cselect_b32 s34, s25, s5
	s_xor_b64 s[6:7], s[36:37], s[6:7]
	s_xor_b64 s[34:35], s[34:35], s[6:7]
	s_delay_alu instid0(SALU_CYCLE_1)
	s_sub_u32 s6, s34, s6
	s_subb_u32 s7, s35, s7
	s_and_not1_b32 vcc_lo, exec_lo, s4
	s_cbranch_vccnz .LBB35_7
.LBB35_6:
	v_cvt_f32_u32_e32 v1, s2
	s_sub_i32 s5, 0, s2
	s_delay_alu instid0(VALU_DEP_1) | instskip(SKIP_2) | instid1(VALU_DEP_1)
	v_rcp_iflag_f32_e32 v1, v1
	s_waitcnt_depctr 0xfff
	v_mul_f32_e32 v1, 0x4f7ffffe, v1
	v_cvt_u32_f32_e32 v1, v1
	s_delay_alu instid0(VALU_DEP_1) | instskip(NEXT) | instid1(VALU_DEP_1)
	v_readfirstlane_b32 s4, v1
	s_mul_i32 s5, s5, s4
	s_delay_alu instid0(SALU_CYCLE_1) | instskip(NEXT) | instid1(SALU_CYCLE_1)
	s_mul_hi_u32 s5, s4, s5
	s_add_i32 s4, s4, s5
	s_delay_alu instid0(SALU_CYCLE_1) | instskip(NEXT) | instid1(SALU_CYCLE_1)
	s_mul_hi_u32 s4, s28, s4
	s_mul_i32 s5, s4, s2
	s_add_i32 s6, s4, 1
	s_sub_i32 s5, s28, s5
	s_delay_alu instid0(SALU_CYCLE_1)
	s_sub_i32 s7, s5, s2
	s_cmp_ge_u32 s5, s2
	s_cselect_b32 s4, s6, s4
	s_cselect_b32 s5, s7, s5
	s_add_i32 s6, s4, 1
	s_cmp_ge_u32 s5, s2
	s_mov_b32 s7, 0
	s_cselect_b32 s6, s6, s4
.LBB35_7:
	s_delay_alu instid0(SALU_CYCLE_1)
	s_mul_i32 s3, s6, s3
	s_mul_hi_u32 s4, s6, s2
	s_mul_hi_u32 s33, s6, s16
	s_add_i32 s3, s4, s3
	s_mul_i32 s4, s7, s2
	s_mul_i32 s2, s6, s2
	s_add_i32 s3, s3, s4
	s_sub_u32 s5, s28, s2
	s_subb_u32 s21, s29, s3
	s_mul_i32 s36, s7, s16
	s_mul_i32 s34, s6, s16
	s_mul_hi_u32 s7, s5, s17
	s_mul_i32 s21, s21, s17
	s_mul_i32 s28, s5, s17
	s_mov_b32 s37, exec_lo
	v_cmpx_gt_i32_e64 s24, v0
	s_cbranch_execz .LBB35_10
; %bb.8:
	s_load_b32 s4, s[0:1], 0x8c
	s_lshl_b64 s[2:3], s[30:31], 1
	s_ashr_i32 s25, s24, 31
	s_ashr_i32 s29, s16, 31
	;; [unrolled: 1-line block ×4, first 2 shown]
	s_mul_i32 s9, s9, s20
	s_mul_hi_u32 s31, s8, s20
	s_mul_i32 s38, s8, s20
	s_mul_i32 s29, s6, s29
	;; [unrolled: 1-line block ×3, first 2 shown]
	v_lshlrev_b32_e32 v5, 2, v0
	v_mov_b32_e32 v7, v0
	s_waitcnt lgkmcnt(0)
	s_and_b32 s30, s4, 0xffff
	s_add_u32 s4, s26, s2
	s_addc_u32 s27, s27, s3
	s_add_i32 s39, s31, s9
	v_add_co_u32 v1, s4, s4, v3
	s_lshl_b64 s[2:3], s[38:39], 1
	s_lshl_b32 s26, s30, 1
	s_lshl_b64 s[8:9], s[24:25], 1
	v_add_co_ci_u32_e64 v2, null, s27, 0, s4
	s_add_u32 s4, s12, s2
	s_addc_u32 s27, s13, s3
	s_add_i32 s2, s33, s29
	s_add_i32 s3, s7, s35
	;; [unrolled: 1-line block ×4, first 2 shown]
	s_lshl_b64 s[2:3], s[34:35], 1
	s_lshl_b64 s[12:13], s[28:29], 1
	s_lshl_b32 s25, s30, 2
	s_add_u32 s12, s2, s12
	s_addc_u32 s13, s3, s13
	s_lshl_b64 s[2:3], s[18:19], 1
	v_add_co_u32 v3, s4, s4, v5
	s_add_u32 s2, s22, s2
	s_addc_u32 s3, s23, s3
	s_add_u32 s2, s2, s12
	s_addc_u32 s3, s3, s13
	v_add_co_u32 v5, s2, s2, v5
	v_add_co_ci_u32_e64 v4, null, s27, 0, s4
	v_add_co_ci_u32_e64 v6, null, s3, 0, s2
	s_mov_b32 s19, 0
	s_mov_b64 s[12:13], 0
.LBB35_9:                               ; =>This Inner Loop Header: Depth=1
	s_delay_alu instid0(SALU_CYCLE_1)
	v_add_co_u32 v8, vcc_lo, v3, s12
	v_add_co_ci_u32_e32 v9, vcc_lo, s13, v4, vcc_lo
	v_add_co_u32 v10, vcc_lo, v1, s8
	v_add_co_ci_u32_e32 v11, vcc_lo, s9, v2, vcc_lo
	global_load_u16 v12, v[1:2], off
	global_load_b32 v13, v[8:9], off
	global_load_u16 v10, v[10:11], off
	v_add_nc_u32_e32 v7, s30, v7
	s_waitcnt vmcnt(0)
	v_lshlrev_b32_e32 v10, 16, v10
	v_lshlrev_b32_e32 v11, 16, v12
	v_and_b32_e32 v12, 0xffff0000, v13
	s_delay_alu instid0(VALU_DEP_1) | instskip(NEXT) | instid1(VALU_DEP_1)
	v_dual_mul_f32 v14, v10, v12 :: v_dual_lshlrev_b32 v13, 16, v13
	v_mul_f32_e32 v10, v13, v10
	s_delay_alu instid0(VALU_DEP_4) | instskip(SKIP_1) | instid1(VALU_DEP_4)
	v_mul_f32_e32 v12, v11, v12
	v_mul_f32_e32 v11, v11, v13
	v_bfe_u32 v13, v14, 16, 1
	s_delay_alu instid0(VALU_DEP_4) | instskip(SKIP_1) | instid1(VALU_DEP_4)
	v_bfe_u32 v17, v10, 16, 1
	v_cmp_o_f32_e32 vcc_lo, v14, v14
	v_bfe_u32 v16, v11, 16, 1
	v_cmp_o_f32_e64 s3, v11, v11
	v_add3_u32 v13, v14, v13, 0x7fff
	v_add3_u32 v17, v10, v17, 0x7fff
	v_cmp_o_f32_e64 s2, v10, v10
	v_add3_u32 v16, v11, v16, 0x7fff
	s_delay_alu instid0(VALU_DEP_4) | instskip(SKIP_2) | instid1(VALU_DEP_4)
	v_and_b32_e32 v13, 0xffff0000, v13
	v_bfe_u32 v15, v12, 16, 1
	v_cmp_o_f32_e64 s4, v12, v12
	v_and_b32_e32 v16, 0xffff0000, v16
	s_delay_alu instid0(VALU_DEP_4) | instskip(NEXT) | instid1(VALU_DEP_4)
	v_cndmask_b32_e32 v11, 0x7fc00000, v13, vcc_lo
	v_add3_u32 v15, v12, v15, 0x7fff
	s_delay_alu instid0(VALU_DEP_3) | instskip(SKIP_1) | instid1(VALU_DEP_3)
	v_cndmask_b32_e64 v12, 0x7fc00000, v16, s3
	v_and_b32_e32 v17, 0xffff0000, v17
	v_and_b32_e32 v15, 0xffff0000, v15
	s_delay_alu instid0(VALU_DEP_3) | instskip(NEXT) | instid1(VALU_DEP_3)
	v_sub_f32_e32 v12, v12, v11
	v_cndmask_b32_e64 v13, 0x7fc00000, v17, s2
	s_delay_alu instid0(VALU_DEP_3) | instskip(NEXT) | instid1(VALU_DEP_3)
	v_cndmask_b32_e64 v10, 0x7fc00000, v15, s4
	v_bfe_u32 v14, v12, 16, 1
	v_cmp_o_f32_e64 s3, v12, v12
	s_delay_alu instid0(VALU_DEP_3) | instskip(SKIP_1) | instid1(VALU_DEP_4)
	v_add_f32_e32 v13, v13, v10
	v_add_co_u32 v10, vcc_lo, v5, s12
	v_add3_u32 v14, v12, v14, 0x7fff
	v_add_co_ci_u32_e32 v11, vcc_lo, s13, v6, vcc_lo
	s_delay_alu instid0(VALU_DEP_4) | instskip(SKIP_1) | instid1(VALU_DEP_4)
	v_bfe_u32 v15, v13, 16, 1
	v_cmp_o_f32_e64 s2, v13, v13
	v_lshrrev_b32_e32 v14, 16, v14
	v_add_co_u32 v1, vcc_lo, v1, s26
	s_delay_alu instid0(VALU_DEP_4) | instskip(SKIP_1) | instid1(VALU_DEP_4)
	v_add3_u32 v15, v13, v15, 0x7fff
	v_add_co_ci_u32_e32 v2, vcc_lo, 0, v2, vcc_lo
	v_cndmask_b32_e64 v12, 0x7fc0, v14, s3
	v_cmp_le_i32_e32 vcc_lo, s24, v7
	s_delay_alu instid0(VALU_DEP_4) | instskip(SKIP_3) | instid1(VALU_DEP_1)
	v_lshrrev_b32_e32 v15, 16, v15
	s_add_u32 s12, s12, s25
	s_addc_u32 s13, s13, 0
	s_or_b32 s19, vcc_lo, s19
	v_cndmask_b32_e64 v13, 0x7fc0, v15, s2
	s_delay_alu instid0(VALU_DEP_1)
	v_perm_b32 v12, v13, v12, 0x5040100
	global_store_b32 v[8:9], v12, off
	global_store_b32 v[10:11], v12, off
	s_and_not1_b32 exec_lo, exec_lo, s19
	s_cbranch_execnz .LBB35_9
.LBB35_10:
	s_or_b32 exec_lo, exec_lo, s37
	s_delay_alu instid0(SALU_CYCLE_1)
	s_mov_b32 s2, exec_lo
	v_cmpx_gt_i32_e64 s18, v0
	s_cbranch_execz .LBB35_13
; %bb.11:
	s_mul_i32 s3, s20, s11
	s_mul_hi_u32 s4, s20, s10
	s_mul_i32 s2, s20, s10
	s_add_i32 s3, s4, s3
	s_delay_alu instid0(SALU_CYCLE_1) | instskip(NEXT) | instid1(SALU_CYCLE_1)
	s_lshl_b64 s[2:3], s[2:3], 1
	s_add_u32 s2, s14, s2
	s_addc_u32 s3, s15, s3
	s_ashr_i32 s4, s16, 31
	s_delay_alu instid0(SALU_CYCLE_1) | instskip(SKIP_2) | instid1(SALU_CYCLE_1)
	s_mul_i32 s4, s6, s4
	s_load_b32 s6, s[0:1], 0x8c
	s_add_i32 s0, s33, s4
	s_add_i32 s35, s0, s36
	s_delay_alu instid0(SALU_CYCLE_1) | instskip(NEXT) | instid1(SALU_CYCLE_1)
	s_lshl_b64 s[0:1], s[34:35], 1
	s_add_u32 s0, s22, s0
	s_addc_u32 s8, s23, s1
	s_ashr_i32 s1, s17, 31
	s_delay_alu instid0(SALU_CYCLE_1) | instskip(NEXT) | instid1(SALU_CYCLE_1)
	s_mul_i32 s5, s5, s1
	s_add_i32 s1, s7, s5
	s_delay_alu instid0(SALU_CYCLE_1) | instskip(NEXT) | instid1(SALU_CYCLE_1)
	s_add_i32 s29, s1, s21
	s_lshl_b64 s[4:5], s[28:29], 1
	s_delay_alu instid0(SALU_CYCLE_1)
	s_add_u32 s1, s0, s4
	s_addc_u32 s4, s8, s5
	s_waitcnt lgkmcnt(0)
	s_and_b32 s5, s6, 0xffff
	s_mov_b32 s6, 0
	.p2align	6
.LBB35_12:                              ; =>This Inner Loop Header: Depth=1
	v_ashrrev_i32_e32 v1, 31, v0
	s_delay_alu instid0(VALU_DEP_1) | instskip(SKIP_1) | instid1(VALU_DEP_2)
	v_lshlrev_b64 v[1:2], 1, v[0:1]
	v_add_nc_u32_e32 v0, s5, v0
	v_add_co_u32 v3, vcc_lo, s2, v1
	s_delay_alu instid0(VALU_DEP_3) | instskip(NEXT) | instid1(VALU_DEP_3)
	v_add_co_ci_u32_e32 v4, vcc_lo, s3, v2, vcc_lo
	v_cmp_le_i32_e32 vcc_lo, s18, v0
	v_add_co_u32 v1, s0, s1, v1
	global_load_u16 v3, v[3:4], off
	v_add_co_ci_u32_e64 v2, s0, s4, v2, s0
	s_or_b32 s6, vcc_lo, s6
	s_waitcnt vmcnt(0)
	global_store_b16 v[1:2], v3, off
	s_and_not1_b32 exec_lo, exec_lo, s6
	s_cbranch_execnz .LBB35_12
.LBB35_13:
	s_nop 0
	s_sendmsg sendmsg(MSG_DEALLOC_VGPRS)
	s_endpgm
.LBB35_14:
                                        ; implicit-def: $sgpr6_sgpr7
	s_branch .LBB35_6
	.section	.rodata,"a",@progbits
	.p2align	6, 0x0
	.amdhsa_kernel _ZN4vllm38concat_and_cache_mla_rope_fused_kernelIN3c108BFloat16ES2_Lb0EttLNS_18Fp8KVCacheDataTypeE0EEEvPKlPT_S7_PKS6_PKT0_illlliPT3_S5_iiiiPKf
		.amdhsa_group_segment_fixed_size 0
		.amdhsa_private_segment_fixed_size 0
		.amdhsa_kernarg_size 384
		.amdhsa_user_sgpr_count 15
		.amdhsa_user_sgpr_dispatch_ptr 0
		.amdhsa_user_sgpr_queue_ptr 0
		.amdhsa_user_sgpr_kernarg_segment_ptr 1
		.amdhsa_user_sgpr_dispatch_id 0
		.amdhsa_user_sgpr_private_segment_size 0
		.amdhsa_wavefront_size32 1
		.amdhsa_uses_dynamic_stack 0
		.amdhsa_enable_private_segment 0
		.amdhsa_system_sgpr_workgroup_id_x 1
		.amdhsa_system_sgpr_workgroup_id_y 0
		.amdhsa_system_sgpr_workgroup_id_z 0
		.amdhsa_system_sgpr_workgroup_info 0
		.amdhsa_system_vgpr_workitem_id 0
		.amdhsa_next_free_vgpr 18
		.amdhsa_next_free_sgpr 43
		.amdhsa_reserve_vcc 1
		.amdhsa_float_round_mode_32 0
		.amdhsa_float_round_mode_16_64 0
		.amdhsa_float_denorm_mode_32 3
		.amdhsa_float_denorm_mode_16_64 3
		.amdhsa_dx10_clamp 1
		.amdhsa_ieee_mode 1
		.amdhsa_fp16_overflow 0
		.amdhsa_workgroup_processor_mode 1
		.amdhsa_memory_ordered 1
		.amdhsa_forward_progress 0
		.amdhsa_shared_vgpr_count 0
		.amdhsa_exception_fp_ieee_invalid_op 0
		.amdhsa_exception_fp_denorm_src 0
		.amdhsa_exception_fp_ieee_div_zero 0
		.amdhsa_exception_fp_ieee_overflow 0
		.amdhsa_exception_fp_ieee_underflow 0
		.amdhsa_exception_fp_ieee_inexact 0
		.amdhsa_exception_int_div_zero 0
	.end_amdhsa_kernel
	.section	.text._ZN4vllm38concat_and_cache_mla_rope_fused_kernelIN3c108BFloat16ES2_Lb0EttLNS_18Fp8KVCacheDataTypeE0EEEvPKlPT_S7_PKS6_PKT0_illlliPT3_S5_iiiiPKf,"axG",@progbits,_ZN4vllm38concat_and_cache_mla_rope_fused_kernelIN3c108BFloat16ES2_Lb0EttLNS_18Fp8KVCacheDataTypeE0EEEvPKlPT_S7_PKS6_PKT0_illlliPT3_S5_iiiiPKf,comdat
.Lfunc_end35:
	.size	_ZN4vllm38concat_and_cache_mla_rope_fused_kernelIN3c108BFloat16ES2_Lb0EttLNS_18Fp8KVCacheDataTypeE0EEEvPKlPT_S7_PKS6_PKT0_illlliPT3_S5_iiiiPKf, .Lfunc_end35-_ZN4vllm38concat_and_cache_mla_rope_fused_kernelIN3c108BFloat16ES2_Lb0EttLNS_18Fp8KVCacheDataTypeE0EEEvPKlPT_S7_PKS6_PKT0_illlliPT3_S5_iiiiPKf
                                        ; -- End function
	.section	.AMDGPU.csdata,"",@progbits
; Kernel info:
; codeLenInByte = 2908
; NumSgprs: 45
; NumVgprs: 18
; ScratchSize: 0
; MemoryBound: 0
; FloatMode: 240
; IeeeMode: 1
; LDSByteSize: 0 bytes/workgroup (compile time only)
; SGPRBlocks: 5
; VGPRBlocks: 2
; NumSGPRsForWavesPerEU: 45
; NumVGPRsForWavesPerEU: 18
; Occupancy: 16
; WaveLimiterHint : 1
; COMPUTE_PGM_RSRC2:SCRATCH_EN: 0
; COMPUTE_PGM_RSRC2:USER_SGPR: 15
; COMPUTE_PGM_RSRC2:TRAP_HANDLER: 0
; COMPUTE_PGM_RSRC2:TGID_X_EN: 1
; COMPUTE_PGM_RSRC2:TGID_Y_EN: 0
; COMPUTE_PGM_RSRC2:TGID_Z_EN: 0
; COMPUTE_PGM_RSRC2:TIDIG_COMP_CNT: 0
	.section	.text._ZN4vllm38concat_and_cache_mla_rope_fused_kernelIffLb1E14__hip_bfloat16S1_LNS_18Fp8KVCacheDataTypeE0EEEvPKlPT_S6_PKS5_PKT0_illlliPT3_S4_iiiiPKf,"axG",@progbits,_ZN4vllm38concat_and_cache_mla_rope_fused_kernelIffLb1E14__hip_bfloat16S1_LNS_18Fp8KVCacheDataTypeE0EEEvPKlPT_S6_PKS5_PKT0_illlliPT3_S4_iiiiPKf,comdat
	.protected	_ZN4vllm38concat_and_cache_mla_rope_fused_kernelIffLb1E14__hip_bfloat16S1_LNS_18Fp8KVCacheDataTypeE0EEEvPKlPT_S6_PKS5_PKT0_illlliPT3_S4_iiiiPKf ; -- Begin function _ZN4vllm38concat_and_cache_mla_rope_fused_kernelIffLb1E14__hip_bfloat16S1_LNS_18Fp8KVCacheDataTypeE0EEEvPKlPT_S6_PKS5_PKT0_illlliPT3_S4_iiiiPKf
	.globl	_ZN4vllm38concat_and_cache_mla_rope_fused_kernelIffLb1E14__hip_bfloat16S1_LNS_18Fp8KVCacheDataTypeE0EEEvPKlPT_S6_PKS5_PKT0_illlliPT3_S4_iiiiPKf
	.p2align	8
	.type	_ZN4vllm38concat_and_cache_mla_rope_fused_kernelIffLb1E14__hip_bfloat16S1_LNS_18Fp8KVCacheDataTypeE0EEEvPKlPT_S6_PKS5_PKT0_illlliPT3_S4_iiiiPKf,@function
_ZN4vllm38concat_and_cache_mla_rope_fused_kernelIffLb1E14__hip_bfloat16S1_LNS_18Fp8KVCacheDataTypeE0EEEvPKlPT_S6_PKS5_PKT0_illlliPT3_S4_iiiiPKf: ; @_ZN4vllm38concat_and_cache_mla_rope_fused_kernelIffLb1E14__hip_bfloat16S1_LNS_18Fp8KVCacheDataTypeE0EEEvPKlPT_S6_PKS5_PKT0_illlliPT3_S4_iiiiPKf
; %bb.0:
	s_load_b64 s[4:5], s[0:1], 0x60
	s_mov_b32 s16, s15
	s_mov_b32 s17, 0
	s_delay_alu instid0(SALU_CYCLE_1)
	s_lshl_b64 s[2:3], s[16:17], 3
	s_waitcnt lgkmcnt(0)
	s_add_u32 s4, s4, s2
	s_addc_u32 s5, s5, s3
	s_load_b64 s[24:25], s[4:5], 0x0
	s_waitcnt lgkmcnt(0)
	v_cmp_lt_i64_e64 s4, s[24:25], 0
	s_delay_alu instid0(VALU_DEP_1)
	s_and_b32 vcc_lo, exec_lo, s4
	s_cbranch_vccnz .LBB36_13
; %bb.1:
	s_clause 0x2
	s_load_b32 s26, s[0:1], 0x28
	s_load_b64 s[4:5], s[0:1], 0x0
	s_load_b128 s[12:15], s[0:1], 0x10
	s_waitcnt lgkmcnt(0)
	s_ashr_i32 s17, s26, 31
	s_add_u32 s2, s4, s2
	s_addc_u32 s3, s5, s3
	s_load_b64 s[20:21], s[2:3], 0x0
	s_clause 0x3
	s_load_b64 s[2:3], s[0:1], 0x20
	s_load_b32 s27, s[0:1], 0x50
	s_load_b64 s[18:19], s[0:1], 0x58
	s_load_b256 s[4:11], s[0:1], 0x30
	s_waitcnt lgkmcnt(0)
	s_mul_i32 s17, s20, s17
	s_mul_hi_u32 s22, s20, s26
	s_mul_i32 s21, s21, s26
	s_add_i32 s17, s22, s17
	s_mul_i32 s20, s20, s26
	s_add_i32 s21, s17, s21
	s_delay_alu instid0(SALU_CYCLE_1) | instskip(NEXT) | instid1(SALU_CYCLE_1)
	s_lshl_b64 s[22:23], s[20:21], 2
	s_add_u32 s17, s2, s22
	s_addc_u32 s33, s3, s23
	s_lshr_b32 s20, s26, 31
	s_delay_alu instid0(SALU_CYCLE_1) | instskip(NEXT) | instid1(SALU_CYCLE_1)
	s_add_i32 s26, s26, s20
	s_ashr_i32 s20, s26, 1
	s_delay_alu instid0(SALU_CYCLE_1)
	s_mul_i32 s26, s20, s27
	s_mov_b32 s27, exec_lo
	v_cmpx_gt_i32_e64 s26, v0
	s_cbranch_execz .LBB36_4
; %bb.2:
	s_clause 0x1
	s_load_b64 s[28:29], s[0:1], 0x8
	s_load_b32 s31, s[0:1], 0x8c
	s_mul_i32 s5, s16, s5
	s_mul_hi_u32 s21, s16, s4
	s_mul_i32 s4, s16, s4
	s_add_i32 s5, s21, s5
	s_ashr_i32 s21, s20, 31
	s_lshl_b64 s[4:5], s[4:5], 2
	s_mov_b32 s34, 0
	s_waitcnt lgkmcnt(0)
	s_add_u32 s28, s28, s4
	s_addc_u32 s29, s29, s5
	s_abs_i32 s30, s20
	s_and_b32 s31, s31, 0xffff
	v_cvt_f32_u32_e32 v1, s30
	s_sub_i32 s4, 0, s30
	s_sub_i32 s35, 0, s20
	s_delay_alu instid0(VALU_DEP_1) | instskip(SKIP_2) | instid1(VALU_DEP_1)
	v_rcp_iflag_f32_e32 v1, v1
	s_waitcnt_depctr 0xfff
	v_mul_f32_e32 v1, 0x4f7ffffe, v1
	v_cvt_u32_f32_e32 v1, v1
	s_delay_alu instid0(VALU_DEP_1) | instskip(SKIP_1) | instid1(VALU_DEP_1)
	v_mul_lo_u32 v2, s4, v1
	s_lshl_b64 s[4:5], s[20:21], 2
	v_mul_hi_u32 v2, v1, v2
	s_delay_alu instid0(VALU_DEP_1)
	v_dual_mov_b32 v1, v0 :: v_dual_add_nc_u32 v2, v1, v2
.LBB36_3:                               ; =>This Inner Loop Header: Depth=1
	s_delay_alu instid0(VALU_DEP_1) | instskip(SKIP_1) | instid1(VALU_DEP_2)
	v_sub_nc_u32_e32 v3, 0, v1
	v_ashrrev_i32_e32 v4, 31, v1
	v_max_i32_e32 v3, v1, v3
	s_delay_alu instid0(VALU_DEP_2) | instskip(NEXT) | instid1(VALU_DEP_2)
	v_xor_b32_e32 v4, s21, v4
	v_mul_hi_u32 v5, v3, v2
	s_delay_alu instid0(VALU_DEP_1) | instskip(SKIP_1) | instid1(VALU_DEP_2)
	v_mul_lo_u32 v6, v5, s30
	v_add_nc_u32_e32 v7, 1, v5
	v_sub_nc_u32_e32 v3, v3, v6
	s_delay_alu instid0(VALU_DEP_1) | instskip(SKIP_1) | instid1(VALU_DEP_4)
	v_subrev_nc_u32_e32 v6, s30, v3
	v_cmp_le_u32_e32 vcc_lo, s30, v3
	v_cndmask_b32_e32 v5, v5, v7, vcc_lo
	s_delay_alu instid0(VALU_DEP_1) | instskip(NEXT) | instid1(VALU_DEP_1)
	v_dual_cndmask_b32 v3, v3, v6 :: v_dual_add_nc_u32 v6, 1, v5
	v_cmp_le_u32_e32 vcc_lo, s30, v3
	s_delay_alu instid0(VALU_DEP_2) | instskip(NEXT) | instid1(VALU_DEP_1)
	v_cndmask_b32_e32 v3, v5, v6, vcc_lo
	v_xor_b32_e32 v3, v3, v4
	s_delay_alu instid0(VALU_DEP_1) | instskip(NEXT) | instid1(VALU_DEP_1)
	v_sub_nc_u32_e32 v7, v3, v4
	v_ashrrev_i32_e32 v8, 31, v7
	v_mad_u64_u32 v[3:4], null, s35, v7, v[1:2]
	v_mul_lo_u32 v9, v7, s7
	v_mad_u64_u32 v[5:6], null, v7, s6, 0
	s_delay_alu instid0(VALU_DEP_4) | instskip(SKIP_2) | instid1(VALU_DEP_3)
	v_mul_lo_u32 v7, v8, s6
	v_add_nc_u32_e32 v1, s31, v1
	v_ashrrev_i32_e32 v4, 31, v3
	v_add3_u32 v6, v6, v9, v7
	s_delay_alu instid0(VALU_DEP_2) | instskip(NEXT) | instid1(VALU_DEP_2)
	v_lshlrev_b64 v[3:4], 2, v[3:4]
	v_lshlrev_b64 v[5:6], 2, v[5:6]
	s_delay_alu instid0(VALU_DEP_2) | instskip(NEXT) | instid1(VALU_DEP_3)
	v_add_co_u32 v7, vcc_lo, s17, v3
	v_add_co_ci_u32_e32 v8, vcc_lo, s33, v4, vcc_lo
	s_delay_alu instid0(VALU_DEP_3) | instskip(NEXT) | instid1(VALU_DEP_4)
	v_add_co_u32 v9, vcc_lo, s28, v5
	v_add_co_ci_u32_e32 v10, vcc_lo, s29, v6, vcc_lo
	s_delay_alu instid0(VALU_DEP_4) | instskip(NEXT) | instid1(VALU_DEP_4)
	v_add_co_u32 v5, vcc_lo, v7, s4
	v_add_co_ci_u32_e32 v6, vcc_lo, s5, v8, vcc_lo
	s_delay_alu instid0(VALU_DEP_4) | instskip(NEXT) | instid1(VALU_DEP_4)
	v_add_co_u32 v3, vcc_lo, v9, v3
	v_add_co_ci_u32_e32 v4, vcc_lo, v10, v4, vcc_lo
	s_delay_alu instid0(VALU_DEP_2) | instskip(NEXT) | instid1(VALU_DEP_2)
	v_add_co_u32 v9, vcc_lo, v3, s4
	v_add_co_ci_u32_e32 v10, vcc_lo, s5, v4, vcc_lo
	s_clause 0x1
	global_load_b32 v7, v[7:8], off
	global_load_b32 v5, v[5:6], off
	s_clause 0x1
	global_load_b32 v6, v[3:4], off
	global_load_b32 v8, v[9:10], off
	v_cmp_le_i32_e32 vcc_lo, s26, v1
	s_or_b32 s34, vcc_lo, s34
	s_waitcnt vmcnt(0)
	v_mul_f32_e32 v11, v5, v8
	v_mul_f32_e32 v8, v7, v8
	s_delay_alu instid0(VALU_DEP_2) | instskip(NEXT) | instid1(VALU_DEP_2)
	v_fma_f32 v7, v7, v6, -v11
	v_fmac_f32_e32 v8, v5, v6
	s_clause 0x1
	global_store_b32 v[3:4], v7, off
	global_store_b32 v[9:10], v8, off
	s_and_not1_b32 exec_lo, exec_lo, s34
	s_cbranch_execnz .LBB36_3
.LBB36_4:
	s_or_b32 exec_lo, exec_lo, s27
	s_load_b128 s[4:7], s[0:1], 0x68
	s_waitcnt lgkmcnt(0)
	s_ashr_i32 s29, s7, 31
	s_mov_b32 s28, s7
	s_delay_alu instid0(SALU_CYCLE_1) | instskip(SKIP_1) | instid1(SALU_CYCLE_1)
	s_or_b64 s[30:31], s[24:25], s[28:29]
	s_mov_b32 s30, 0
	s_cmp_lg_u64 s[30:31], 0
	s_cbranch_scc0 .LBB36_14
; %bb.5:
	s_add_u32 s34, s28, s29
	s_mov_b32 s26, s29
	s_mov_b32 s27, s29
	s_addc_u32 s35, s29, s29
	s_delay_alu instid0(SALU_CYCLE_1) | instskip(NEXT) | instid1(SALU_CYCLE_1)
	s_xor_b64 s[34:35], s[34:35], s[26:27]
	v_cvt_f32_u32_e32 v1, s34
	v_cvt_f32_u32_e32 v2, s35
	s_sub_u32 s31, 0, s34
	s_subb_u32 s36, 0, s35
	s_delay_alu instid0(VALU_DEP_1) | instskip(NEXT) | instid1(VALU_DEP_1)
	v_fmamk_f32 v1, v2, 0x4f800000, v1
	v_rcp_f32_e32 v1, v1
	s_waitcnt_depctr 0xfff
	v_mul_f32_e32 v1, 0x5f7ffffc, v1
	s_delay_alu instid0(VALU_DEP_1) | instskip(NEXT) | instid1(VALU_DEP_1)
	v_mul_f32_e32 v2, 0x2f800000, v1
	v_trunc_f32_e32 v2, v2
	s_delay_alu instid0(VALU_DEP_1) | instskip(SKIP_1) | instid1(VALU_DEP_2)
	v_fmamk_f32 v1, v2, 0xcf800000, v1
	v_cvt_u32_f32_e32 v2, v2
	v_cvt_u32_f32_e32 v1, v1
	s_delay_alu instid0(VALU_DEP_2) | instskip(NEXT) | instid1(VALU_DEP_2)
	v_readfirstlane_b32 s7, v2
	v_readfirstlane_b32 s21, v1
	s_delay_alu instid0(VALU_DEP_2) | instskip(NEXT) | instid1(VALU_DEP_1)
	s_mul_i32 s37, s31, s7
	s_mul_hi_u32 s39, s31, s21
	s_mul_i32 s38, s36, s21
	s_add_i32 s37, s39, s37
	s_mul_i32 s40, s31, s21
	s_add_i32 s37, s37, s38
	s_mul_hi_u32 s39, s21, s40
	s_mul_hi_u32 s41, s7, s40
	s_mul_i32 s38, s7, s40
	s_mul_hi_u32 s40, s21, s37
	s_mul_i32 s21, s21, s37
	s_mul_hi_u32 s42, s7, s37
	s_add_u32 s21, s39, s21
	s_addc_u32 s39, 0, s40
	s_add_u32 s21, s21, s38
	s_mul_i32 s37, s7, s37
	s_addc_u32 s21, s39, s41
	s_addc_u32 s38, s42, 0
	s_add_u32 s21, s21, s37
	s_addc_u32 s37, 0, s38
	v_add_co_u32 v1, s21, v1, s21
	s_delay_alu instid0(VALU_DEP_1) | instskip(SKIP_1) | instid1(VALU_DEP_1)
	s_cmp_lg_u32 s21, 0
	s_addc_u32 s7, s7, s37
	v_readfirstlane_b32 s21, v1
	s_mul_i32 s37, s31, s7
	s_delay_alu instid0(VALU_DEP_1)
	s_mul_hi_u32 s38, s31, s21
	s_mul_i32 s36, s36, s21
	s_add_i32 s37, s38, s37
	s_mul_i32 s31, s31, s21
	s_add_i32 s37, s37, s36
	s_mul_hi_u32 s38, s7, s31
	s_mul_i32 s39, s7, s31
	s_mul_hi_u32 s31, s21, s31
	s_mul_hi_u32 s40, s21, s37
	s_mul_i32 s21, s21, s37
	s_mul_hi_u32 s36, s7, s37
	s_add_u32 s21, s31, s21
	s_addc_u32 s31, 0, s40
	s_add_u32 s21, s21, s39
	s_mul_i32 s37, s7, s37
	s_addc_u32 s21, s31, s38
	s_addc_u32 s31, s36, 0
	s_add_u32 s21, s21, s37
	s_addc_u32 s31, 0, s31
	v_add_co_u32 v1, s21, v1, s21
	s_delay_alu instid0(VALU_DEP_1) | instskip(SKIP_2) | instid1(VALU_DEP_1)
	s_cmp_lg_u32 s21, 0
	s_addc_u32 s7, s7, s31
	s_ashr_i32 s36, s25, 31
	v_readfirstlane_b32 s21, v1
	s_add_u32 s38, s24, s36
	s_mov_b32 s37, s36
	s_addc_u32 s39, s25, s36
	s_delay_alu instid0(SALU_CYCLE_1) | instskip(NEXT) | instid1(SALU_CYCLE_1)
	s_xor_b64 s[38:39], s[38:39], s[36:37]
	s_mul_i32 s40, s38, s7
	s_mul_hi_u32 s41, s38, s21
	s_mul_hi_u32 s31, s38, s7
	;; [unrolled: 1-line block ×3, first 2 shown]
	s_mul_i32 s21, s39, s21
	s_add_u32 s40, s41, s40
	s_addc_u32 s31, 0, s31
	s_mul_hi_u32 s42, s39, s7
	s_add_u32 s21, s40, s21
	s_mul_i32 s7, s39, s7
	s_addc_u32 s21, s31, s43
	s_addc_u32 s31, s42, 0
	s_add_u32 s7, s21, s7
	s_addc_u32 s21, 0, s31
	s_mul_i32 s42, s34, s7
	s_mul_hi_u32 s31, s34, s7
	s_mul_i32 s41, s34, s21
	v_sub_co_u32 v1, s38, s38, s42
	s_mul_i32 s40, s35, s7
	s_add_i32 s31, s31, s41
	s_delay_alu instid0(SALU_CYCLE_1) | instskip(NEXT) | instid1(VALU_DEP_1)
	s_add_i32 s31, s31, s40
	v_sub_co_u32 v2, s41, v1, s34
	s_sub_i32 s40, s39, s31
	s_cmp_lg_u32 s38, 0
	s_subb_u32 s40, s40, s35
	s_cmp_lg_u32 s41, 0
	v_readfirstlane_b32 s41, v2
	s_subb_u32 s40, s40, 0
	s_delay_alu instid0(SALU_CYCLE_1) | instskip(SKIP_1) | instid1(VALU_DEP_1)
	s_cmp_ge_u32 s40, s35
	s_cselect_b32 s42, -1, 0
	s_cmp_ge_u32 s41, s34
	s_cselect_b32 s41, -1, 0
	s_cmp_eq_u32 s40, s35
	s_cselect_b32 s40, s41, s42
	s_add_u32 s41, s7, 1
	s_addc_u32 s42, s21, 0
	s_add_u32 s43, s7, 2
	s_addc_u32 s44, s21, 0
	s_cmp_lg_u32 s40, 0
	s_cselect_b32 s40, s43, s41
	s_cselect_b32 s41, s44, s42
	s_cmp_lg_u32 s38, 0
	v_readfirstlane_b32 s38, v1
	s_subb_u32 s31, s39, s31
	s_delay_alu instid0(SALU_CYCLE_1) | instskip(SKIP_1) | instid1(VALU_DEP_1)
	s_cmp_ge_u32 s31, s35
	s_cselect_b32 s39, -1, 0
	s_cmp_ge_u32 s38, s34
	s_cselect_b32 s34, -1, 0
	s_cmp_eq_u32 s31, s35
	s_cselect_b32 s31, s34, s39
	s_delay_alu instid0(SALU_CYCLE_1) | instskip(SKIP_3) | instid1(SALU_CYCLE_1)
	s_cmp_lg_u32 s31, 0
	s_cselect_b32 s35, s41, s21
	s_cselect_b32 s34, s40, s7
	s_xor_b64 s[26:27], s[36:37], s[26:27]
	s_xor_b64 s[34:35], s[34:35], s[26:27]
	s_delay_alu instid0(SALU_CYCLE_1)
	s_sub_u32 s26, s34, s26
	s_subb_u32 s27, s35, s27
	s_and_not1_b32 vcc_lo, exec_lo, s30
	s_cbranch_vccnz .LBB36_7
.LBB36_6:
	v_cvt_f32_u32_e32 v1, s28
	s_sub_i32 s21, 0, s28
	s_delay_alu instid0(VALU_DEP_1) | instskip(SKIP_2) | instid1(VALU_DEP_1)
	v_rcp_iflag_f32_e32 v1, v1
	s_waitcnt_depctr 0xfff
	v_mul_f32_e32 v1, 0x4f7ffffe, v1
	v_cvt_u32_f32_e32 v1, v1
	s_delay_alu instid0(VALU_DEP_1) | instskip(NEXT) | instid1(VALU_DEP_1)
	v_readfirstlane_b32 s7, v1
	s_mul_i32 s21, s21, s7
	s_delay_alu instid0(SALU_CYCLE_1) | instskip(NEXT) | instid1(SALU_CYCLE_1)
	s_mul_hi_u32 s21, s7, s21
	s_add_i32 s7, s7, s21
	s_delay_alu instid0(SALU_CYCLE_1) | instskip(NEXT) | instid1(SALU_CYCLE_1)
	s_mul_hi_u32 s7, s24, s7
	s_mul_i32 s21, s7, s28
	s_add_i32 s26, s7, 1
	s_sub_i32 s21, s24, s21
	s_delay_alu instid0(SALU_CYCLE_1)
	s_sub_i32 s27, s21, s28
	s_cmp_ge_u32 s21, s28
	s_cselect_b32 s7, s26, s7
	s_cselect_b32 s21, s27, s21
	s_add_i32 s26, s7, 1
	s_cmp_ge_u32 s21, s28
	s_mov_b32 s27, 0
	s_cselect_b32 s26, s26, s7
.LBB36_7:
	s_delay_alu instid0(SALU_CYCLE_1)
	s_mul_i32 s7, s26, s29
	s_mul_hi_u32 s21, s26, s28
	s_mul_hi_u32 s34, s26, s4
	s_add_i32 s7, s21, s7
	s_mul_i32 s21, s27, s28
	s_mul_i32 s28, s26, s28
	s_add_i32 s7, s7, s21
	s_sub_u32 s30, s24, s28
	s_subb_u32 s31, s25, s7
	s_mul_i32 s35, s27, s4
	s_mul_i32 s28, s26, s4
	s_mul_hi_u32 s27, s30, s5
	s_mul_i32 s31, s31, s5
	s_mul_i32 s24, s30, s5
	s_mov_b32 s36, exec_lo
	v_cmpx_gt_i32_e64 s20, v0
	s_cbranch_execz .LBB36_10
; %bb.8:
	s_load_b32 s25, s[0:1], 0x8c
	s_mul_i32 s7, s16, s9
	s_mul_hi_u32 s9, s16, s8
	s_mul_i32 s8, s16, s8
	s_add_i32 s9, s9, s7
	s_ashr_i32 s21, s20, 31
	s_lshl_b64 s[8:9], s[8:9], 2
	v_lshlrev_b32_e32 v1, 1, v0
	s_add_u32 s37, s12, s8
	s_addc_u32 s38, s13, s9
	s_ashr_i32 s40, s5, 31
	s_lshl_b64 s[42:43], s[20:21], 2
	s_ashr_i32 s29, s4, 31
	s_ashr_i32 s7, s6, 31
	s_mul_i32 s29, s26, s29
	v_dual_mov_b32 v4, v0 :: v_dual_lshlrev_b32 v3, 2, v0
	s_waitcnt lgkmcnt(0)
	s_and_b32 s39, s25, 0xffff
	s_mul_i32 s25, s30, s40
	s_lshl_b32 s40, s39, 2
	s_add_u32 s22, s22, s42
	s_addc_u32 s23, s23, s43
	s_add_u32 s22, s2, s22
	s_addc_u32 s3, s3, s23
	;; [unrolled: 2-line block ×4, first 2 shown]
	s_add_i32 s2, s34, s29
	s_add_i32 s8, s27, s25
	;; [unrolled: 1-line block ×4, first 2 shown]
	s_lshl_b64 s[42:43], s[28:29], 1
	s_lshl_b64 s[44:45], s[24:25], 1
	;; [unrolled: 1-line block ×3, first 2 shown]
	s_add_u32 s2, s42, s44
	s_addc_u32 s21, s43, s45
	s_lshl_b64 s[42:43], s[6:7], 1
	s_delay_alu instid0(SALU_CYCLE_1) | instskip(SKIP_4) | instid1(VALU_DEP_1)
	s_add_u32 s2, s2, s42
	s_addc_u32 s7, s21, s43
	s_add_u32 s2, s18, s2
	s_addc_u32 s7, s19, s7
	v_add_co_u32 v1, s2, s2, v1
	v_add_co_ci_u32_e64 v2, null, s7, 0, s2
	s_mov_b32 s7, 0
	s_lshl_b32 s21, s39, 1
.LBB36_9:                               ; =>This Inner Loop Header: Depth=1
	v_add_co_u32 v5, s2, s17, v3
	s_delay_alu instid0(VALU_DEP_1) | instskip(SKIP_1) | instid1(VALU_DEP_1)
	v_add_co_ci_u32_e64 v6, null, s33, 0, s2
	v_add_co_u32 v7, s2, s22, v3
	v_add_co_ci_u32_e64 v8, null, s3, 0, s2
	v_add_co_u32 v9, s2, s12, v3
	s_delay_alu instid0(VALU_DEP_1) | instskip(SKIP_1) | instid1(VALU_DEP_1)
	v_add_co_ci_u32_e64 v10, null, s13, 0, s2
	v_add_co_u32 v11, s2, s37, v3
	v_add_co_ci_u32_e64 v12, null, s38, 0, s2
	global_load_b32 v7, v[7:8], off
	global_load_b32 v8, v[9:10], off
	;; [unrolled: 1-line block ×4, first 2 shown]
	v_add_nc_u32_e32 v4, s39, v4
	v_add_co_u32 v5, vcc_lo, v1, s8
	s_add_u32 s17, s17, s40
	s_addc_u32 s33, s33, 0
	v_add_co_ci_u32_e32 v6, vcc_lo, s9, v2, vcc_lo
	s_add_u32 s22, s22, s40
	s_addc_u32 s3, s3, 0
	v_cmp_le_i32_e32 vcc_lo, s20, v4
	s_add_u32 s12, s12, s40
	s_addc_u32 s13, s13, 0
	s_add_u32 s37, s37, s40
	s_addc_u32 s38, s38, 0
	s_or_b32 s7, vcc_lo, s7
	s_waitcnt vmcnt(2)
	v_mul_f32_e32 v15, v7, v8
	s_waitcnt vmcnt(1)
	v_mul_f32_e32 v8, v13, v8
	s_waitcnt vmcnt(0)
	s_delay_alu instid0(VALU_DEP_2) | instskip(NEXT) | instid1(VALU_DEP_2)
	v_fma_f32 v13, v13, v14, -v15
	v_fmac_f32_e32 v8, v7, v14
	global_store_b16 v[1:2], v13, off
	v_add_co_u32 v1, s2, v1, s21
	s_delay_alu instid0(VALU_DEP_1)
	v_add_co_ci_u32_e64 v2, s2, 0, v2, s2
	global_store_b32 v[11:12], v13, off
	global_store_b32 v[9:10], v8, off
	global_store_b16 v[5:6], v8, off
	s_and_not1_b32 exec_lo, exec_lo, s7
	s_cbranch_execnz .LBB36_9
.LBB36_10:
	s_or_b32 exec_lo, exec_lo, s36
	s_delay_alu instid0(SALU_CYCLE_1)
	s_mov_b32 s2, exec_lo
	v_cmpx_gt_i32_e64 s6, v0
	s_cbranch_execz .LBB36_13
; %bb.11:
	s_mul_i32 s3, s16, s11
	s_mul_hi_u32 s7, s16, s10
	s_mul_i32 s2, s16, s10
	s_add_i32 s3, s7, s3
	s_load_b32 s7, s[0:1], 0x8c
	s_lshl_b64 s[2:3], s[2:3], 2
	s_delay_alu instid0(SALU_CYCLE_1) | instskip(SKIP_2) | instid1(SALU_CYCLE_1)
	s_add_u32 s2, s14, s2
	s_addc_u32 s3, s15, s3
	s_ashr_i32 s4, s4, 31
	s_mul_i32 s4, s26, s4
	s_delay_alu instid0(SALU_CYCLE_1) | instskip(NEXT) | instid1(SALU_CYCLE_1)
	s_add_i32 s0, s34, s4
	s_add_i32 s29, s0, s35
	s_delay_alu instid0(SALU_CYCLE_1) | instskip(NEXT) | instid1(SALU_CYCLE_1)
	s_lshl_b64 s[0:1], s[28:29], 1
	s_add_u32 s0, s18, s0
	s_addc_u32 s8, s19, s1
	s_ashr_i32 s1, s5, 31
	s_delay_alu instid0(SALU_CYCLE_1) | instskip(NEXT) | instid1(SALU_CYCLE_1)
	s_mul_i32 s30, s30, s1
	s_add_i32 s1, s27, s30
	s_delay_alu instid0(SALU_CYCLE_1) | instskip(NEXT) | instid1(SALU_CYCLE_1)
	s_add_i32 s25, s1, s31
	s_lshl_b64 s[4:5], s[24:25], 1
	s_delay_alu instid0(SALU_CYCLE_1)
	s_add_u32 s1, s0, s4
	s_addc_u32 s4, s8, s5
	s_waitcnt lgkmcnt(0)
	s_and_b32 s5, s7, 0xffff
	s_mov_b32 s7, 0
	.p2align	6
.LBB36_12:                              ; =>This Inner Loop Header: Depth=1
	v_ashrrev_i32_e32 v1, 31, v0
	s_delay_alu instid0(VALU_DEP_1) | instskip(NEXT) | instid1(VALU_DEP_1)
	v_lshlrev_b64 v[2:3], 2, v[0:1]
	v_add_co_u32 v2, vcc_lo, s2, v2
	s_delay_alu instid0(VALU_DEP_2) | instskip(SKIP_3) | instid1(VALU_DEP_1)
	v_add_co_ci_u32_e32 v3, vcc_lo, s3, v3, vcc_lo
	global_load_u16 v3, v[2:3], off
	v_lshlrev_b64 v[1:2], 1, v[0:1]
	v_add_nc_u32_e32 v0, s5, v0
	v_cmp_le_i32_e32 vcc_lo, s6, v0
	s_delay_alu instid0(VALU_DEP_3) | instskip(NEXT) | instid1(VALU_DEP_1)
	v_add_co_u32 v1, s0, s1, v1
	v_add_co_ci_u32_e64 v2, s0, s4, v2, s0
	s_or_b32 s7, vcc_lo, s7
	s_waitcnt vmcnt(0)
	global_store_b16 v[1:2], v3, off
	s_and_not1_b32 exec_lo, exec_lo, s7
	s_cbranch_execnz .LBB36_12
.LBB36_13:
	s_nop 0
	s_sendmsg sendmsg(MSG_DEALLOC_VGPRS)
	s_endpgm
.LBB36_14:
                                        ; implicit-def: $sgpr26_sgpr27
	s_branch .LBB36_6
	.section	.rodata,"a",@progbits
	.p2align	6, 0x0
	.amdhsa_kernel _ZN4vllm38concat_and_cache_mla_rope_fused_kernelIffLb1E14__hip_bfloat16S1_LNS_18Fp8KVCacheDataTypeE0EEEvPKlPT_S6_PKS5_PKT0_illlliPT3_S4_iiiiPKf
		.amdhsa_group_segment_fixed_size 0
		.amdhsa_private_segment_fixed_size 0
		.amdhsa_kernarg_size 384
		.amdhsa_user_sgpr_count 15
		.amdhsa_user_sgpr_dispatch_ptr 0
		.amdhsa_user_sgpr_queue_ptr 0
		.amdhsa_user_sgpr_kernarg_segment_ptr 1
		.amdhsa_user_sgpr_dispatch_id 0
		.amdhsa_user_sgpr_private_segment_size 0
		.amdhsa_wavefront_size32 1
		.amdhsa_uses_dynamic_stack 0
		.amdhsa_enable_private_segment 0
		.amdhsa_system_sgpr_workgroup_id_x 1
		.amdhsa_system_sgpr_workgroup_id_y 0
		.amdhsa_system_sgpr_workgroup_id_z 0
		.amdhsa_system_sgpr_workgroup_info 0
		.amdhsa_system_vgpr_workitem_id 0
		.amdhsa_next_free_vgpr 16
		.amdhsa_next_free_sgpr 46
		.amdhsa_reserve_vcc 1
		.amdhsa_float_round_mode_32 0
		.amdhsa_float_round_mode_16_64 0
		.amdhsa_float_denorm_mode_32 3
		.amdhsa_float_denorm_mode_16_64 3
		.amdhsa_dx10_clamp 1
		.amdhsa_ieee_mode 1
		.amdhsa_fp16_overflow 0
		.amdhsa_workgroup_processor_mode 1
		.amdhsa_memory_ordered 1
		.amdhsa_forward_progress 0
		.amdhsa_shared_vgpr_count 0
		.amdhsa_exception_fp_ieee_invalid_op 0
		.amdhsa_exception_fp_denorm_src 0
		.amdhsa_exception_fp_ieee_div_zero 0
		.amdhsa_exception_fp_ieee_overflow 0
		.amdhsa_exception_fp_ieee_underflow 0
		.amdhsa_exception_fp_ieee_inexact 0
		.amdhsa_exception_int_div_zero 0
	.end_amdhsa_kernel
	.section	.text._ZN4vllm38concat_and_cache_mla_rope_fused_kernelIffLb1E14__hip_bfloat16S1_LNS_18Fp8KVCacheDataTypeE0EEEvPKlPT_S6_PKS5_PKT0_illlliPT3_S4_iiiiPKf,"axG",@progbits,_ZN4vllm38concat_and_cache_mla_rope_fused_kernelIffLb1E14__hip_bfloat16S1_LNS_18Fp8KVCacheDataTypeE0EEEvPKlPT_S6_PKS5_PKT0_illlliPT3_S4_iiiiPKf,comdat
.Lfunc_end36:
	.size	_ZN4vllm38concat_and_cache_mla_rope_fused_kernelIffLb1E14__hip_bfloat16S1_LNS_18Fp8KVCacheDataTypeE0EEEvPKlPT_S6_PKS5_PKT0_illlliPT3_S4_iiiiPKf, .Lfunc_end36-_ZN4vllm38concat_and_cache_mla_rope_fused_kernelIffLb1E14__hip_bfloat16S1_LNS_18Fp8KVCacheDataTypeE0EEEvPKlPT_S6_PKS5_PKT0_illlliPT3_S4_iiiiPKf
                                        ; -- End function
	.section	.AMDGPU.csdata,"",@progbits
; Kernel info:
; codeLenInByte = 2336
; NumSgprs: 48
; NumVgprs: 16
; ScratchSize: 0
; MemoryBound: 0
; FloatMode: 240
; IeeeMode: 1
; LDSByteSize: 0 bytes/workgroup (compile time only)
; SGPRBlocks: 5
; VGPRBlocks: 1
; NumSGPRsForWavesPerEU: 48
; NumVGPRsForWavesPerEU: 16
; Occupancy: 16
; WaveLimiterHint : 1
; COMPUTE_PGM_RSRC2:SCRATCH_EN: 0
; COMPUTE_PGM_RSRC2:USER_SGPR: 15
; COMPUTE_PGM_RSRC2:TRAP_HANDLER: 0
; COMPUTE_PGM_RSRC2:TGID_X_EN: 1
; COMPUTE_PGM_RSRC2:TGID_Y_EN: 0
; COMPUTE_PGM_RSRC2:TGID_Z_EN: 0
; COMPUTE_PGM_RSRC2:TIDIG_COMP_CNT: 0
	.section	.text._ZN4vllm38concat_and_cache_mla_rope_fused_kernelIffLb0E14__hip_bfloat16S1_LNS_18Fp8KVCacheDataTypeE0EEEvPKlPT_S6_PKS5_PKT0_illlliPT3_S4_iiiiPKf,"axG",@progbits,_ZN4vllm38concat_and_cache_mla_rope_fused_kernelIffLb0E14__hip_bfloat16S1_LNS_18Fp8KVCacheDataTypeE0EEEvPKlPT_S6_PKS5_PKT0_illlliPT3_S4_iiiiPKf,comdat
	.protected	_ZN4vllm38concat_and_cache_mla_rope_fused_kernelIffLb0E14__hip_bfloat16S1_LNS_18Fp8KVCacheDataTypeE0EEEvPKlPT_S6_PKS5_PKT0_illlliPT3_S4_iiiiPKf ; -- Begin function _ZN4vllm38concat_and_cache_mla_rope_fused_kernelIffLb0E14__hip_bfloat16S1_LNS_18Fp8KVCacheDataTypeE0EEEvPKlPT_S6_PKS5_PKT0_illlliPT3_S4_iiiiPKf
	.globl	_ZN4vllm38concat_and_cache_mla_rope_fused_kernelIffLb0E14__hip_bfloat16S1_LNS_18Fp8KVCacheDataTypeE0EEEvPKlPT_S6_PKS5_PKT0_illlliPT3_S4_iiiiPKf
	.p2align	8
	.type	_ZN4vllm38concat_and_cache_mla_rope_fused_kernelIffLb0E14__hip_bfloat16S1_LNS_18Fp8KVCacheDataTypeE0EEEvPKlPT_S6_PKS5_PKT0_illlliPT3_S4_iiiiPKf,@function
_ZN4vllm38concat_and_cache_mla_rope_fused_kernelIffLb0E14__hip_bfloat16S1_LNS_18Fp8KVCacheDataTypeE0EEEvPKlPT_S6_PKS5_PKT0_illlliPT3_S4_iiiiPKf: ; @_ZN4vllm38concat_and_cache_mla_rope_fused_kernelIffLb0E14__hip_bfloat16S1_LNS_18Fp8KVCacheDataTypeE0EEEvPKlPT_S6_PKS5_PKT0_illlliPT3_S4_iiiiPKf
; %bb.0:
	s_load_b64 s[4:5], s[0:1], 0x60
	s_mov_b32 s16, s15
	s_mov_b32 s17, 0
	s_delay_alu instid0(SALU_CYCLE_1)
	s_lshl_b64 s[2:3], s[16:17], 3
	s_waitcnt lgkmcnt(0)
	s_add_u32 s4, s4, s2
	s_addc_u32 s5, s5, s3
	s_load_b64 s[22:23], s[4:5], 0x0
	s_waitcnt lgkmcnt(0)
	v_cmp_lt_i64_e64 s4, s[22:23], 0
	s_delay_alu instid0(VALU_DEP_1)
	s_and_b32 vcc_lo, exec_lo, s4
	s_cbranch_vccnz .LBB37_13
; %bb.1:
	s_clause 0x3
	s_load_b32 s21, s[0:1], 0x28
	s_load_b64 s[4:5], s[0:1], 0x0
	s_load_b128 s[12:15], s[0:1], 0x10
	s_load_b32 s17, s[0:1], 0x50
	s_waitcnt lgkmcnt(0)
	s_ashr_i32 s26, s21, 31
	s_add_u32 s2, s4, s2
	s_addc_u32 s3, s5, s3
	s_lshr_b32 s20, s21, 31
	s_load_b64 s[24:25], s[2:3], 0x0
	s_clause 0x2
	s_load_b64 s[2:3], s[0:1], 0x20
	s_load_b64 s[18:19], s[0:1], 0x58
	s_load_b256 s[4:11], s[0:1], 0x30
	s_add_i32 s20, s21, s20
	s_delay_alu instid0(SALU_CYCLE_1) | instskip(NEXT) | instid1(SALU_CYCLE_1)
	s_ashr_i32 s20, s20, 1
	s_mul_i32 s17, s20, s17
	s_waitcnt lgkmcnt(0)
	s_mul_i32 s26, s24, s26
	s_mul_hi_u32 s27, s24, s21
	s_mul_i32 s25, s25, s21
	s_add_i32 s26, s27, s26
	s_mul_i32 s24, s24, s21
	s_add_i32 s25, s26, s25
	s_mov_b32 s26, exec_lo
	v_cmpx_gt_i32_e64 s17, v0
	s_cbranch_execz .LBB37_4
; %bb.2:
	s_clause 0x1
	s_load_b64 s[30:31], s[0:1], 0x8
	s_load_b32 s34, s[0:1], 0x8c
	s_lshl_b64 s[28:29], s[24:25], 2
	s_mul_i32 s5, s16, s5
	s_mul_hi_u32 s21, s16, s4
	s_add_u32 s27, s2, s28
	s_mul_i32 s4, s16, s4
	s_addc_u32 s28, s3, s29
	s_add_i32 s5, s21, s5
	s_ashr_i32 s21, s20, 31
	s_lshl_b64 s[4:5], s[4:5], 2
	s_mov_b32 s33, 0
	s_waitcnt lgkmcnt(0)
	s_add_u32 s29, s30, s4
	s_addc_u32 s30, s31, s5
	s_abs_i32 s31, s20
	s_and_b32 s34, s34, 0xffff
	v_cvt_f32_u32_e32 v1, s31
	s_sub_i32 s4, 0, s31
	s_sub_i32 s35, 0, s20
	s_lshl_b32 s37, s34, 1
	s_delay_alu instid0(VALU_DEP_1) | instskip(SKIP_2) | instid1(VALU_DEP_1)
	v_rcp_iflag_f32_e32 v1, v1
	s_waitcnt_depctr 0xfff
	v_mul_f32_e32 v1, 0x4f7ffffe, v1
	v_cvt_u32_f32_e32 v2, v1
	s_delay_alu instid0(VALU_DEP_1) | instskip(SKIP_1) | instid1(SALU_CYCLE_1)
	v_mul_lo_u32 v1, s4, v2
	s_lshl_b32 s4, s20, 1
	s_sub_i32 s36, 0, s4
	s_lshl_b64 s[4:5], s[20:21], 2
	s_delay_alu instid0(VALU_DEP_1) | instskip(SKIP_1) | instid1(VALU_DEP_2)
	v_mul_hi_u32 v3, v2, v1
	v_lshlrev_b32_e32 v1, 1, v0
	v_dual_mov_b32 v2, v0 :: v_dual_add_nc_u32 v3, v2, v3
.LBB37_3:                               ; =>This Inner Loop Header: Depth=1
	s_delay_alu instid0(VALU_DEP_1) | instskip(SKIP_1) | instid1(VALU_DEP_2)
	v_sub_nc_u32_e32 v4, 0, v2
	v_ashrrev_i32_e32 v5, 31, v2
	v_max_i32_e32 v4, v2, v4
	s_delay_alu instid0(VALU_DEP_2) | instskip(NEXT) | instid1(VALU_DEP_2)
	v_xor_b32_e32 v5, s21, v5
	v_mul_hi_u32 v6, v4, v3
	s_delay_alu instid0(VALU_DEP_1) | instskip(SKIP_1) | instid1(VALU_DEP_2)
	v_mul_lo_u32 v7, v6, s31
	v_add_nc_u32_e32 v8, 1, v6
	v_sub_nc_u32_e32 v4, v4, v7
	s_delay_alu instid0(VALU_DEP_1) | instskip(SKIP_1) | instid1(VALU_DEP_4)
	v_subrev_nc_u32_e32 v7, s31, v4
	v_cmp_le_u32_e32 vcc_lo, s31, v4
	v_cndmask_b32_e32 v6, v6, v8, vcc_lo
	s_delay_alu instid0(VALU_DEP_1) | instskip(NEXT) | instid1(VALU_DEP_1)
	v_dual_cndmask_b32 v4, v4, v7 :: v_dual_add_nc_u32 v7, 1, v6
	v_cmp_le_u32_e32 vcc_lo, s31, v4
	s_delay_alu instid0(VALU_DEP_2) | instskip(NEXT) | instid1(VALU_DEP_1)
	v_cndmask_b32_e32 v4, v6, v7, vcc_lo
	v_xor_b32_e32 v4, v4, v5
	s_delay_alu instid0(VALU_DEP_1) | instskip(NEXT) | instid1(VALU_DEP_1)
	v_sub_nc_u32_e32 v10, v4, v5
	v_mad_u64_u32 v[4:5], null, s35, v10, v[2:3]
	v_ashrrev_i32_e32 v5, 31, v10
	v_mul_lo_u32 v11, v10, s7
	v_mad_u64_u32 v[6:7], null, v10, s6, 0
	v_mad_u64_u32 v[8:9], null, s36, v10, v[1:2]
	s_delay_alu instid0(VALU_DEP_4) | instskip(SKIP_3) | instid1(VALU_DEP_3)
	v_mul_lo_u32 v10, v5, s6
	v_ashrrev_i32_e32 v5, 31, v4
	v_add_nc_u32_e32 v2, s34, v2
	v_add_nc_u32_e32 v1, s37, v1
	v_lshlrev_b64 v[4:5], 2, v[4:5]
	v_ashrrev_i32_e32 v9, 31, v8
	v_add3_u32 v7, v7, v11, v10
	s_delay_alu instid0(VALU_DEP_3) | instskip(NEXT) | instid1(VALU_DEP_2)
	v_add_co_u32 v4, vcc_lo, s27, v4
	v_lshlrev_b64 v[6:7], 2, v[6:7]
	v_add_co_ci_u32_e32 v5, vcc_lo, s28, v5, vcc_lo
	v_lshlrev_b64 v[8:9], 2, v[8:9]
	s_delay_alu instid0(VALU_DEP_3) | instskip(NEXT) | instid1(VALU_DEP_4)
	v_add_co_u32 v10, vcc_lo, s29, v6
	v_add_co_ci_u32_e32 v11, vcc_lo, s30, v7, vcc_lo
	v_add_co_u32 v6, vcc_lo, v4, s4
	v_add_co_ci_u32_e32 v7, vcc_lo, s5, v5, vcc_lo
	s_delay_alu instid0(VALU_DEP_4) | instskip(NEXT) | instid1(VALU_DEP_4)
	v_add_co_u32 v8, vcc_lo, v10, v8
	v_add_co_ci_u32_e32 v9, vcc_lo, v11, v9, vcc_lo
	s_clause 0x1
	global_load_b32 v10, v[4:5], off
	global_load_b32 v7, v[6:7], off
	global_load_b64 v[4:5], v[8:9], off
	v_cmp_le_i32_e32 vcc_lo, s17, v2
	s_or_b32 s33, vcc_lo, s33
	s_waitcnt vmcnt(0)
	v_mul_f32_e32 v11, v7, v5
	v_mul_f32_e32 v6, v10, v5
	s_delay_alu instid0(VALU_DEP_2) | instskip(NEXT) | instid1(VALU_DEP_2)
	v_fma_f32 v5, v10, v4, -v11
	v_fmac_f32_e32 v6, v7, v4
	global_store_b64 v[8:9], v[5:6], off
	s_and_not1_b32 exec_lo, exec_lo, s33
	s_cbranch_execnz .LBB37_3
.LBB37_4:
	s_or_b32 exec_lo, exec_lo, s26
	s_load_b128 s[4:7], s[0:1], 0x68
	s_waitcnt lgkmcnt(0)
	s_ashr_i32 s27, s7, 31
	s_mov_b32 s26, s7
	s_delay_alu instid0(SALU_CYCLE_1) | instskip(SKIP_1) | instid1(SALU_CYCLE_1)
	s_or_b64 s[30:31], s[22:23], s[26:27]
	s_mov_b32 s30, 0
	s_cmp_lg_u64 s[30:31], 0
	s_cbranch_scc0 .LBB37_14
; %bb.5:
	s_add_u32 s34, s26, s27
	s_mov_b32 s28, s27
	s_mov_b32 s29, s27
	s_addc_u32 s35, s27, s27
	s_delay_alu instid0(SALU_CYCLE_1) | instskip(NEXT) | instid1(SALU_CYCLE_1)
	s_xor_b64 s[34:35], s[34:35], s[28:29]
	v_cvt_f32_u32_e32 v1, s34
	v_cvt_f32_u32_e32 v2, s35
	s_sub_u32 s21, 0, s34
	s_subb_u32 s31, 0, s35
	s_delay_alu instid0(VALU_DEP_1) | instskip(NEXT) | instid1(VALU_DEP_1)
	v_fmamk_f32 v1, v2, 0x4f800000, v1
	v_rcp_f32_e32 v1, v1
	s_waitcnt_depctr 0xfff
	v_mul_f32_e32 v1, 0x5f7ffffc, v1
	s_delay_alu instid0(VALU_DEP_1) | instskip(NEXT) | instid1(VALU_DEP_1)
	v_mul_f32_e32 v2, 0x2f800000, v1
	v_trunc_f32_e32 v2, v2
	s_delay_alu instid0(VALU_DEP_1) | instskip(SKIP_1) | instid1(VALU_DEP_2)
	v_fmamk_f32 v1, v2, 0xcf800000, v1
	v_cvt_u32_f32_e32 v2, v2
	v_cvt_u32_f32_e32 v1, v1
	s_delay_alu instid0(VALU_DEP_2) | instskip(NEXT) | instid1(VALU_DEP_2)
	v_readfirstlane_b32 s7, v2
	v_readfirstlane_b32 s17, v1
	s_delay_alu instid0(VALU_DEP_2) | instskip(NEXT) | instid1(VALU_DEP_1)
	s_mul_i32 s33, s21, s7
	s_mul_hi_u32 s37, s21, s17
	s_mul_i32 s36, s31, s17
	s_add_i32 s33, s37, s33
	s_mul_i32 s38, s21, s17
	s_add_i32 s33, s33, s36
	s_mul_hi_u32 s37, s17, s38
	s_mul_hi_u32 s39, s7, s38
	s_mul_i32 s36, s7, s38
	s_mul_hi_u32 s38, s17, s33
	s_mul_i32 s17, s17, s33
	s_mul_hi_u32 s40, s7, s33
	s_add_u32 s17, s37, s17
	s_addc_u32 s37, 0, s38
	s_add_u32 s17, s17, s36
	s_mul_i32 s33, s7, s33
	s_addc_u32 s17, s37, s39
	s_addc_u32 s36, s40, 0
	s_add_u32 s17, s17, s33
	s_addc_u32 s33, 0, s36
	v_add_co_u32 v1, s17, v1, s17
	s_delay_alu instid0(VALU_DEP_1) | instskip(SKIP_1) | instid1(VALU_DEP_1)
	s_cmp_lg_u32 s17, 0
	s_addc_u32 s7, s7, s33
	v_readfirstlane_b32 s17, v1
	s_mul_i32 s33, s21, s7
	s_delay_alu instid0(VALU_DEP_1)
	s_mul_hi_u32 s36, s21, s17
	s_mul_i32 s31, s31, s17
	s_add_i32 s33, s36, s33
	s_mul_i32 s21, s21, s17
	s_add_i32 s33, s33, s31
	s_mul_hi_u32 s36, s7, s21
	s_mul_i32 s37, s7, s21
	s_mul_hi_u32 s21, s17, s21
	s_mul_hi_u32 s38, s17, s33
	s_mul_i32 s17, s17, s33
	s_mul_hi_u32 s31, s7, s33
	s_add_u32 s17, s21, s17
	s_addc_u32 s21, 0, s38
	s_add_u32 s17, s17, s37
	s_mul_i32 s33, s7, s33
	s_addc_u32 s17, s21, s36
	s_addc_u32 s21, s31, 0
	s_add_u32 s17, s17, s33
	s_addc_u32 s21, 0, s21
	v_add_co_u32 v1, s17, v1, s17
	s_delay_alu instid0(VALU_DEP_1) | instskip(SKIP_2) | instid1(VALU_DEP_1)
	s_cmp_lg_u32 s17, 0
	s_addc_u32 s7, s7, s21
	s_ashr_i32 s36, s23, 31
	v_readfirstlane_b32 s17, v1
	s_add_u32 s38, s22, s36
	s_mov_b32 s37, s36
	s_addc_u32 s39, s23, s36
	s_delay_alu instid0(SALU_CYCLE_1) | instskip(NEXT) | instid1(SALU_CYCLE_1)
	s_xor_b64 s[38:39], s[38:39], s[36:37]
	s_mul_i32 s31, s38, s7
	s_mul_hi_u32 s33, s38, s17
	s_mul_hi_u32 s21, s38, s7
	;; [unrolled: 1-line block ×3, first 2 shown]
	s_mul_i32 s17, s39, s17
	s_add_u32 s31, s33, s31
	s_addc_u32 s21, 0, s21
	s_mul_hi_u32 s40, s39, s7
	s_add_u32 s17, s31, s17
	s_mul_i32 s7, s39, s7
	s_addc_u32 s17, s21, s41
	s_addc_u32 s21, s40, 0
	s_add_u32 s7, s17, s7
	s_addc_u32 s17, 0, s21
	s_mul_hi_u32 s21, s34, s7
	s_mul_i32 s33, s34, s17
	s_mul_i32 s40, s34, s7
	s_add_i32 s21, s21, s33
	v_sub_co_u32 v1, s33, s38, s40
	s_mul_i32 s31, s35, s7
	s_delay_alu instid0(SALU_CYCLE_1) | instskip(NEXT) | instid1(VALU_DEP_1)
	s_add_i32 s21, s21, s31
	v_sub_co_u32 v2, s38, v1, s34
	s_sub_i32 s31, s39, s21
	s_cmp_lg_u32 s33, 0
	s_subb_u32 s31, s31, s35
	s_cmp_lg_u32 s38, 0
	v_readfirstlane_b32 s38, v2
	s_subb_u32 s31, s31, 0
	s_delay_alu instid0(SALU_CYCLE_1) | instskip(SKIP_1) | instid1(VALU_DEP_1)
	s_cmp_ge_u32 s31, s35
	s_cselect_b32 s40, -1, 0
	s_cmp_ge_u32 s38, s34
	s_cselect_b32 s38, -1, 0
	s_cmp_eq_u32 s31, s35
	s_cselect_b32 s31, s38, s40
	s_add_u32 s38, s7, 1
	s_addc_u32 s40, s17, 0
	s_add_u32 s41, s7, 2
	s_addc_u32 s42, s17, 0
	s_cmp_lg_u32 s31, 0
	s_cselect_b32 s31, s41, s38
	s_cselect_b32 s38, s42, s40
	s_cmp_lg_u32 s33, 0
	v_readfirstlane_b32 s33, v1
	s_subb_u32 s21, s39, s21
	s_delay_alu instid0(SALU_CYCLE_1) | instskip(SKIP_1) | instid1(VALU_DEP_1)
	s_cmp_ge_u32 s21, s35
	s_cselect_b32 s39, -1, 0
	s_cmp_ge_u32 s33, s34
	s_cselect_b32 s33, -1, 0
	s_cmp_eq_u32 s21, s35
	s_cselect_b32 s21, s33, s39
	s_delay_alu instid0(SALU_CYCLE_1) | instskip(SKIP_3) | instid1(SALU_CYCLE_1)
	s_cmp_lg_u32 s21, 0
	s_cselect_b32 s35, s38, s17
	s_cselect_b32 s34, s31, s7
	s_xor_b64 s[28:29], s[36:37], s[28:29]
	s_xor_b64 s[34:35], s[34:35], s[28:29]
	s_delay_alu instid0(SALU_CYCLE_1)
	s_sub_u32 s28, s34, s28
	s_subb_u32 s29, s35, s29
	s_and_not1_b32 vcc_lo, exec_lo, s30
	s_cbranch_vccnz .LBB37_7
.LBB37_6:
	v_cvt_f32_u32_e32 v1, s26
	s_sub_i32 s17, 0, s26
	s_mov_b32 s29, 0
	s_delay_alu instid0(VALU_DEP_1) | instskip(SKIP_2) | instid1(VALU_DEP_1)
	v_rcp_iflag_f32_e32 v1, v1
	s_waitcnt_depctr 0xfff
	v_mul_f32_e32 v1, 0x4f7ffffe, v1
	v_cvt_u32_f32_e32 v1, v1
	s_delay_alu instid0(VALU_DEP_1) | instskip(NEXT) | instid1(VALU_DEP_1)
	v_readfirstlane_b32 s7, v1
	s_mul_i32 s17, s17, s7
	s_delay_alu instid0(SALU_CYCLE_1) | instskip(NEXT) | instid1(SALU_CYCLE_1)
	s_mul_hi_u32 s17, s7, s17
	s_add_i32 s7, s7, s17
	s_delay_alu instid0(SALU_CYCLE_1) | instskip(NEXT) | instid1(SALU_CYCLE_1)
	s_mul_hi_u32 s7, s22, s7
	s_mul_i32 s17, s7, s26
	s_add_i32 s21, s7, 1
	s_sub_i32 s17, s22, s17
	s_delay_alu instid0(SALU_CYCLE_1)
	s_sub_i32 s28, s17, s26
	s_cmp_ge_u32 s17, s26
	s_cselect_b32 s7, s21, s7
	s_cselect_b32 s17, s28, s17
	s_add_i32 s21, s7, 1
	s_cmp_ge_u32 s17, s26
	s_cselect_b32 s28, s21, s7
.LBB37_7:
	s_delay_alu instid0(SALU_CYCLE_1)
	s_mul_i32 s7, s28, s27
	s_mul_hi_u32 s17, s28, s26
	s_mul_i32 s21, s28, s26
	s_add_i32 s7, s17, s7
	s_mul_i32 s17, s29, s26
	s_mul_hi_u32 s31, s28, s4
	s_add_i32 s7, s7, s17
	s_sub_u32 s17, s22, s21
	s_subb_u32 s30, s23, s7
	s_mul_i32 s33, s29, s4
	s_mul_i32 s26, s28, s4
	s_mul_hi_u32 s29, s17, s5
	s_mul_i32 s30, s30, s5
	s_mul_i32 s22, s17, s5
	s_mov_b32 s34, exec_lo
	v_cmpx_gt_i32_e64 s20, v0
	s_cbranch_execz .LBB37_10
; %bb.8:
	s_load_b32 s23, s[0:1], 0x8c
	s_lshl_b64 s[36:37], s[24:25], 2
	v_lshlrev_b32_e32 v5, 2, v0
	s_ashr_i32 s21, s20, 31
	s_ashr_i32 s27, s4, 31
	;; [unrolled: 1-line block ×4, first 2 shown]
	s_mul_i32 s9, s9, s16
	s_mul_hi_u32 s25, s8, s16
	s_mul_i32 s38, s8, s16
	v_lshlrev_b32_e32 v3, 3, v0
	s_mul_i32 s27, s28, s27
	s_mul_i32 s35, s17, s35
	v_mov_b32_e32 v7, v0
	s_waitcnt lgkmcnt(0)
	s_and_b32 s24, s23, 0xffff
	s_add_u32 s2, s2, s36
	s_addc_u32 s23, s3, s37
	s_add_i32 s39, s25, s9
	v_add_co_u32 v1, s2, s2, v5
	s_lshl_b64 s[36:37], s[38:39], 2
	s_lshl_b32 s3, s24, 2
	s_lshl_b64 s[8:9], s[20:21], 2
	v_add_co_ci_u32_e64 v2, null, s23, 0, s2
	s_add_u32 s2, s12, s36
	s_addc_u32 s12, s13, s37
	v_add_co_u32 v3, s2, s2, v3
	s_delay_alu instid0(VALU_DEP_1)
	v_add_co_ci_u32_e64 v4, null, s12, 0, s2
	s_add_i32 s2, s31, s27
	s_add_i32 s12, s29, s35
	;; [unrolled: 1-line block ×4, first 2 shown]
	s_lshl_b64 s[36:37], s[26:27], 1
	s_lshl_b64 s[38:39], s[22:23], 1
	s_lshl_b32 s12, s24, 3
	s_add_u32 s2, s36, s38
	s_addc_u32 s13, s37, s39
	s_lshl_b64 s[36:37], s[6:7], 1
	v_add_co_u32 v3, vcc_lo, v3, 4
	s_add_u32 s7, s18, s36
	s_addc_u32 s21, s19, s37
	s_add_u32 s2, s7, s2
	s_addc_u32 s7, s21, s13
	v_add_co_u32 v5, s2, s2, v5
	v_add_co_ci_u32_e32 v4, vcc_lo, 0, v4, vcc_lo
	v_add_co_ci_u32_e64 v6, null, s7, 0, s2
	s_mov_b32 s7, 0
	s_set_inst_prefetch_distance 0x1
	.p2align	6
.LBB37_9:                               ; =>This Inner Loop Header: Depth=1
	v_add_co_u32 v8, vcc_lo, v1, s8
	v_add_co_ci_u32_e32 v9, vcc_lo, s9, v2, vcc_lo
	v_add_nc_u32_e32 v7, s24, v7
	global_load_b32 v12, v[1:2], off
	global_load_b64 v[10:11], v[3:4], off offset:-4
	global_load_b32 v8, v[8:9], off
	v_add_co_u32 v1, vcc_lo, v1, s3
	v_add_co_ci_u32_e32 v2, vcc_lo, 0, v2, vcc_lo
	v_cmp_le_i32_e32 vcc_lo, s20, v7
	s_or_b32 s7, vcc_lo, s7
	s_waitcnt vmcnt(1)
	v_mul_f32_e32 v9, v12, v11
	s_waitcnt vmcnt(0)
	v_mul_f32_e32 v11, v8, v11
	s_delay_alu instid0(VALU_DEP_2) | instskip(NEXT) | instid1(VALU_DEP_2)
	v_fmac_f32_e32 v9, v8, v10
	v_fma_f32 v8, v12, v10, -v11
	global_store_b64 v[3:4], v[8:9], off offset:-4
	v_perm_b32 v8, v9, v8, 0x5040100
	v_add_co_u32 v3, s2, v3, s12
	s_delay_alu instid0(VALU_DEP_1) | instskip(SKIP_2) | instid1(VALU_DEP_1)
	v_add_co_ci_u32_e64 v4, s2, 0, v4, s2
	global_store_b32 v[5:6], v8, off
	v_add_co_u32 v5, s2, v5, s3
	v_add_co_ci_u32_e64 v6, s2, 0, v6, s2
	s_and_not1_b32 exec_lo, exec_lo, s7
	s_cbranch_execnz .LBB37_9
.LBB37_10:
	s_set_inst_prefetch_distance 0x2
	s_or_b32 exec_lo, exec_lo, s34
	s_delay_alu instid0(SALU_CYCLE_1)
	s_mov_b32 s2, exec_lo
	v_cmpx_gt_i32_e64 s6, v0
	s_cbranch_execz .LBB37_13
; %bb.11:
	s_mul_i32 s3, s16, s11
	s_mul_hi_u32 s7, s16, s10
	s_mul_i32 s2, s16, s10
	s_add_i32 s3, s7, s3
	s_load_b32 s7, s[0:1], 0x8c
	s_lshl_b64 s[2:3], s[2:3], 2
	s_delay_alu instid0(SALU_CYCLE_1) | instskip(SKIP_2) | instid1(SALU_CYCLE_1)
	s_add_u32 s2, s14, s2
	s_addc_u32 s3, s15, s3
	s_ashr_i32 s4, s4, 31
	s_mul_i32 s4, s28, s4
	s_delay_alu instid0(SALU_CYCLE_1) | instskip(NEXT) | instid1(SALU_CYCLE_1)
	s_add_i32 s0, s31, s4
	s_add_i32 s27, s0, s33
	s_delay_alu instid0(SALU_CYCLE_1) | instskip(NEXT) | instid1(SALU_CYCLE_1)
	s_lshl_b64 s[0:1], s[26:27], 1
	s_add_u32 s0, s18, s0
	s_addc_u32 s8, s19, s1
	s_ashr_i32 s1, s5, 31
	s_delay_alu instid0(SALU_CYCLE_1) | instskip(NEXT) | instid1(SALU_CYCLE_1)
	s_mul_i32 s17, s17, s1
	s_add_i32 s1, s29, s17
	s_delay_alu instid0(SALU_CYCLE_1) | instskip(NEXT) | instid1(SALU_CYCLE_1)
	s_add_i32 s23, s1, s30
	s_lshl_b64 s[4:5], s[22:23], 1
	s_delay_alu instid0(SALU_CYCLE_1)
	s_add_u32 s1, s0, s4
	s_addc_u32 s4, s8, s5
	s_waitcnt lgkmcnt(0)
	s_and_b32 s5, s7, 0xffff
	s_mov_b32 s7, 0
	.p2align	6
.LBB37_12:                              ; =>This Inner Loop Header: Depth=1
	v_ashrrev_i32_e32 v1, 31, v0
	s_delay_alu instid0(VALU_DEP_1) | instskip(NEXT) | instid1(VALU_DEP_1)
	v_lshlrev_b64 v[2:3], 2, v[0:1]
	v_add_co_u32 v2, vcc_lo, s2, v2
	s_delay_alu instid0(VALU_DEP_2) | instskip(SKIP_3) | instid1(VALU_DEP_1)
	v_add_co_ci_u32_e32 v3, vcc_lo, s3, v3, vcc_lo
	global_load_u16 v3, v[2:3], off
	v_lshlrev_b64 v[1:2], 1, v[0:1]
	v_add_nc_u32_e32 v0, s5, v0
	v_cmp_le_i32_e32 vcc_lo, s6, v0
	s_delay_alu instid0(VALU_DEP_3) | instskip(NEXT) | instid1(VALU_DEP_1)
	v_add_co_u32 v1, s0, s1, v1
	v_add_co_ci_u32_e64 v2, s0, s4, v2, s0
	s_or_b32 s7, vcc_lo, s7
	s_waitcnt vmcnt(0)
	global_store_b16 v[1:2], v3, off
	s_and_not1_b32 exec_lo, exec_lo, s7
	s_cbranch_execnz .LBB37_12
.LBB37_13:
	s_nop 0
	s_sendmsg sendmsg(MSG_DEALLOC_VGPRS)
	s_endpgm
.LBB37_14:
                                        ; implicit-def: $sgpr28_sgpr29
	s_branch .LBB37_6
	.section	.rodata,"a",@progbits
	.p2align	6, 0x0
	.amdhsa_kernel _ZN4vllm38concat_and_cache_mla_rope_fused_kernelIffLb0E14__hip_bfloat16S1_LNS_18Fp8KVCacheDataTypeE0EEEvPKlPT_S6_PKS5_PKT0_illlliPT3_S4_iiiiPKf
		.amdhsa_group_segment_fixed_size 0
		.amdhsa_private_segment_fixed_size 0
		.amdhsa_kernarg_size 384
		.amdhsa_user_sgpr_count 15
		.amdhsa_user_sgpr_dispatch_ptr 0
		.amdhsa_user_sgpr_queue_ptr 0
		.amdhsa_user_sgpr_kernarg_segment_ptr 1
		.amdhsa_user_sgpr_dispatch_id 0
		.amdhsa_user_sgpr_private_segment_size 0
		.amdhsa_wavefront_size32 1
		.amdhsa_uses_dynamic_stack 0
		.amdhsa_enable_private_segment 0
		.amdhsa_system_sgpr_workgroup_id_x 1
		.amdhsa_system_sgpr_workgroup_id_y 0
		.amdhsa_system_sgpr_workgroup_id_z 0
		.amdhsa_system_sgpr_workgroup_info 0
		.amdhsa_system_vgpr_workitem_id 0
		.amdhsa_next_free_vgpr 13
		.amdhsa_next_free_sgpr 43
		.amdhsa_reserve_vcc 1
		.amdhsa_float_round_mode_32 0
		.amdhsa_float_round_mode_16_64 0
		.amdhsa_float_denorm_mode_32 3
		.amdhsa_float_denorm_mode_16_64 3
		.amdhsa_dx10_clamp 1
		.amdhsa_ieee_mode 1
		.amdhsa_fp16_overflow 0
		.amdhsa_workgroup_processor_mode 1
		.amdhsa_memory_ordered 1
		.amdhsa_forward_progress 0
		.amdhsa_shared_vgpr_count 0
		.amdhsa_exception_fp_ieee_invalid_op 0
		.amdhsa_exception_fp_denorm_src 0
		.amdhsa_exception_fp_ieee_div_zero 0
		.amdhsa_exception_fp_ieee_overflow 0
		.amdhsa_exception_fp_ieee_underflow 0
		.amdhsa_exception_fp_ieee_inexact 0
		.amdhsa_exception_int_div_zero 0
	.end_amdhsa_kernel
	.section	.text._ZN4vllm38concat_and_cache_mla_rope_fused_kernelIffLb0E14__hip_bfloat16S1_LNS_18Fp8KVCacheDataTypeE0EEEvPKlPT_S6_PKS5_PKT0_illlliPT3_S4_iiiiPKf,"axG",@progbits,_ZN4vllm38concat_and_cache_mla_rope_fused_kernelIffLb0E14__hip_bfloat16S1_LNS_18Fp8KVCacheDataTypeE0EEEvPKlPT_S6_PKS5_PKT0_illlliPT3_S4_iiiiPKf,comdat
.Lfunc_end37:
	.size	_ZN4vllm38concat_and_cache_mla_rope_fused_kernelIffLb0E14__hip_bfloat16S1_LNS_18Fp8KVCacheDataTypeE0EEEvPKlPT_S6_PKS5_PKT0_illlliPT3_S4_iiiiPKf, .Lfunc_end37-_ZN4vllm38concat_and_cache_mla_rope_fused_kernelIffLb0E14__hip_bfloat16S1_LNS_18Fp8KVCacheDataTypeE0EEEvPKlPT_S6_PKS5_PKT0_illlliPT3_S4_iiiiPKf
                                        ; -- End function
	.section	.AMDGPU.csdata,"",@progbits
; Kernel info:
; codeLenInByte = 2256
; NumSgprs: 45
; NumVgprs: 13
; ScratchSize: 0
; MemoryBound: 0
; FloatMode: 240
; IeeeMode: 1
; LDSByteSize: 0 bytes/workgroup (compile time only)
; SGPRBlocks: 5
; VGPRBlocks: 1
; NumSGPRsForWavesPerEU: 45
; NumVGPRsForWavesPerEU: 13
; Occupancy: 16
; WaveLimiterHint : 1
; COMPUTE_PGM_RSRC2:SCRATCH_EN: 0
; COMPUTE_PGM_RSRC2:USER_SGPR: 15
; COMPUTE_PGM_RSRC2:TRAP_HANDLER: 0
; COMPUTE_PGM_RSRC2:TGID_X_EN: 1
; COMPUTE_PGM_RSRC2:TGID_Y_EN: 0
; COMPUTE_PGM_RSRC2:TGID_Z_EN: 0
; COMPUTE_PGM_RSRC2:TIDIG_COMP_CNT: 0
	.section	.text._ZN4vllm38concat_and_cache_mla_rope_fused_kernelIfN3c104HalfELb1E14__hip_bfloat16S3_LNS_18Fp8KVCacheDataTypeE0EEEvPKlPT_S8_PKS7_PKT0_illlliPT3_S6_iiiiPKf,"axG",@progbits,_ZN4vllm38concat_and_cache_mla_rope_fused_kernelIfN3c104HalfELb1E14__hip_bfloat16S3_LNS_18Fp8KVCacheDataTypeE0EEEvPKlPT_S8_PKS7_PKT0_illlliPT3_S6_iiiiPKf,comdat
	.protected	_ZN4vllm38concat_and_cache_mla_rope_fused_kernelIfN3c104HalfELb1E14__hip_bfloat16S3_LNS_18Fp8KVCacheDataTypeE0EEEvPKlPT_S8_PKS7_PKT0_illlliPT3_S6_iiiiPKf ; -- Begin function _ZN4vllm38concat_and_cache_mla_rope_fused_kernelIfN3c104HalfELb1E14__hip_bfloat16S3_LNS_18Fp8KVCacheDataTypeE0EEEvPKlPT_S8_PKS7_PKT0_illlliPT3_S6_iiiiPKf
	.globl	_ZN4vllm38concat_and_cache_mla_rope_fused_kernelIfN3c104HalfELb1E14__hip_bfloat16S3_LNS_18Fp8KVCacheDataTypeE0EEEvPKlPT_S8_PKS7_PKT0_illlliPT3_S6_iiiiPKf
	.p2align	8
	.type	_ZN4vllm38concat_and_cache_mla_rope_fused_kernelIfN3c104HalfELb1E14__hip_bfloat16S3_LNS_18Fp8KVCacheDataTypeE0EEEvPKlPT_S8_PKS7_PKT0_illlliPT3_S6_iiiiPKf,@function
_ZN4vllm38concat_and_cache_mla_rope_fused_kernelIfN3c104HalfELb1E14__hip_bfloat16S3_LNS_18Fp8KVCacheDataTypeE0EEEvPKlPT_S8_PKS7_PKT0_illlliPT3_S6_iiiiPKf: ; @_ZN4vllm38concat_and_cache_mla_rope_fused_kernelIfN3c104HalfELb1E14__hip_bfloat16S3_LNS_18Fp8KVCacheDataTypeE0EEEvPKlPT_S8_PKS7_PKT0_illlliPT3_S6_iiiiPKf
; %bb.0:
	s_load_b64 s[4:5], s[0:1], 0x60
	s_mov_b32 s16, s15
	s_mov_b32 s17, 0
	s_delay_alu instid0(SALU_CYCLE_1)
	s_lshl_b64 s[2:3], s[16:17], 3
	s_waitcnt lgkmcnt(0)
	s_add_u32 s4, s4, s2
	s_addc_u32 s5, s5, s3
	s_load_b64 s[24:25], s[4:5], 0x0
	s_waitcnt lgkmcnt(0)
	v_cmp_lt_i64_e64 s4, s[24:25], 0
	s_delay_alu instid0(VALU_DEP_1)
	s_and_b32 vcc_lo, exec_lo, s4
	s_cbranch_vccnz .LBB38_13
; %bb.1:
	s_clause 0x2
	s_load_b32 s26, s[0:1], 0x28
	s_load_b64 s[4:5], s[0:1], 0x0
	s_load_b128 s[12:15], s[0:1], 0x10
	s_mov_b32 s29, exec_lo
	s_waitcnt lgkmcnt(0)
	s_ashr_i32 s17, s26, 31
	s_add_u32 s2, s4, s2
	s_addc_u32 s3, s5, s3
	s_load_b64 s[20:21], s[2:3], 0x0
	s_clause 0x3
	s_load_b64 s[2:3], s[0:1], 0x20
	s_load_b32 s27, s[0:1], 0x50
	s_load_b64 s[18:19], s[0:1], 0x58
	s_load_b256 s[4:11], s[0:1], 0x30
	s_waitcnt lgkmcnt(0)
	s_mul_i32 s17, s20, s17
	s_mul_hi_u32 s22, s20, s26
	s_mul_i32 s21, s21, s26
	s_add_i32 s17, s22, s17
	s_mul_i32 s20, s20, s26
	s_add_i32 s21, s17, s21
	s_delay_alu instid0(SALU_CYCLE_1) | instskip(NEXT) | instid1(SALU_CYCLE_1)
	s_lshl_b64 s[22:23], s[20:21], 1
	s_add_u32 s17, s2, s22
	s_addc_u32 s33, s3, s23
	s_lshr_b32 s20, s26, 31
	s_delay_alu instid0(SALU_CYCLE_1) | instskip(NEXT) | instid1(SALU_CYCLE_1)
	s_add_i32 s26, s26, s20
	s_ashr_i32 s20, s26, 1
	s_delay_alu instid0(SALU_CYCLE_1) | instskip(NEXT) | instid1(SALU_CYCLE_1)
	s_mul_i32 s28, s20, s27
	v_cmpx_gt_i32_e64 s28, v0
	s_cbranch_execz .LBB38_4
; %bb.2:
	s_clause 0x1
	s_load_b64 s[26:27], s[0:1], 0x8
	s_load_b32 s36, s[0:1], 0x8c
	s_mul_i32 s5, s16, s5
	s_mul_hi_u32 s21, s16, s4
	s_mul_i32 s4, s16, s4
	s_add_i32 s5, s21, s5
	s_ashr_i32 s21, s20, 31
	s_lshl_b64 s[4:5], s[4:5], 2
	s_mov_b32 s35, 0
	s_waitcnt lgkmcnt(0)
	s_add_u32 s30, s26, s4
	s_addc_u32 s31, s27, s5
	s_abs_i32 s34, s20
	s_and_b32 s36, s36, 0xffff
	v_cvt_f32_u32_e32 v1, s34
	s_sub_i32 s4, 0, s34
	s_sub_i32 s37, 0, s20
	s_lshl_b64 s[26:27], s[20:21], 2
	s_delay_alu instid0(VALU_DEP_1) | instskip(SKIP_2) | instid1(VALU_DEP_1)
	v_rcp_iflag_f32_e32 v1, v1
	s_waitcnt_depctr 0xfff
	v_mul_f32_e32 v1, 0x4f7ffffe, v1
	v_cvt_u32_f32_e32 v1, v1
	s_delay_alu instid0(VALU_DEP_1) | instskip(SKIP_1) | instid1(VALU_DEP_1)
	v_mul_lo_u32 v2, s4, v1
	s_lshl_b64 s[4:5], s[20:21], 1
	v_mul_hi_u32 v2, v1, v2
	s_delay_alu instid0(VALU_DEP_1)
	v_dual_mov_b32 v1, v0 :: v_dual_add_nc_u32 v2, v1, v2
.LBB38_3:                               ; =>This Inner Loop Header: Depth=1
	s_delay_alu instid0(VALU_DEP_1) | instskip(SKIP_1) | instid1(VALU_DEP_2)
	v_sub_nc_u32_e32 v3, 0, v1
	v_ashrrev_i32_e32 v4, 31, v1
	v_max_i32_e32 v3, v1, v3
	s_delay_alu instid0(VALU_DEP_2) | instskip(NEXT) | instid1(VALU_DEP_2)
	v_xor_b32_e32 v4, s21, v4
	v_mul_hi_u32 v5, v3, v2
	s_delay_alu instid0(VALU_DEP_1) | instskip(SKIP_1) | instid1(VALU_DEP_2)
	v_mul_lo_u32 v6, v5, s34
	v_add_nc_u32_e32 v7, 1, v5
	v_sub_nc_u32_e32 v3, v3, v6
	s_delay_alu instid0(VALU_DEP_1) | instskip(SKIP_1) | instid1(VALU_DEP_4)
	v_subrev_nc_u32_e32 v6, s34, v3
	v_cmp_le_u32_e32 vcc_lo, s34, v3
	v_cndmask_b32_e32 v5, v5, v7, vcc_lo
	s_delay_alu instid0(VALU_DEP_1) | instskip(NEXT) | instid1(VALU_DEP_1)
	v_dual_cndmask_b32 v3, v3, v6 :: v_dual_add_nc_u32 v6, 1, v5
	v_cmp_le_u32_e32 vcc_lo, s34, v3
	s_delay_alu instid0(VALU_DEP_2) | instskip(NEXT) | instid1(VALU_DEP_1)
	v_cndmask_b32_e32 v3, v5, v6, vcc_lo
	v_xor_b32_e32 v3, v3, v4
	s_delay_alu instid0(VALU_DEP_1) | instskip(NEXT) | instid1(VALU_DEP_1)
	v_sub_nc_u32_e32 v7, v3, v4
	v_ashrrev_i32_e32 v8, 31, v7
	v_mad_u64_u32 v[3:4], null, s37, v7, v[1:2]
	v_mul_lo_u32 v9, v7, s7
	v_mad_u64_u32 v[5:6], null, v7, s6, 0
	s_delay_alu instid0(VALU_DEP_4) | instskip(SKIP_2) | instid1(VALU_DEP_3)
	v_mul_lo_u32 v7, v8, s6
	v_add_nc_u32_e32 v1, s36, v1
	v_ashrrev_i32_e32 v4, 31, v3
	v_add3_u32 v6, v6, v9, v7
	s_delay_alu instid0(VALU_DEP_2) | instskip(SKIP_1) | instid1(VALU_DEP_3)
	v_lshlrev_b64 v[7:8], 1, v[3:4]
	v_lshlrev_b64 v[3:4], 2, v[3:4]
	;; [unrolled: 1-line block ×3, first 2 shown]
	s_delay_alu instid0(VALU_DEP_3) | instskip(NEXT) | instid1(VALU_DEP_4)
	v_add_co_u32 v7, vcc_lo, s17, v7
	v_add_co_ci_u32_e32 v8, vcc_lo, s33, v8, vcc_lo
	s_delay_alu instid0(VALU_DEP_3) | instskip(NEXT) | instid1(VALU_DEP_4)
	v_add_co_u32 v10, vcc_lo, s30, v5
	v_add_co_ci_u32_e32 v11, vcc_lo, s31, v6, vcc_lo
	s_delay_alu instid0(VALU_DEP_4) | instskip(NEXT) | instid1(VALU_DEP_4)
	v_add_co_u32 v5, vcc_lo, v7, s4
	v_add_co_ci_u32_e32 v6, vcc_lo, s5, v8, vcc_lo
	s_delay_alu instid0(VALU_DEP_4) | instskip(NEXT) | instid1(VALU_DEP_4)
	v_add_co_u32 v3, vcc_lo, v10, v3
	v_add_co_ci_u32_e32 v4, vcc_lo, v11, v4, vcc_lo
	s_clause 0x1
	global_load_u16 v9, v[7:8], off
	global_load_u16 v7, v[5:6], off
	v_add_co_u32 v5, vcc_lo, v3, s26
	v_add_co_ci_u32_e32 v6, vcc_lo, s27, v4, vcc_lo
	s_clause 0x1
	global_load_b32 v8, v[3:4], off
	global_load_b32 v10, v[5:6], off
	v_cmp_le_i32_e32 vcc_lo, s28, v1
	s_or_b32 s35, vcc_lo, s35
	s_waitcnt vmcnt(3)
	v_cvt_f32_f16_e32 v11, v9
	s_waitcnt vmcnt(2)
	v_cvt_f32_f16_e32 v12, v7
	s_waitcnt vmcnt(0)
	s_delay_alu instid0(VALU_DEP_1) | instskip(SKIP_1) | instid1(VALU_DEP_2)
	v_mul_f32_e32 v12, v10, v12
	v_mul_f32_e32 v10, v10, v11
	v_fma_mix_f32 v9, v8, v9, -v12 op_sel_hi:[0,1,0]
	s_delay_alu instid0(VALU_DEP_2)
	v_fma_mix_f32 v7, v8, v7, v10 op_sel_hi:[0,1,0]
	s_clause 0x1
	global_store_b32 v[3:4], v9, off
	global_store_b32 v[5:6], v7, off
	s_and_not1_b32 exec_lo, exec_lo, s35
	s_cbranch_execnz .LBB38_3
.LBB38_4:
	s_or_b32 exec_lo, exec_lo, s29
	s_load_b128 s[4:7], s[0:1], 0x68
	s_waitcnt lgkmcnt(0)
	s_ashr_i32 s29, s7, 31
	s_mov_b32 s28, s7
	s_delay_alu instid0(SALU_CYCLE_1) | instskip(SKIP_1) | instid1(SALU_CYCLE_1)
	s_or_b64 s[30:31], s[24:25], s[28:29]
	s_mov_b32 s30, 0
	s_cmp_lg_u64 s[30:31], 0
	s_cbranch_scc0 .LBB38_14
; %bb.5:
	s_add_u32 s34, s28, s29
	s_mov_b32 s26, s29
	s_mov_b32 s27, s29
	s_addc_u32 s35, s29, s29
	s_delay_alu instid0(SALU_CYCLE_1) | instskip(NEXT) | instid1(SALU_CYCLE_1)
	s_xor_b64 s[34:35], s[34:35], s[26:27]
	v_cvt_f32_u32_e32 v1, s34
	v_cvt_f32_u32_e32 v2, s35
	s_sub_u32 s31, 0, s34
	s_subb_u32 s36, 0, s35
	s_delay_alu instid0(VALU_DEP_1) | instskip(NEXT) | instid1(VALU_DEP_1)
	v_fmamk_f32 v1, v2, 0x4f800000, v1
	v_rcp_f32_e32 v1, v1
	s_waitcnt_depctr 0xfff
	v_mul_f32_e32 v1, 0x5f7ffffc, v1
	s_delay_alu instid0(VALU_DEP_1) | instskip(NEXT) | instid1(VALU_DEP_1)
	v_mul_f32_e32 v2, 0x2f800000, v1
	v_trunc_f32_e32 v2, v2
	s_delay_alu instid0(VALU_DEP_1) | instskip(SKIP_1) | instid1(VALU_DEP_2)
	v_fmamk_f32 v1, v2, 0xcf800000, v1
	v_cvt_u32_f32_e32 v2, v2
	v_cvt_u32_f32_e32 v1, v1
	s_delay_alu instid0(VALU_DEP_2) | instskip(NEXT) | instid1(VALU_DEP_2)
	v_readfirstlane_b32 s7, v2
	v_readfirstlane_b32 s21, v1
	s_delay_alu instid0(VALU_DEP_2) | instskip(NEXT) | instid1(VALU_DEP_1)
	s_mul_i32 s37, s31, s7
	s_mul_hi_u32 s39, s31, s21
	s_mul_i32 s38, s36, s21
	s_add_i32 s37, s39, s37
	s_mul_i32 s40, s31, s21
	s_add_i32 s37, s37, s38
	s_mul_hi_u32 s39, s21, s40
	s_mul_hi_u32 s41, s7, s40
	s_mul_i32 s38, s7, s40
	s_mul_hi_u32 s40, s21, s37
	s_mul_i32 s21, s21, s37
	s_mul_hi_u32 s42, s7, s37
	s_add_u32 s21, s39, s21
	s_addc_u32 s39, 0, s40
	s_add_u32 s21, s21, s38
	s_mul_i32 s37, s7, s37
	s_addc_u32 s21, s39, s41
	s_addc_u32 s38, s42, 0
	s_add_u32 s21, s21, s37
	s_addc_u32 s37, 0, s38
	v_add_co_u32 v1, s21, v1, s21
	s_delay_alu instid0(VALU_DEP_1) | instskip(SKIP_1) | instid1(VALU_DEP_1)
	s_cmp_lg_u32 s21, 0
	s_addc_u32 s7, s7, s37
	v_readfirstlane_b32 s21, v1
	s_mul_i32 s37, s31, s7
	s_delay_alu instid0(VALU_DEP_1)
	s_mul_hi_u32 s38, s31, s21
	s_mul_i32 s36, s36, s21
	s_add_i32 s37, s38, s37
	s_mul_i32 s31, s31, s21
	s_add_i32 s37, s37, s36
	s_mul_hi_u32 s38, s7, s31
	s_mul_i32 s39, s7, s31
	s_mul_hi_u32 s31, s21, s31
	s_mul_hi_u32 s40, s21, s37
	s_mul_i32 s21, s21, s37
	s_mul_hi_u32 s36, s7, s37
	s_add_u32 s21, s31, s21
	s_addc_u32 s31, 0, s40
	s_add_u32 s21, s21, s39
	s_mul_i32 s37, s7, s37
	s_addc_u32 s21, s31, s38
	s_addc_u32 s31, s36, 0
	s_add_u32 s21, s21, s37
	s_addc_u32 s31, 0, s31
	v_add_co_u32 v1, s21, v1, s21
	s_delay_alu instid0(VALU_DEP_1) | instskip(SKIP_2) | instid1(VALU_DEP_1)
	s_cmp_lg_u32 s21, 0
	s_addc_u32 s7, s7, s31
	s_ashr_i32 s36, s25, 31
	v_readfirstlane_b32 s21, v1
	s_add_u32 s38, s24, s36
	s_mov_b32 s37, s36
	s_addc_u32 s39, s25, s36
	s_delay_alu instid0(SALU_CYCLE_1) | instskip(NEXT) | instid1(SALU_CYCLE_1)
	s_xor_b64 s[38:39], s[38:39], s[36:37]
	s_mul_i32 s40, s38, s7
	s_mul_hi_u32 s41, s38, s21
	s_mul_hi_u32 s31, s38, s7
	;; [unrolled: 1-line block ×3, first 2 shown]
	s_mul_i32 s21, s39, s21
	s_add_u32 s40, s41, s40
	s_addc_u32 s31, 0, s31
	s_mul_hi_u32 s42, s39, s7
	s_add_u32 s21, s40, s21
	s_mul_i32 s7, s39, s7
	s_addc_u32 s21, s31, s43
	s_addc_u32 s31, s42, 0
	s_add_u32 s7, s21, s7
	s_addc_u32 s21, 0, s31
	s_mul_i32 s42, s34, s7
	s_mul_hi_u32 s31, s34, s7
	s_mul_i32 s41, s34, s21
	v_sub_co_u32 v1, s38, s38, s42
	s_mul_i32 s40, s35, s7
	s_add_i32 s31, s31, s41
	s_delay_alu instid0(SALU_CYCLE_1) | instskip(NEXT) | instid1(VALU_DEP_1)
	s_add_i32 s31, s31, s40
	v_sub_co_u32 v2, s41, v1, s34
	s_sub_i32 s40, s39, s31
	s_cmp_lg_u32 s38, 0
	s_subb_u32 s40, s40, s35
	s_cmp_lg_u32 s41, 0
	v_readfirstlane_b32 s41, v2
	s_subb_u32 s40, s40, 0
	s_delay_alu instid0(SALU_CYCLE_1) | instskip(SKIP_1) | instid1(VALU_DEP_1)
	s_cmp_ge_u32 s40, s35
	s_cselect_b32 s42, -1, 0
	s_cmp_ge_u32 s41, s34
	s_cselect_b32 s41, -1, 0
	s_cmp_eq_u32 s40, s35
	s_cselect_b32 s40, s41, s42
	s_add_u32 s41, s7, 1
	s_addc_u32 s42, s21, 0
	s_add_u32 s43, s7, 2
	s_addc_u32 s44, s21, 0
	s_cmp_lg_u32 s40, 0
	s_cselect_b32 s40, s43, s41
	s_cselect_b32 s41, s44, s42
	s_cmp_lg_u32 s38, 0
	v_readfirstlane_b32 s38, v1
	s_subb_u32 s31, s39, s31
	s_delay_alu instid0(SALU_CYCLE_1) | instskip(SKIP_1) | instid1(VALU_DEP_1)
	s_cmp_ge_u32 s31, s35
	s_cselect_b32 s39, -1, 0
	s_cmp_ge_u32 s38, s34
	s_cselect_b32 s34, -1, 0
	s_cmp_eq_u32 s31, s35
	s_cselect_b32 s31, s34, s39
	s_delay_alu instid0(SALU_CYCLE_1) | instskip(SKIP_3) | instid1(SALU_CYCLE_1)
	s_cmp_lg_u32 s31, 0
	s_cselect_b32 s35, s41, s21
	s_cselect_b32 s34, s40, s7
	s_xor_b64 s[26:27], s[36:37], s[26:27]
	s_xor_b64 s[34:35], s[34:35], s[26:27]
	s_delay_alu instid0(SALU_CYCLE_1)
	s_sub_u32 s26, s34, s26
	s_subb_u32 s27, s35, s27
	s_and_not1_b32 vcc_lo, exec_lo, s30
	s_cbranch_vccnz .LBB38_7
.LBB38_6:
	v_cvt_f32_u32_e32 v1, s28
	s_sub_i32 s21, 0, s28
	s_delay_alu instid0(VALU_DEP_1) | instskip(SKIP_2) | instid1(VALU_DEP_1)
	v_rcp_iflag_f32_e32 v1, v1
	s_waitcnt_depctr 0xfff
	v_mul_f32_e32 v1, 0x4f7ffffe, v1
	v_cvt_u32_f32_e32 v1, v1
	s_delay_alu instid0(VALU_DEP_1) | instskip(NEXT) | instid1(VALU_DEP_1)
	v_readfirstlane_b32 s7, v1
	s_mul_i32 s21, s21, s7
	s_delay_alu instid0(SALU_CYCLE_1) | instskip(NEXT) | instid1(SALU_CYCLE_1)
	s_mul_hi_u32 s21, s7, s21
	s_add_i32 s7, s7, s21
	s_delay_alu instid0(SALU_CYCLE_1) | instskip(NEXT) | instid1(SALU_CYCLE_1)
	s_mul_hi_u32 s7, s24, s7
	s_mul_i32 s21, s7, s28
	s_add_i32 s26, s7, 1
	s_sub_i32 s21, s24, s21
	s_delay_alu instid0(SALU_CYCLE_1)
	s_sub_i32 s27, s21, s28
	s_cmp_ge_u32 s21, s28
	s_cselect_b32 s7, s26, s7
	s_cselect_b32 s21, s27, s21
	s_add_i32 s26, s7, 1
	s_cmp_ge_u32 s21, s28
	s_mov_b32 s27, 0
	s_cselect_b32 s26, s26, s7
.LBB38_7:
	s_delay_alu instid0(SALU_CYCLE_1)
	s_mul_i32 s7, s26, s29
	s_mul_hi_u32 s21, s26, s28
	s_mul_hi_u32 s34, s26, s4
	s_add_i32 s7, s21, s7
	s_mul_i32 s21, s27, s28
	s_mul_i32 s28, s26, s28
	s_add_i32 s7, s7, s21
	s_sub_u32 s30, s24, s28
	s_subb_u32 s31, s25, s7
	s_mul_i32 s35, s27, s4
	s_mul_i32 s28, s26, s4
	s_mul_hi_u32 s27, s30, s5
	s_mul_i32 s31, s31, s5
	s_mul_i32 s24, s30, s5
	s_mov_b32 s36, exec_lo
	v_cmpx_gt_i32_e64 s20, v0
	s_cbranch_execz .LBB38_10
; %bb.8:
	s_load_b32 s37, s[0:1], 0x8c
	s_ashr_i32 s7, s4, 31
	s_ashr_i32 s21, s5, 31
	s_mul_i32 s7, s26, s7
	s_mul_i32 s21, s30, s21
	s_add_i32 s7, s34, s7
	s_add_i32 s21, s27, s21
	;; [unrolled: 1-line block ×4, first 2 shown]
	s_lshl_b64 s[38:39], s[28:29], 1
	s_lshl_b64 s[40:41], s[24:25], 1
	s_ashr_i32 s21, s20, 31
	s_add_u32 s44, s38, s40
	s_addc_u32 s45, s39, s41
	s_add_u32 s25, s44, s18
	s_addc_u32 s29, s45, s19
	s_ashr_i32 s7, s6, 31
	v_lshlrev_b32_e32 v1, 2, v0
	s_lshl_b64 s[38:39], s[6:7], 1
	v_dual_mov_b32 v4, v0 :: v_dual_lshlrev_b32 v3, 1, v0
	s_add_u32 s7, s25, s38
	s_addc_u32 s25, s29, s39
	s_waitcnt lgkmcnt(0)
	s_and_b32 s29, s37, 0xffff
	s_lshl_b64 s[40:41], s[20:21], 1
	s_lshl_b32 s37, s29, 1
	s_add_u32 s22, s22, s40
	s_addc_u32 s23, s23, s41
	s_add_u32 s22, s2, s22
	s_mul_i32 s2, s9, s16
	s_mul_hi_u32 s9, s8, s16
	s_addc_u32 s3, s3, s23
	s_add_i32 s9, s9, s2
	s_mul_i32 s8, s8, s16
	s_mov_b32 s23, 0
	s_lshl_b64 s[42:43], s[8:9], 2
	s_lshl_b64 s[8:9], s[20:21], 2
	s_add_u32 s2, s12, s42
	s_addc_u32 s12, s13, s43
	v_add_co_u32 v1, s2, s2, v1
	s_delay_alu instid0(VALU_DEP_1)
	v_add_co_ci_u32_e64 v2, null, s12, 0, s2
	s_lshl_b32 s12, s29, 2
	s_add_u32 s2, s44, s40
	s_addc_u32 s13, s45, s41
	s_add_u32 s2, s2, s38
	s_addc_u32 s21, s13, s39
	;; [unrolled: 2-line block ×3, first 2 shown]
.LBB38_9:                               ; =>This Inner Loop Header: Depth=1
	v_add_co_u32 v5, s2, s17, v3
	s_delay_alu instid0(VALU_DEP_1) | instskip(SKIP_1) | instid1(VALU_DEP_1)
	v_add_co_ci_u32_e64 v6, null, s33, 0, s2
	v_add_co_u32 v7, s2, s22, v3
	v_add_co_ci_u32_e64 v8, null, s3, 0, s2
	v_add_co_u32 v9, vcc_lo, v1, s8
	v_add_co_ci_u32_e32 v10, vcc_lo, s9, v2, vcc_lo
	global_load_b32 v11, v[1:2], off
	global_load_u16 v12, v[7:8], off
	global_load_u16 v13, v[5:6], off
	global_load_b32 v14, v[9:10], off
	v_add_co_u32 v5, s2, s7, v3
	s_add_u32 s17, s17, s37
	v_add_co_ci_u32_e64 v6, null, s25, 0, s2
	v_add_co_u32 v7, s2, s13, v3
	s_addc_u32 s33, s33, 0
	s_add_u32 s22, s22, s37
	v_add_co_ci_u32_e64 v8, null, s21, 0, s2
	s_addc_u32 s3, s3, 0
	s_add_u32 s13, s13, s37
	s_addc_u32 s21, s21, 0
	s_add_u32 s7, s7, s37
	s_addc_u32 s25, s25, 0
	s_waitcnt vmcnt(2)
	v_cvt_f32_f16_e32 v15, v12
	v_add_nc_u32_e32 v4, s29, v4
	s_waitcnt vmcnt(1)
	v_cvt_f32_f16_e32 v16, v13
	s_waitcnt vmcnt(0)
	v_mul_f32_e32 v15, v14, v15
	v_cmp_le_i32_e32 vcc_lo, s20, v4
	s_delay_alu instid0(VALU_DEP_3) | instskip(NEXT) | instid1(VALU_DEP_3)
	v_mul_f32_e32 v14, v14, v16
	v_fma_mix_f32 v13, v11, v13, -v15 op_sel_hi:[0,1,0]
	s_or_b32 s23, vcc_lo, s23
	s_delay_alu instid0(VALU_DEP_2) | instskip(SKIP_2) | instid1(VALU_DEP_1)
	v_fma_mix_f32 v11, v11, v12, v14 op_sel_hi:[0,1,0]
	global_store_b32 v[1:2], v13, off
	v_add_co_u32 v1, s2, v1, s12
	v_add_co_ci_u32_e64 v2, s2, 0, v2, s2
	global_store_b32 v[9:10], v11, off
	global_store_b16 v[5:6], v13, off
	global_store_b16 v[7:8], v11, off
	s_and_not1_b32 exec_lo, exec_lo, s23
	s_cbranch_execnz .LBB38_9
.LBB38_10:
	s_or_b32 exec_lo, exec_lo, s36
	s_delay_alu instid0(SALU_CYCLE_1)
	s_mov_b32 s2, exec_lo
	v_cmpx_gt_i32_e64 s6, v0
	s_cbranch_execz .LBB38_13
; %bb.11:
	s_mul_i32 s3, s16, s11
	s_mul_hi_u32 s7, s16, s10
	s_mul_i32 s2, s16, s10
	s_add_i32 s3, s7, s3
	s_load_b32 s7, s[0:1], 0x8c
	s_lshl_b64 s[2:3], s[2:3], 2
	s_delay_alu instid0(SALU_CYCLE_1) | instskip(SKIP_2) | instid1(SALU_CYCLE_1)
	s_add_u32 s2, s14, s2
	s_addc_u32 s3, s15, s3
	s_ashr_i32 s4, s4, 31
	s_mul_i32 s4, s26, s4
	s_delay_alu instid0(SALU_CYCLE_1) | instskip(NEXT) | instid1(SALU_CYCLE_1)
	s_add_i32 s0, s34, s4
	s_add_i32 s29, s0, s35
	s_delay_alu instid0(SALU_CYCLE_1) | instskip(NEXT) | instid1(SALU_CYCLE_1)
	s_lshl_b64 s[0:1], s[28:29], 1
	s_add_u32 s0, s18, s0
	s_addc_u32 s8, s19, s1
	s_ashr_i32 s1, s5, 31
	s_delay_alu instid0(SALU_CYCLE_1) | instskip(NEXT) | instid1(SALU_CYCLE_1)
	s_mul_i32 s30, s30, s1
	s_add_i32 s1, s27, s30
	s_delay_alu instid0(SALU_CYCLE_1) | instskip(NEXT) | instid1(SALU_CYCLE_1)
	s_add_i32 s25, s1, s31
	s_lshl_b64 s[4:5], s[24:25], 1
	s_delay_alu instid0(SALU_CYCLE_1)
	s_add_u32 s1, s0, s4
	s_addc_u32 s4, s8, s5
	s_waitcnt lgkmcnt(0)
	s_and_b32 s5, s7, 0xffff
	s_mov_b32 s7, 0
	.p2align	6
.LBB38_12:                              ; =>This Inner Loop Header: Depth=1
	v_ashrrev_i32_e32 v1, 31, v0
	s_delay_alu instid0(VALU_DEP_1) | instskip(NEXT) | instid1(VALU_DEP_1)
	v_lshlrev_b64 v[2:3], 2, v[0:1]
	v_add_co_u32 v2, vcc_lo, s2, v2
	s_delay_alu instid0(VALU_DEP_2) | instskip(SKIP_3) | instid1(VALU_DEP_1)
	v_add_co_ci_u32_e32 v3, vcc_lo, s3, v3, vcc_lo
	global_load_u16 v3, v[2:3], off
	v_lshlrev_b64 v[1:2], 1, v[0:1]
	v_add_nc_u32_e32 v0, s5, v0
	v_cmp_le_i32_e32 vcc_lo, s6, v0
	s_delay_alu instid0(VALU_DEP_3) | instskip(NEXT) | instid1(VALU_DEP_1)
	v_add_co_u32 v1, s0, s1, v1
	v_add_co_ci_u32_e64 v2, s0, s4, v2, s0
	s_or_b32 s7, vcc_lo, s7
	s_waitcnt vmcnt(0)
	global_store_b16 v[1:2], v3, off
	s_and_not1_b32 exec_lo, exec_lo, s7
	s_cbranch_execnz .LBB38_12
.LBB38_13:
	s_nop 0
	s_sendmsg sendmsg(MSG_DEALLOC_VGPRS)
	s_endpgm
.LBB38_14:
                                        ; implicit-def: $sgpr26_sgpr27
	s_branch .LBB38_6
	.section	.rodata,"a",@progbits
	.p2align	6, 0x0
	.amdhsa_kernel _ZN4vllm38concat_and_cache_mla_rope_fused_kernelIfN3c104HalfELb1E14__hip_bfloat16S3_LNS_18Fp8KVCacheDataTypeE0EEEvPKlPT_S8_PKS7_PKT0_illlliPT3_S6_iiiiPKf
		.amdhsa_group_segment_fixed_size 0
		.amdhsa_private_segment_fixed_size 0
		.amdhsa_kernarg_size 384
		.amdhsa_user_sgpr_count 15
		.amdhsa_user_sgpr_dispatch_ptr 0
		.amdhsa_user_sgpr_queue_ptr 0
		.amdhsa_user_sgpr_kernarg_segment_ptr 1
		.amdhsa_user_sgpr_dispatch_id 0
		.amdhsa_user_sgpr_private_segment_size 0
		.amdhsa_wavefront_size32 1
		.amdhsa_uses_dynamic_stack 0
		.amdhsa_enable_private_segment 0
		.amdhsa_system_sgpr_workgroup_id_x 1
		.amdhsa_system_sgpr_workgroup_id_y 0
		.amdhsa_system_sgpr_workgroup_id_z 0
		.amdhsa_system_sgpr_workgroup_info 0
		.amdhsa_system_vgpr_workitem_id 0
		.amdhsa_next_free_vgpr 17
		.amdhsa_next_free_sgpr 46
		.amdhsa_reserve_vcc 1
		.amdhsa_float_round_mode_32 0
		.amdhsa_float_round_mode_16_64 0
		.amdhsa_float_denorm_mode_32 3
		.amdhsa_float_denorm_mode_16_64 3
		.amdhsa_dx10_clamp 1
		.amdhsa_ieee_mode 1
		.amdhsa_fp16_overflow 0
		.amdhsa_workgroup_processor_mode 1
		.amdhsa_memory_ordered 1
		.amdhsa_forward_progress 0
		.amdhsa_shared_vgpr_count 0
		.amdhsa_exception_fp_ieee_invalid_op 0
		.amdhsa_exception_fp_denorm_src 0
		.amdhsa_exception_fp_ieee_div_zero 0
		.amdhsa_exception_fp_ieee_overflow 0
		.amdhsa_exception_fp_ieee_underflow 0
		.amdhsa_exception_fp_ieee_inexact 0
		.amdhsa_exception_int_div_zero 0
	.end_amdhsa_kernel
	.section	.text._ZN4vllm38concat_and_cache_mla_rope_fused_kernelIfN3c104HalfELb1E14__hip_bfloat16S3_LNS_18Fp8KVCacheDataTypeE0EEEvPKlPT_S8_PKS7_PKT0_illlliPT3_S6_iiiiPKf,"axG",@progbits,_ZN4vllm38concat_and_cache_mla_rope_fused_kernelIfN3c104HalfELb1E14__hip_bfloat16S3_LNS_18Fp8KVCacheDataTypeE0EEEvPKlPT_S8_PKS7_PKT0_illlliPT3_S6_iiiiPKf,comdat
.Lfunc_end38:
	.size	_ZN4vllm38concat_and_cache_mla_rope_fused_kernelIfN3c104HalfELb1E14__hip_bfloat16S3_LNS_18Fp8KVCacheDataTypeE0EEEvPKlPT_S8_PKS7_PKT0_illlliPT3_S6_iiiiPKf, .Lfunc_end38-_ZN4vllm38concat_and_cache_mla_rope_fused_kernelIfN3c104HalfELb1E14__hip_bfloat16S3_LNS_18Fp8KVCacheDataTypeE0EEEvPKlPT_S8_PKS7_PKT0_illlliPT3_S6_iiiiPKf
                                        ; -- End function
	.section	.AMDGPU.csdata,"",@progbits
; Kernel info:
; codeLenInByte = 2384
; NumSgprs: 48
; NumVgprs: 17
; ScratchSize: 0
; MemoryBound: 0
; FloatMode: 240
; IeeeMode: 1
; LDSByteSize: 0 bytes/workgroup (compile time only)
; SGPRBlocks: 5
; VGPRBlocks: 2
; NumSGPRsForWavesPerEU: 48
; NumVGPRsForWavesPerEU: 17
; Occupancy: 16
; WaveLimiterHint : 1
; COMPUTE_PGM_RSRC2:SCRATCH_EN: 0
; COMPUTE_PGM_RSRC2:USER_SGPR: 15
; COMPUTE_PGM_RSRC2:TRAP_HANDLER: 0
; COMPUTE_PGM_RSRC2:TGID_X_EN: 1
; COMPUTE_PGM_RSRC2:TGID_Y_EN: 0
; COMPUTE_PGM_RSRC2:TGID_Z_EN: 0
; COMPUTE_PGM_RSRC2:TIDIG_COMP_CNT: 0
	.section	.text._ZN4vllm38concat_and_cache_mla_rope_fused_kernelIfN3c104HalfELb0E14__hip_bfloat16S3_LNS_18Fp8KVCacheDataTypeE0EEEvPKlPT_S8_PKS7_PKT0_illlliPT3_S6_iiiiPKf,"axG",@progbits,_ZN4vllm38concat_and_cache_mla_rope_fused_kernelIfN3c104HalfELb0E14__hip_bfloat16S3_LNS_18Fp8KVCacheDataTypeE0EEEvPKlPT_S8_PKS7_PKT0_illlliPT3_S6_iiiiPKf,comdat
	.protected	_ZN4vllm38concat_and_cache_mla_rope_fused_kernelIfN3c104HalfELb0E14__hip_bfloat16S3_LNS_18Fp8KVCacheDataTypeE0EEEvPKlPT_S8_PKS7_PKT0_illlliPT3_S6_iiiiPKf ; -- Begin function _ZN4vllm38concat_and_cache_mla_rope_fused_kernelIfN3c104HalfELb0E14__hip_bfloat16S3_LNS_18Fp8KVCacheDataTypeE0EEEvPKlPT_S8_PKS7_PKT0_illlliPT3_S6_iiiiPKf
	.globl	_ZN4vllm38concat_and_cache_mla_rope_fused_kernelIfN3c104HalfELb0E14__hip_bfloat16S3_LNS_18Fp8KVCacheDataTypeE0EEEvPKlPT_S8_PKS7_PKT0_illlliPT3_S6_iiiiPKf
	.p2align	8
	.type	_ZN4vllm38concat_and_cache_mla_rope_fused_kernelIfN3c104HalfELb0E14__hip_bfloat16S3_LNS_18Fp8KVCacheDataTypeE0EEEvPKlPT_S8_PKS7_PKT0_illlliPT3_S6_iiiiPKf,@function
_ZN4vllm38concat_and_cache_mla_rope_fused_kernelIfN3c104HalfELb0E14__hip_bfloat16S3_LNS_18Fp8KVCacheDataTypeE0EEEvPKlPT_S8_PKS7_PKT0_illlliPT3_S6_iiiiPKf: ; @_ZN4vllm38concat_and_cache_mla_rope_fused_kernelIfN3c104HalfELb0E14__hip_bfloat16S3_LNS_18Fp8KVCacheDataTypeE0EEEvPKlPT_S8_PKS7_PKT0_illlliPT3_S6_iiiiPKf
; %bb.0:
	s_load_b64 s[4:5], s[0:1], 0x60
	s_mov_b32 s16, s15
	s_mov_b32 s17, 0
	s_delay_alu instid0(SALU_CYCLE_1)
	s_lshl_b64 s[2:3], s[16:17], 3
	s_waitcnt lgkmcnt(0)
	s_add_u32 s4, s4, s2
	s_addc_u32 s5, s5, s3
	s_load_b64 s[22:23], s[4:5], 0x0
	s_waitcnt lgkmcnt(0)
	v_cmp_lt_i64_e64 s4, s[22:23], 0
	s_delay_alu instid0(VALU_DEP_1)
	s_and_b32 vcc_lo, exec_lo, s4
	s_cbranch_vccnz .LBB39_13
; %bb.1:
	s_clause 0x3
	s_load_b32 s21, s[0:1], 0x28
	s_load_b64 s[4:5], s[0:1], 0x0
	s_load_b128 s[12:15], s[0:1], 0x10
	s_load_b32 s17, s[0:1], 0x50
	v_lshlrev_b32_e32 v3, 1, v0
	s_waitcnt lgkmcnt(0)
	s_ashr_i32 s26, s21, 31
	s_add_u32 s2, s4, s2
	s_addc_u32 s3, s5, s3
	s_lshr_b32 s20, s21, 31
	s_load_b64 s[24:25], s[2:3], 0x0
	s_clause 0x2
	s_load_b64 s[2:3], s[0:1], 0x20
	s_load_b64 s[18:19], s[0:1], 0x58
	s_load_b256 s[4:11], s[0:1], 0x30
	s_add_i32 s20, s21, s20
	s_delay_alu instid0(SALU_CYCLE_1) | instskip(NEXT) | instid1(SALU_CYCLE_1)
	s_ashr_i32 s20, s20, 1
	s_mul_i32 s17, s20, s17
	s_waitcnt lgkmcnt(0)
	s_mul_i32 s26, s24, s26
	s_mul_hi_u32 s27, s24, s21
	s_mul_i32 s25, s25, s21
	s_add_i32 s26, s27, s26
	s_mul_i32 s24, s24, s21
	s_add_i32 s25, s26, s25
	s_mov_b32 s26, exec_lo
	v_cmpx_gt_i32_e64 s17, v0
	s_cbranch_execz .LBB39_4
; %bb.2:
	s_clause 0x1
	s_load_b64 s[30:31], s[0:1], 0x8
	s_load_b32 s34, s[0:1], 0x8c
	s_lshl_b64 s[28:29], s[24:25], 1
	s_mul_i32 s5, s16, s5
	s_mul_hi_u32 s21, s16, s4
	s_add_u32 s27, s2, s28
	s_mul_i32 s4, s16, s4
	s_addc_u32 s28, s3, s29
	s_add_i32 s5, s21, s5
	s_ashr_i32 s21, s20, 31
	s_lshl_b64 s[4:5], s[4:5], 2
	s_mov_b32 s33, 0
	s_waitcnt lgkmcnt(0)
	s_add_u32 s29, s30, s4
	s_addc_u32 s30, s31, s5
	s_abs_i32 s31, s20
	s_and_b32 s34, s34, 0xffff
	v_cvt_f32_u32_e32 v1, s31
	s_sub_i32 s4, 0, s31
	s_sub_i32 s35, 0, s20
	s_lshl_b32 s37, s34, 1
	s_delay_alu instid0(VALU_DEP_1) | instskip(SKIP_2) | instid1(VALU_DEP_1)
	v_rcp_iflag_f32_e32 v1, v1
	s_waitcnt_depctr 0xfff
	v_mul_f32_e32 v1, 0x4f7ffffe, v1
	v_cvt_u32_f32_e32 v2, v1
	s_delay_alu instid0(VALU_DEP_1) | instskip(SKIP_1) | instid1(SALU_CYCLE_1)
	v_mul_lo_u32 v1, s4, v2
	s_lshl_b32 s4, s20, 1
	s_sub_i32 s36, 0, s4
	s_lshl_b64 s[4:5], s[20:21], 1
	s_delay_alu instid0(VALU_DEP_1) | instskip(NEXT) | instid1(VALU_DEP_1)
	v_mul_hi_u32 v4, v2, v1
	v_dual_mov_b32 v1, v3 :: v_dual_add_nc_u32 v4, v2, v4
	v_mov_b32_e32 v2, v0
.LBB39_3:                               ; =>This Inner Loop Header: Depth=1
	s_delay_alu instid0(VALU_DEP_1) | instskip(SKIP_1) | instid1(VALU_DEP_2)
	v_sub_nc_u32_e32 v5, 0, v2
	v_ashrrev_i32_e32 v6, 31, v2
	v_max_i32_e32 v5, v2, v5
	s_delay_alu instid0(VALU_DEP_2) | instskip(NEXT) | instid1(VALU_DEP_2)
	v_xor_b32_e32 v6, s21, v6
	v_mul_hi_u32 v7, v5, v4
	s_delay_alu instid0(VALU_DEP_1) | instskip(SKIP_1) | instid1(VALU_DEP_2)
	v_mul_lo_u32 v8, v7, s31
	v_add_nc_u32_e32 v9, 1, v7
	v_sub_nc_u32_e32 v5, v5, v8
	s_delay_alu instid0(VALU_DEP_1) | instskip(SKIP_1) | instid1(VALU_DEP_4)
	v_subrev_nc_u32_e32 v8, s31, v5
	v_cmp_le_u32_e32 vcc_lo, s31, v5
	v_cndmask_b32_e32 v7, v7, v9, vcc_lo
	s_delay_alu instid0(VALU_DEP_1) | instskip(NEXT) | instid1(VALU_DEP_1)
	v_dual_cndmask_b32 v5, v5, v8 :: v_dual_add_nc_u32 v8, 1, v7
	v_cmp_le_u32_e32 vcc_lo, s31, v5
	s_delay_alu instid0(VALU_DEP_2) | instskip(NEXT) | instid1(VALU_DEP_1)
	v_cndmask_b32_e32 v5, v7, v8, vcc_lo
	v_xor_b32_e32 v5, v5, v6
	s_delay_alu instid0(VALU_DEP_1) | instskip(NEXT) | instid1(VALU_DEP_1)
	v_sub_nc_u32_e32 v11, v5, v6
	v_mad_u64_u32 v[5:6], null, s35, v11, v[2:3]
	v_ashrrev_i32_e32 v6, 31, v11
	v_mul_lo_u32 v12, v11, s7
	v_mad_u64_u32 v[7:8], null, v11, s6, 0
	v_mad_u64_u32 v[9:10], null, s36, v11, v[1:2]
	s_delay_alu instid0(VALU_DEP_4) | instskip(SKIP_3) | instid1(VALU_DEP_3)
	v_mul_lo_u32 v11, v6, s6
	v_ashrrev_i32_e32 v6, 31, v5
	v_add_nc_u32_e32 v2, s34, v2
	v_add_nc_u32_e32 v1, s37, v1
	v_lshlrev_b64 v[5:6], 1, v[5:6]
	v_ashrrev_i32_e32 v10, 31, v9
	v_add3_u32 v8, v8, v12, v11
	s_delay_alu instid0(VALU_DEP_3) | instskip(NEXT) | instid1(VALU_DEP_2)
	v_add_co_u32 v5, vcc_lo, s27, v5
	v_lshlrev_b64 v[7:8], 2, v[7:8]
	v_add_co_ci_u32_e32 v6, vcc_lo, s28, v6, vcc_lo
	s_delay_alu instid0(VALU_DEP_3) | instskip(SKIP_1) | instid1(VALU_DEP_3)
	v_add_co_u32 v11, vcc_lo, v5, s4
	v_lshlrev_b64 v[9:10], 2, v[9:10]
	v_add_co_ci_u32_e32 v12, vcc_lo, s5, v6, vcc_lo
	v_add_co_u32 v7, vcc_lo, s29, v7
	v_add_co_ci_u32_e32 v8, vcc_lo, s30, v8, vcc_lo
	s_clause 0x1
	global_load_u16 v13, v[5:6], off
	global_load_u16 v11, v[11:12], off
	v_add_co_u32 v5, vcc_lo, v7, v9
	v_add_co_ci_u32_e32 v6, vcc_lo, v8, v10, vcc_lo
	v_cmp_le_i32_e32 vcc_lo, s17, v2
	global_load_b64 v[7:8], v[5:6], off
	s_or_b32 s33, vcc_lo, s33
	s_waitcnt vmcnt(2)
	v_cvt_f32_f16_e32 v9, v13
	s_waitcnt vmcnt(1)
	v_cvt_f32_f16_e32 v10, v11
	s_waitcnt vmcnt(0)
	s_delay_alu instid0(VALU_DEP_1) | instskip(SKIP_1) | instid1(VALU_DEP_2)
	v_mul_f32_e32 v10, v8, v10
	v_mul_f32_e32 v9, v8, v9
	v_fma_mix_f32 v8, v7, v13, -v10 op_sel_hi:[0,1,0]
	s_delay_alu instid0(VALU_DEP_2)
	v_fma_mix_f32 v9, v7, v11, v9 op_sel_hi:[0,1,0]
	global_store_b64 v[5:6], v[8:9], off
	s_and_not1_b32 exec_lo, exec_lo, s33
	s_cbranch_execnz .LBB39_3
.LBB39_4:
	s_or_b32 exec_lo, exec_lo, s26
	s_load_b128 s[4:7], s[0:1], 0x68
	s_waitcnt lgkmcnt(0)
	s_ashr_i32 s27, s7, 31
	s_mov_b32 s26, s7
	s_delay_alu instid0(SALU_CYCLE_1) | instskip(SKIP_1) | instid1(SALU_CYCLE_1)
	s_or_b64 s[30:31], s[22:23], s[26:27]
	s_mov_b32 s30, 0
	s_cmp_lg_u64 s[30:31], 0
	s_cbranch_scc0 .LBB39_14
; %bb.5:
	s_add_u32 s34, s26, s27
	s_mov_b32 s28, s27
	s_mov_b32 s29, s27
	s_addc_u32 s35, s27, s27
	s_delay_alu instid0(SALU_CYCLE_1) | instskip(NEXT) | instid1(SALU_CYCLE_1)
	s_xor_b64 s[34:35], s[34:35], s[28:29]
	v_cvt_f32_u32_e32 v1, s34
	v_cvt_f32_u32_e32 v2, s35
	s_sub_u32 s21, 0, s34
	s_subb_u32 s31, 0, s35
	s_delay_alu instid0(VALU_DEP_1) | instskip(NEXT) | instid1(VALU_DEP_1)
	v_fmamk_f32 v1, v2, 0x4f800000, v1
	v_rcp_f32_e32 v1, v1
	s_waitcnt_depctr 0xfff
	v_mul_f32_e32 v1, 0x5f7ffffc, v1
	s_delay_alu instid0(VALU_DEP_1) | instskip(NEXT) | instid1(VALU_DEP_1)
	v_mul_f32_e32 v2, 0x2f800000, v1
	v_trunc_f32_e32 v2, v2
	s_delay_alu instid0(VALU_DEP_1) | instskip(SKIP_1) | instid1(VALU_DEP_2)
	v_fmamk_f32 v1, v2, 0xcf800000, v1
	v_cvt_u32_f32_e32 v2, v2
	v_cvt_u32_f32_e32 v1, v1
	s_delay_alu instid0(VALU_DEP_2) | instskip(NEXT) | instid1(VALU_DEP_2)
	v_readfirstlane_b32 s7, v2
	v_readfirstlane_b32 s17, v1
	s_delay_alu instid0(VALU_DEP_2) | instskip(NEXT) | instid1(VALU_DEP_1)
	s_mul_i32 s33, s21, s7
	s_mul_hi_u32 s37, s21, s17
	s_mul_i32 s36, s31, s17
	s_add_i32 s33, s37, s33
	s_mul_i32 s38, s21, s17
	s_add_i32 s33, s33, s36
	s_mul_hi_u32 s37, s17, s38
	s_mul_hi_u32 s39, s7, s38
	s_mul_i32 s36, s7, s38
	s_mul_hi_u32 s38, s17, s33
	s_mul_i32 s17, s17, s33
	s_mul_hi_u32 s40, s7, s33
	s_add_u32 s17, s37, s17
	s_addc_u32 s37, 0, s38
	s_add_u32 s17, s17, s36
	s_mul_i32 s33, s7, s33
	s_addc_u32 s17, s37, s39
	s_addc_u32 s36, s40, 0
	s_add_u32 s17, s17, s33
	s_addc_u32 s33, 0, s36
	v_add_co_u32 v1, s17, v1, s17
	s_delay_alu instid0(VALU_DEP_1) | instskip(SKIP_1) | instid1(VALU_DEP_1)
	s_cmp_lg_u32 s17, 0
	s_addc_u32 s7, s7, s33
	v_readfirstlane_b32 s17, v1
	s_mul_i32 s33, s21, s7
	s_delay_alu instid0(VALU_DEP_1)
	s_mul_hi_u32 s36, s21, s17
	s_mul_i32 s31, s31, s17
	s_add_i32 s33, s36, s33
	s_mul_i32 s21, s21, s17
	s_add_i32 s33, s33, s31
	s_mul_hi_u32 s36, s7, s21
	s_mul_i32 s37, s7, s21
	s_mul_hi_u32 s21, s17, s21
	s_mul_hi_u32 s38, s17, s33
	s_mul_i32 s17, s17, s33
	s_mul_hi_u32 s31, s7, s33
	s_add_u32 s17, s21, s17
	s_addc_u32 s21, 0, s38
	s_add_u32 s17, s17, s37
	s_mul_i32 s33, s7, s33
	s_addc_u32 s17, s21, s36
	s_addc_u32 s21, s31, 0
	s_add_u32 s17, s17, s33
	s_addc_u32 s21, 0, s21
	v_add_co_u32 v1, s17, v1, s17
	s_delay_alu instid0(VALU_DEP_1) | instskip(SKIP_2) | instid1(VALU_DEP_1)
	s_cmp_lg_u32 s17, 0
	s_addc_u32 s7, s7, s21
	s_ashr_i32 s36, s23, 31
	v_readfirstlane_b32 s17, v1
	s_add_u32 s38, s22, s36
	s_mov_b32 s37, s36
	s_addc_u32 s39, s23, s36
	s_delay_alu instid0(SALU_CYCLE_1) | instskip(NEXT) | instid1(SALU_CYCLE_1)
	s_xor_b64 s[38:39], s[38:39], s[36:37]
	s_mul_i32 s31, s38, s7
	s_mul_hi_u32 s33, s38, s17
	s_mul_hi_u32 s21, s38, s7
	;; [unrolled: 1-line block ×3, first 2 shown]
	s_mul_i32 s17, s39, s17
	s_add_u32 s31, s33, s31
	s_addc_u32 s21, 0, s21
	s_mul_hi_u32 s40, s39, s7
	s_add_u32 s17, s31, s17
	s_mul_i32 s7, s39, s7
	s_addc_u32 s17, s21, s41
	s_addc_u32 s21, s40, 0
	s_add_u32 s7, s17, s7
	s_addc_u32 s17, 0, s21
	s_mul_hi_u32 s21, s34, s7
	s_mul_i32 s33, s34, s17
	s_mul_i32 s40, s34, s7
	s_add_i32 s21, s21, s33
	v_sub_co_u32 v1, s33, s38, s40
	s_mul_i32 s31, s35, s7
	s_delay_alu instid0(SALU_CYCLE_1) | instskip(NEXT) | instid1(VALU_DEP_1)
	s_add_i32 s21, s21, s31
	v_sub_co_u32 v2, s38, v1, s34
	s_sub_i32 s31, s39, s21
	s_cmp_lg_u32 s33, 0
	s_subb_u32 s31, s31, s35
	s_cmp_lg_u32 s38, 0
	v_readfirstlane_b32 s38, v2
	s_subb_u32 s31, s31, 0
	s_delay_alu instid0(SALU_CYCLE_1) | instskip(SKIP_1) | instid1(VALU_DEP_1)
	s_cmp_ge_u32 s31, s35
	s_cselect_b32 s40, -1, 0
	s_cmp_ge_u32 s38, s34
	s_cselect_b32 s38, -1, 0
	s_cmp_eq_u32 s31, s35
	s_cselect_b32 s31, s38, s40
	s_add_u32 s38, s7, 1
	s_addc_u32 s40, s17, 0
	s_add_u32 s41, s7, 2
	s_addc_u32 s42, s17, 0
	s_cmp_lg_u32 s31, 0
	s_cselect_b32 s31, s41, s38
	s_cselect_b32 s38, s42, s40
	s_cmp_lg_u32 s33, 0
	v_readfirstlane_b32 s33, v1
	s_subb_u32 s21, s39, s21
	s_delay_alu instid0(SALU_CYCLE_1) | instskip(SKIP_1) | instid1(VALU_DEP_1)
	s_cmp_ge_u32 s21, s35
	s_cselect_b32 s39, -1, 0
	s_cmp_ge_u32 s33, s34
	s_cselect_b32 s33, -1, 0
	s_cmp_eq_u32 s21, s35
	s_cselect_b32 s21, s33, s39
	s_delay_alu instid0(SALU_CYCLE_1) | instskip(SKIP_3) | instid1(SALU_CYCLE_1)
	s_cmp_lg_u32 s21, 0
	s_cselect_b32 s35, s38, s17
	s_cselect_b32 s34, s31, s7
	s_xor_b64 s[28:29], s[36:37], s[28:29]
	s_xor_b64 s[34:35], s[34:35], s[28:29]
	s_delay_alu instid0(SALU_CYCLE_1)
	s_sub_u32 s28, s34, s28
	s_subb_u32 s29, s35, s29
	s_and_not1_b32 vcc_lo, exec_lo, s30
	s_cbranch_vccnz .LBB39_7
.LBB39_6:
	v_cvt_f32_u32_e32 v1, s26
	s_sub_i32 s17, 0, s26
	s_mov_b32 s29, 0
	s_delay_alu instid0(VALU_DEP_1) | instskip(SKIP_2) | instid1(VALU_DEP_1)
	v_rcp_iflag_f32_e32 v1, v1
	s_waitcnt_depctr 0xfff
	v_mul_f32_e32 v1, 0x4f7ffffe, v1
	v_cvt_u32_f32_e32 v1, v1
	s_delay_alu instid0(VALU_DEP_1) | instskip(NEXT) | instid1(VALU_DEP_1)
	v_readfirstlane_b32 s7, v1
	s_mul_i32 s17, s17, s7
	s_delay_alu instid0(SALU_CYCLE_1) | instskip(NEXT) | instid1(SALU_CYCLE_1)
	s_mul_hi_u32 s17, s7, s17
	s_add_i32 s7, s7, s17
	s_delay_alu instid0(SALU_CYCLE_1) | instskip(NEXT) | instid1(SALU_CYCLE_1)
	s_mul_hi_u32 s7, s22, s7
	s_mul_i32 s17, s7, s26
	s_add_i32 s21, s7, 1
	s_sub_i32 s17, s22, s17
	s_delay_alu instid0(SALU_CYCLE_1)
	s_sub_i32 s28, s17, s26
	s_cmp_ge_u32 s17, s26
	s_cselect_b32 s7, s21, s7
	s_cselect_b32 s17, s28, s17
	s_add_i32 s21, s7, 1
	s_cmp_ge_u32 s17, s26
	s_cselect_b32 s28, s21, s7
.LBB39_7:
	s_delay_alu instid0(SALU_CYCLE_1)
	s_mul_i32 s7, s28, s27
	s_mul_hi_u32 s17, s28, s26
	s_mul_i32 s21, s28, s26
	s_add_i32 s7, s17, s7
	s_mul_i32 s17, s29, s26
	s_mul_hi_u32 s31, s28, s4
	s_add_i32 s7, s7, s17
	s_sub_u32 s17, s22, s21
	s_subb_u32 s30, s23, s7
	s_mul_i32 s33, s29, s4
	s_mul_i32 s26, s28, s4
	s_mul_hi_u32 s29, s17, s5
	s_mul_i32 s30, s30, s5
	s_mul_i32 s22, s17, s5
	s_mov_b32 s34, exec_lo
	v_cmpx_gt_i32_e64 s20, v0
	s_cbranch_execz .LBB39_10
; %bb.8:
	s_load_b32 s23, s[0:1], 0x8c
	s_lshl_b64 s[36:37], s[24:25], 1
	s_ashr_i32 s21, s20, 31
	s_ashr_i32 s27, s4, 31
	;; [unrolled: 1-line block ×4, first 2 shown]
	s_mul_i32 s9, s9, s16
	s_mul_hi_u32 s25, s8, s16
	s_mul_i32 s38, s8, s16
	v_dual_mov_b32 v7, v0 :: v_dual_lshlrev_b32 v4, 3, v0
	s_mul_i32 s27, s28, s27
	s_mul_i32 s35, s17, s35
	v_lshlrev_b32_e32 v5, 2, v0
	s_waitcnt lgkmcnt(0)
	s_and_b32 s24, s23, 0xffff
	s_add_u32 s2, s2, s36
	s_addc_u32 s23, s3, s37
	s_add_i32 s39, s25, s9
	v_add_co_u32 v1, s2, s2, v3
	s_lshl_b64 s[36:37], s[38:39], 2
	s_lshl_b32 s3, s24, 1
	s_lshl_b64 s[8:9], s[20:21], 1
	v_add_co_ci_u32_e64 v2, null, s23, 0, s2
	s_add_u32 s2, s12, s36
	s_addc_u32 s12, s13, s37
	v_add_co_u32 v3, s2, s2, v4
	s_add_i32 s13, s31, s27
	v_add_co_ci_u32_e64 v4, null, s12, 0, s2
	s_add_i32 s2, s29, s35
	s_add_i32 s27, s13, s33
	;; [unrolled: 1-line block ×3, first 2 shown]
	s_lshl_b64 s[36:37], s[26:27], 1
	s_lshl_b64 s[38:39], s[22:23], 1
	s_lshl_b32 s12, s24, 3
	s_add_u32 s2, s36, s38
	s_addc_u32 s13, s37, s39
	s_lshl_b64 s[36:37], s[6:7], 1
	v_add_co_u32 v3, vcc_lo, v3, 4
	s_add_u32 s7, s18, s36
	s_addc_u32 s21, s19, s37
	s_add_u32 s2, s7, s2
	s_addc_u32 s7, s21, s13
	v_add_co_u32 v5, s2, s2, v5
	v_add_co_ci_u32_e32 v4, vcc_lo, 0, v4, vcc_lo
	v_add_co_ci_u32_e64 v6, null, s7, 0, s2
	s_mov_b32 s7, 0
	s_lshl_b32 s13, s24, 2
	s_set_inst_prefetch_distance 0x1
	.p2align	6
.LBB39_9:                               ; =>This Inner Loop Header: Depth=1
	v_add_co_u32 v8, vcc_lo, v1, s8
	v_add_co_ci_u32_e32 v9, vcc_lo, s9, v2, vcc_lo
	s_clause 0x1
	global_load_u16 v10, v[1:2], off
	global_load_u16 v11, v[8:9], off
	global_load_b64 v[8:9], v[3:4], off offset:-4
	v_add_co_u32 v1, vcc_lo, v1, s3
	v_add_co_ci_u32_e32 v2, vcc_lo, 0, v2, vcc_lo
	s_waitcnt vmcnt(2)
	v_cvt_f32_f16_e32 v12, v10
	s_waitcnt vmcnt(1)
	v_cvt_f32_f16_e32 v13, v11
	s_waitcnt vmcnt(0)
	s_delay_alu instid0(VALU_DEP_2) | instskip(NEXT) | instid1(VALU_DEP_2)
	v_dual_mul_f32 v12, v9, v12 :: v_dual_add_nc_u32 v7, s24, v7
	v_mul_f32_e32 v13, v9, v13
	s_delay_alu instid0(VALU_DEP_2) | instskip(NEXT) | instid1(VALU_DEP_3)
	v_cmp_le_i32_e32 vcc_lo, s20, v7
	v_fma_mix_f32 v9, v8, v11, v12 op_sel_hi:[0,1,0]
	s_delay_alu instid0(VALU_DEP_3) | instskip(SKIP_4) | instid1(VALU_DEP_1)
	v_fma_mix_f32 v8, v8, v10, -v13 op_sel_hi:[0,1,0]
	s_or_b32 s7, vcc_lo, s7
	global_store_b64 v[3:4], v[8:9], off offset:-4
	v_perm_b32 v8, v9, v8, 0x5040100
	v_add_co_u32 v3, s2, v3, s12
	v_add_co_ci_u32_e64 v4, s2, 0, v4, s2
	global_store_b32 v[5:6], v8, off
	v_add_co_u32 v5, s2, v5, s13
	s_delay_alu instid0(VALU_DEP_1)
	v_add_co_ci_u32_e64 v6, s2, 0, v6, s2
	s_and_not1_b32 exec_lo, exec_lo, s7
	s_cbranch_execnz .LBB39_9
.LBB39_10:
	s_set_inst_prefetch_distance 0x2
	s_or_b32 exec_lo, exec_lo, s34
	s_delay_alu instid0(SALU_CYCLE_1)
	s_mov_b32 s2, exec_lo
	v_cmpx_gt_i32_e64 s6, v0
	s_cbranch_execz .LBB39_13
; %bb.11:
	s_mul_i32 s3, s16, s11
	s_mul_hi_u32 s7, s16, s10
	s_mul_i32 s2, s16, s10
	s_add_i32 s3, s7, s3
	s_load_b32 s7, s[0:1], 0x8c
	s_lshl_b64 s[2:3], s[2:3], 2
	s_delay_alu instid0(SALU_CYCLE_1) | instskip(SKIP_2) | instid1(SALU_CYCLE_1)
	s_add_u32 s2, s14, s2
	s_addc_u32 s3, s15, s3
	s_ashr_i32 s4, s4, 31
	s_mul_i32 s4, s28, s4
	s_delay_alu instid0(SALU_CYCLE_1) | instskip(NEXT) | instid1(SALU_CYCLE_1)
	s_add_i32 s0, s31, s4
	s_add_i32 s27, s0, s33
	s_delay_alu instid0(SALU_CYCLE_1) | instskip(NEXT) | instid1(SALU_CYCLE_1)
	s_lshl_b64 s[0:1], s[26:27], 1
	s_add_u32 s0, s18, s0
	s_addc_u32 s8, s19, s1
	s_ashr_i32 s1, s5, 31
	s_delay_alu instid0(SALU_CYCLE_1) | instskip(NEXT) | instid1(SALU_CYCLE_1)
	s_mul_i32 s17, s17, s1
	s_add_i32 s1, s29, s17
	s_delay_alu instid0(SALU_CYCLE_1) | instskip(NEXT) | instid1(SALU_CYCLE_1)
	s_add_i32 s23, s1, s30
	s_lshl_b64 s[4:5], s[22:23], 1
	s_delay_alu instid0(SALU_CYCLE_1)
	s_add_u32 s1, s0, s4
	s_addc_u32 s4, s8, s5
	s_waitcnt lgkmcnt(0)
	s_and_b32 s5, s7, 0xffff
	s_mov_b32 s7, 0
	.p2align	6
.LBB39_12:                              ; =>This Inner Loop Header: Depth=1
	v_ashrrev_i32_e32 v1, 31, v0
	s_delay_alu instid0(VALU_DEP_1) | instskip(NEXT) | instid1(VALU_DEP_1)
	v_lshlrev_b64 v[2:3], 2, v[0:1]
	v_add_co_u32 v2, vcc_lo, s2, v2
	s_delay_alu instid0(VALU_DEP_2) | instskip(SKIP_3) | instid1(VALU_DEP_1)
	v_add_co_ci_u32_e32 v3, vcc_lo, s3, v3, vcc_lo
	global_load_u16 v3, v[2:3], off
	v_lshlrev_b64 v[1:2], 1, v[0:1]
	v_add_nc_u32_e32 v0, s5, v0
	v_cmp_le_i32_e32 vcc_lo, s6, v0
	s_delay_alu instid0(VALU_DEP_3) | instskip(NEXT) | instid1(VALU_DEP_1)
	v_add_co_u32 v1, s0, s1, v1
	v_add_co_ci_u32_e64 v2, s0, s4, v2, s0
	s_or_b32 s7, vcc_lo, s7
	s_waitcnt vmcnt(0)
	global_store_b16 v[1:2], v3, off
	s_and_not1_b32 exec_lo, exec_lo, s7
	s_cbranch_execnz .LBB39_12
.LBB39_13:
	s_nop 0
	s_sendmsg sendmsg(MSG_DEALLOC_VGPRS)
	s_endpgm
.LBB39_14:
                                        ; implicit-def: $sgpr28_sgpr29
	s_branch .LBB39_6
	.section	.rodata,"a",@progbits
	.p2align	6, 0x0
	.amdhsa_kernel _ZN4vllm38concat_and_cache_mla_rope_fused_kernelIfN3c104HalfELb0E14__hip_bfloat16S3_LNS_18Fp8KVCacheDataTypeE0EEEvPKlPT_S8_PKS7_PKT0_illlliPT3_S6_iiiiPKf
		.amdhsa_group_segment_fixed_size 0
		.amdhsa_private_segment_fixed_size 0
		.amdhsa_kernarg_size 384
		.amdhsa_user_sgpr_count 15
		.amdhsa_user_sgpr_dispatch_ptr 0
		.amdhsa_user_sgpr_queue_ptr 0
		.amdhsa_user_sgpr_kernarg_segment_ptr 1
		.amdhsa_user_sgpr_dispatch_id 0
		.amdhsa_user_sgpr_private_segment_size 0
		.amdhsa_wavefront_size32 1
		.amdhsa_uses_dynamic_stack 0
		.amdhsa_enable_private_segment 0
		.amdhsa_system_sgpr_workgroup_id_x 1
		.amdhsa_system_sgpr_workgroup_id_y 0
		.amdhsa_system_sgpr_workgroup_id_z 0
		.amdhsa_system_sgpr_workgroup_info 0
		.amdhsa_system_vgpr_workitem_id 0
		.amdhsa_next_free_vgpr 14
		.amdhsa_next_free_sgpr 43
		.amdhsa_reserve_vcc 1
		.amdhsa_float_round_mode_32 0
		.amdhsa_float_round_mode_16_64 0
		.amdhsa_float_denorm_mode_32 3
		.amdhsa_float_denorm_mode_16_64 3
		.amdhsa_dx10_clamp 1
		.amdhsa_ieee_mode 1
		.amdhsa_fp16_overflow 0
		.amdhsa_workgroup_processor_mode 1
		.amdhsa_memory_ordered 1
		.amdhsa_forward_progress 0
		.amdhsa_shared_vgpr_count 0
		.amdhsa_exception_fp_ieee_invalid_op 0
		.amdhsa_exception_fp_denorm_src 0
		.amdhsa_exception_fp_ieee_div_zero 0
		.amdhsa_exception_fp_ieee_overflow 0
		.amdhsa_exception_fp_ieee_underflow 0
		.amdhsa_exception_fp_ieee_inexact 0
		.amdhsa_exception_int_div_zero 0
	.end_amdhsa_kernel
	.section	.text._ZN4vllm38concat_and_cache_mla_rope_fused_kernelIfN3c104HalfELb0E14__hip_bfloat16S3_LNS_18Fp8KVCacheDataTypeE0EEEvPKlPT_S8_PKS7_PKT0_illlliPT3_S6_iiiiPKf,"axG",@progbits,_ZN4vllm38concat_and_cache_mla_rope_fused_kernelIfN3c104HalfELb0E14__hip_bfloat16S3_LNS_18Fp8KVCacheDataTypeE0EEEvPKlPT_S8_PKS7_PKT0_illlliPT3_S6_iiiiPKf,comdat
.Lfunc_end39:
	.size	_ZN4vllm38concat_and_cache_mla_rope_fused_kernelIfN3c104HalfELb0E14__hip_bfloat16S3_LNS_18Fp8KVCacheDataTypeE0EEEvPKlPT_S8_PKS7_PKT0_illlliPT3_S6_iiiiPKf, .Lfunc_end39-_ZN4vllm38concat_and_cache_mla_rope_fused_kernelIfN3c104HalfELb0E14__hip_bfloat16S3_LNS_18Fp8KVCacheDataTypeE0EEEvPKlPT_S8_PKS7_PKT0_illlliPT3_S6_iiiiPKf
                                        ; -- End function
	.section	.AMDGPU.csdata,"",@progbits
; Kernel info:
; codeLenInByte = 2308
; NumSgprs: 45
; NumVgprs: 14
; ScratchSize: 0
; MemoryBound: 0
; FloatMode: 240
; IeeeMode: 1
; LDSByteSize: 0 bytes/workgroup (compile time only)
; SGPRBlocks: 5
; VGPRBlocks: 1
; NumSGPRsForWavesPerEU: 45
; NumVGPRsForWavesPerEU: 14
; Occupancy: 16
; WaveLimiterHint : 1
; COMPUTE_PGM_RSRC2:SCRATCH_EN: 0
; COMPUTE_PGM_RSRC2:USER_SGPR: 15
; COMPUTE_PGM_RSRC2:TRAP_HANDLER: 0
; COMPUTE_PGM_RSRC2:TGID_X_EN: 1
; COMPUTE_PGM_RSRC2:TGID_Y_EN: 0
; COMPUTE_PGM_RSRC2:TGID_Z_EN: 0
; COMPUTE_PGM_RSRC2:TIDIG_COMP_CNT: 0
	.section	.text._ZN4vllm38concat_and_cache_mla_rope_fused_kernelIfN3c108BFloat16ELb1E14__hip_bfloat16S3_LNS_18Fp8KVCacheDataTypeE0EEEvPKlPT_S8_PKS7_PKT0_illlliPT3_S6_iiiiPKf,"axG",@progbits,_ZN4vllm38concat_and_cache_mla_rope_fused_kernelIfN3c108BFloat16ELb1E14__hip_bfloat16S3_LNS_18Fp8KVCacheDataTypeE0EEEvPKlPT_S8_PKS7_PKT0_illlliPT3_S6_iiiiPKf,comdat
	.protected	_ZN4vllm38concat_and_cache_mla_rope_fused_kernelIfN3c108BFloat16ELb1E14__hip_bfloat16S3_LNS_18Fp8KVCacheDataTypeE0EEEvPKlPT_S8_PKS7_PKT0_illlliPT3_S6_iiiiPKf ; -- Begin function _ZN4vllm38concat_and_cache_mla_rope_fused_kernelIfN3c108BFloat16ELb1E14__hip_bfloat16S3_LNS_18Fp8KVCacheDataTypeE0EEEvPKlPT_S8_PKS7_PKT0_illlliPT3_S6_iiiiPKf
	.globl	_ZN4vllm38concat_and_cache_mla_rope_fused_kernelIfN3c108BFloat16ELb1E14__hip_bfloat16S3_LNS_18Fp8KVCacheDataTypeE0EEEvPKlPT_S8_PKS7_PKT0_illlliPT3_S6_iiiiPKf
	.p2align	8
	.type	_ZN4vllm38concat_and_cache_mla_rope_fused_kernelIfN3c108BFloat16ELb1E14__hip_bfloat16S3_LNS_18Fp8KVCacheDataTypeE0EEEvPKlPT_S8_PKS7_PKT0_illlliPT3_S6_iiiiPKf,@function
_ZN4vllm38concat_and_cache_mla_rope_fused_kernelIfN3c108BFloat16ELb1E14__hip_bfloat16S3_LNS_18Fp8KVCacheDataTypeE0EEEvPKlPT_S8_PKS7_PKT0_illlliPT3_S6_iiiiPKf: ; @_ZN4vllm38concat_and_cache_mla_rope_fused_kernelIfN3c108BFloat16ELb1E14__hip_bfloat16S3_LNS_18Fp8KVCacheDataTypeE0EEEvPKlPT_S8_PKS7_PKT0_illlliPT3_S6_iiiiPKf
; %bb.0:
	s_load_b64 s[4:5], s[0:1], 0x60
	s_mov_b32 s16, s15
	s_mov_b32 s17, 0
	s_delay_alu instid0(SALU_CYCLE_1)
	s_lshl_b64 s[2:3], s[16:17], 3
	s_waitcnt lgkmcnt(0)
	s_add_u32 s4, s4, s2
	s_addc_u32 s5, s5, s3
	s_load_b64 s[24:25], s[4:5], 0x0
	s_waitcnt lgkmcnt(0)
	v_cmp_lt_i64_e64 s4, s[24:25], 0
	s_delay_alu instid0(VALU_DEP_1)
	s_and_b32 vcc_lo, exec_lo, s4
	s_cbranch_vccnz .LBB40_13
; %bb.1:
	s_clause 0x2
	s_load_b32 s26, s[0:1], 0x28
	s_load_b64 s[4:5], s[0:1], 0x0
	s_load_b128 s[12:15], s[0:1], 0x10
	s_mov_b32 s29, exec_lo
	s_waitcnt lgkmcnt(0)
	s_ashr_i32 s17, s26, 31
	s_add_u32 s2, s4, s2
	s_addc_u32 s3, s5, s3
	s_load_b64 s[20:21], s[2:3], 0x0
	s_clause 0x3
	s_load_b64 s[2:3], s[0:1], 0x20
	s_load_b32 s27, s[0:1], 0x50
	s_load_b64 s[18:19], s[0:1], 0x58
	s_load_b256 s[4:11], s[0:1], 0x30
	s_waitcnt lgkmcnt(0)
	s_mul_i32 s17, s20, s17
	s_mul_hi_u32 s22, s20, s26
	s_mul_i32 s21, s21, s26
	s_add_i32 s17, s22, s17
	s_mul_i32 s20, s20, s26
	s_add_i32 s21, s17, s21
	s_delay_alu instid0(SALU_CYCLE_1) | instskip(NEXT) | instid1(SALU_CYCLE_1)
	s_lshl_b64 s[22:23], s[20:21], 1
	s_add_u32 s17, s2, s22
	s_addc_u32 s33, s3, s23
	s_lshr_b32 s20, s26, 31
	s_delay_alu instid0(SALU_CYCLE_1) | instskip(NEXT) | instid1(SALU_CYCLE_1)
	s_add_i32 s26, s26, s20
	s_ashr_i32 s20, s26, 1
	s_delay_alu instid0(SALU_CYCLE_1) | instskip(NEXT) | instid1(SALU_CYCLE_1)
	s_mul_i32 s28, s20, s27
	v_cmpx_gt_i32_e64 s28, v0
	s_cbranch_execz .LBB40_4
; %bb.2:
	s_clause 0x1
	s_load_b64 s[26:27], s[0:1], 0x8
	s_load_b32 s36, s[0:1], 0x8c
	s_mul_i32 s5, s16, s5
	s_mul_hi_u32 s21, s16, s4
	s_mul_i32 s4, s16, s4
	s_add_i32 s5, s21, s5
	s_ashr_i32 s21, s20, 31
	s_lshl_b64 s[4:5], s[4:5], 2
	s_mov_b32 s35, 0
	s_waitcnt lgkmcnt(0)
	s_add_u32 s30, s26, s4
	s_addc_u32 s31, s27, s5
	s_abs_i32 s34, s20
	s_and_b32 s36, s36, 0xffff
	v_cvt_f32_u32_e32 v1, s34
	s_sub_i32 s4, 0, s34
	s_sub_i32 s37, 0, s20
	s_lshl_b64 s[26:27], s[20:21], 2
	s_delay_alu instid0(VALU_DEP_1) | instskip(SKIP_2) | instid1(VALU_DEP_1)
	v_rcp_iflag_f32_e32 v1, v1
	s_waitcnt_depctr 0xfff
	v_mul_f32_e32 v1, 0x4f7ffffe, v1
	v_cvt_u32_f32_e32 v1, v1
	s_delay_alu instid0(VALU_DEP_1) | instskip(SKIP_1) | instid1(VALU_DEP_1)
	v_mul_lo_u32 v2, s4, v1
	s_lshl_b64 s[4:5], s[20:21], 1
	v_mul_hi_u32 v2, v1, v2
	s_delay_alu instid0(VALU_DEP_1)
	v_dual_mov_b32 v1, v0 :: v_dual_add_nc_u32 v2, v1, v2
.LBB40_3:                               ; =>This Inner Loop Header: Depth=1
	s_delay_alu instid0(VALU_DEP_1) | instskip(SKIP_1) | instid1(VALU_DEP_2)
	v_sub_nc_u32_e32 v3, 0, v1
	v_ashrrev_i32_e32 v4, 31, v1
	v_max_i32_e32 v3, v1, v3
	s_delay_alu instid0(VALU_DEP_2) | instskip(NEXT) | instid1(VALU_DEP_2)
	v_xor_b32_e32 v4, s21, v4
	v_mul_hi_u32 v5, v3, v2
	s_delay_alu instid0(VALU_DEP_1) | instskip(SKIP_1) | instid1(VALU_DEP_2)
	v_mul_lo_u32 v6, v5, s34
	v_add_nc_u32_e32 v7, 1, v5
	v_sub_nc_u32_e32 v3, v3, v6
	s_delay_alu instid0(VALU_DEP_1) | instskip(SKIP_1) | instid1(VALU_DEP_4)
	v_subrev_nc_u32_e32 v6, s34, v3
	v_cmp_le_u32_e32 vcc_lo, s34, v3
	v_cndmask_b32_e32 v5, v5, v7, vcc_lo
	s_delay_alu instid0(VALU_DEP_1) | instskip(NEXT) | instid1(VALU_DEP_1)
	v_dual_cndmask_b32 v3, v3, v6 :: v_dual_add_nc_u32 v6, 1, v5
	v_cmp_le_u32_e32 vcc_lo, s34, v3
	s_delay_alu instid0(VALU_DEP_2) | instskip(NEXT) | instid1(VALU_DEP_1)
	v_cndmask_b32_e32 v3, v5, v6, vcc_lo
	v_xor_b32_e32 v3, v3, v4
	s_delay_alu instid0(VALU_DEP_1) | instskip(NEXT) | instid1(VALU_DEP_1)
	v_sub_nc_u32_e32 v7, v3, v4
	v_ashrrev_i32_e32 v8, 31, v7
	v_mad_u64_u32 v[3:4], null, s37, v7, v[1:2]
	v_mul_lo_u32 v9, v7, s7
	v_mad_u64_u32 v[5:6], null, v7, s6, 0
	s_delay_alu instid0(VALU_DEP_4) | instskip(SKIP_2) | instid1(VALU_DEP_3)
	v_mul_lo_u32 v7, v8, s6
	v_add_nc_u32_e32 v1, s36, v1
	v_ashrrev_i32_e32 v4, 31, v3
	v_add3_u32 v6, v6, v9, v7
	s_delay_alu instid0(VALU_DEP_2) | instskip(SKIP_1) | instid1(VALU_DEP_3)
	v_lshlrev_b64 v[7:8], 1, v[3:4]
	v_lshlrev_b64 v[3:4], 2, v[3:4]
	v_lshlrev_b64 v[5:6], 2, v[5:6]
	s_delay_alu instid0(VALU_DEP_3) | instskip(NEXT) | instid1(VALU_DEP_4)
	v_add_co_u32 v7, vcc_lo, s17, v7
	v_add_co_ci_u32_e32 v8, vcc_lo, s33, v8, vcc_lo
	s_delay_alu instid0(VALU_DEP_3) | instskip(NEXT) | instid1(VALU_DEP_4)
	v_add_co_u32 v10, vcc_lo, s30, v5
	v_add_co_ci_u32_e32 v11, vcc_lo, s31, v6, vcc_lo
	s_delay_alu instid0(VALU_DEP_4) | instskip(NEXT) | instid1(VALU_DEP_4)
	v_add_co_u32 v5, vcc_lo, v7, s4
	v_add_co_ci_u32_e32 v6, vcc_lo, s5, v8, vcc_lo
	s_delay_alu instid0(VALU_DEP_4) | instskip(NEXT) | instid1(VALU_DEP_4)
	v_add_co_u32 v3, vcc_lo, v10, v3
	v_add_co_ci_u32_e32 v4, vcc_lo, v11, v4, vcc_lo
	s_clause 0x1
	global_load_u16 v9, v[7:8], off
	global_load_u16 v7, v[5:6], off
	v_add_co_u32 v5, vcc_lo, v3, s26
	v_add_co_ci_u32_e32 v6, vcc_lo, s27, v4, vcc_lo
	s_clause 0x1
	global_load_b32 v8, v[3:4], off
	global_load_b32 v10, v[5:6], off
	v_cmp_le_i32_e32 vcc_lo, s28, v1
	s_or_b32 s35, vcc_lo, s35
	s_waitcnt vmcnt(3)
	v_lshlrev_b32_e32 v9, 16, v9
	s_waitcnt vmcnt(2)
	v_lshlrev_b32_e32 v7, 16, v7
	s_waitcnt vmcnt(1)
	s_delay_alu instid0(VALU_DEP_1) | instskip(SKIP_2) | instid1(VALU_DEP_2)
	v_mul_f32_e32 v11, v8, v7
	s_waitcnt vmcnt(0)
	v_mul_f32_e32 v7, v10, v7
	v_fmac_f32_e32 v11, v10, v9
	s_delay_alu instid0(VALU_DEP_2)
	v_fma_f32 v7, v8, v9, -v7
	s_clause 0x1
	global_store_b32 v[3:4], v7, off
	global_store_b32 v[5:6], v11, off
	s_and_not1_b32 exec_lo, exec_lo, s35
	s_cbranch_execnz .LBB40_3
.LBB40_4:
	s_or_b32 exec_lo, exec_lo, s29
	s_load_b128 s[4:7], s[0:1], 0x68
	s_waitcnt lgkmcnt(0)
	s_ashr_i32 s29, s7, 31
	s_mov_b32 s28, s7
	s_delay_alu instid0(SALU_CYCLE_1) | instskip(SKIP_1) | instid1(SALU_CYCLE_1)
	s_or_b64 s[30:31], s[24:25], s[28:29]
	s_mov_b32 s30, 0
	s_cmp_lg_u64 s[30:31], 0
	s_cbranch_scc0 .LBB40_14
; %bb.5:
	s_add_u32 s34, s28, s29
	s_mov_b32 s26, s29
	s_mov_b32 s27, s29
	s_addc_u32 s35, s29, s29
	s_delay_alu instid0(SALU_CYCLE_1) | instskip(NEXT) | instid1(SALU_CYCLE_1)
	s_xor_b64 s[34:35], s[34:35], s[26:27]
	v_cvt_f32_u32_e32 v1, s34
	v_cvt_f32_u32_e32 v2, s35
	s_sub_u32 s31, 0, s34
	s_subb_u32 s36, 0, s35
	s_delay_alu instid0(VALU_DEP_1) | instskip(NEXT) | instid1(VALU_DEP_1)
	v_fmamk_f32 v1, v2, 0x4f800000, v1
	v_rcp_f32_e32 v1, v1
	s_waitcnt_depctr 0xfff
	v_mul_f32_e32 v1, 0x5f7ffffc, v1
	s_delay_alu instid0(VALU_DEP_1) | instskip(NEXT) | instid1(VALU_DEP_1)
	v_mul_f32_e32 v2, 0x2f800000, v1
	v_trunc_f32_e32 v2, v2
	s_delay_alu instid0(VALU_DEP_1) | instskip(SKIP_1) | instid1(VALU_DEP_2)
	v_fmamk_f32 v1, v2, 0xcf800000, v1
	v_cvt_u32_f32_e32 v2, v2
	v_cvt_u32_f32_e32 v1, v1
	s_delay_alu instid0(VALU_DEP_2) | instskip(NEXT) | instid1(VALU_DEP_2)
	v_readfirstlane_b32 s7, v2
	v_readfirstlane_b32 s21, v1
	s_delay_alu instid0(VALU_DEP_2) | instskip(NEXT) | instid1(VALU_DEP_1)
	s_mul_i32 s37, s31, s7
	s_mul_hi_u32 s39, s31, s21
	s_mul_i32 s38, s36, s21
	s_add_i32 s37, s39, s37
	s_mul_i32 s40, s31, s21
	s_add_i32 s37, s37, s38
	s_mul_hi_u32 s39, s21, s40
	s_mul_hi_u32 s41, s7, s40
	s_mul_i32 s38, s7, s40
	s_mul_hi_u32 s40, s21, s37
	s_mul_i32 s21, s21, s37
	s_mul_hi_u32 s42, s7, s37
	s_add_u32 s21, s39, s21
	s_addc_u32 s39, 0, s40
	s_add_u32 s21, s21, s38
	s_mul_i32 s37, s7, s37
	s_addc_u32 s21, s39, s41
	s_addc_u32 s38, s42, 0
	s_add_u32 s21, s21, s37
	s_addc_u32 s37, 0, s38
	v_add_co_u32 v1, s21, v1, s21
	s_delay_alu instid0(VALU_DEP_1) | instskip(SKIP_1) | instid1(VALU_DEP_1)
	s_cmp_lg_u32 s21, 0
	s_addc_u32 s7, s7, s37
	v_readfirstlane_b32 s21, v1
	s_mul_i32 s37, s31, s7
	s_delay_alu instid0(VALU_DEP_1)
	s_mul_hi_u32 s38, s31, s21
	s_mul_i32 s36, s36, s21
	s_add_i32 s37, s38, s37
	s_mul_i32 s31, s31, s21
	s_add_i32 s37, s37, s36
	s_mul_hi_u32 s38, s7, s31
	s_mul_i32 s39, s7, s31
	s_mul_hi_u32 s31, s21, s31
	s_mul_hi_u32 s40, s21, s37
	s_mul_i32 s21, s21, s37
	s_mul_hi_u32 s36, s7, s37
	s_add_u32 s21, s31, s21
	s_addc_u32 s31, 0, s40
	s_add_u32 s21, s21, s39
	s_mul_i32 s37, s7, s37
	s_addc_u32 s21, s31, s38
	s_addc_u32 s31, s36, 0
	s_add_u32 s21, s21, s37
	s_addc_u32 s31, 0, s31
	v_add_co_u32 v1, s21, v1, s21
	s_delay_alu instid0(VALU_DEP_1) | instskip(SKIP_2) | instid1(VALU_DEP_1)
	s_cmp_lg_u32 s21, 0
	s_addc_u32 s7, s7, s31
	s_ashr_i32 s36, s25, 31
	v_readfirstlane_b32 s21, v1
	s_add_u32 s38, s24, s36
	s_mov_b32 s37, s36
	s_addc_u32 s39, s25, s36
	s_delay_alu instid0(SALU_CYCLE_1) | instskip(NEXT) | instid1(SALU_CYCLE_1)
	s_xor_b64 s[38:39], s[38:39], s[36:37]
	s_mul_i32 s40, s38, s7
	s_mul_hi_u32 s41, s38, s21
	s_mul_hi_u32 s31, s38, s7
	;; [unrolled: 1-line block ×3, first 2 shown]
	s_mul_i32 s21, s39, s21
	s_add_u32 s40, s41, s40
	s_addc_u32 s31, 0, s31
	s_mul_hi_u32 s42, s39, s7
	s_add_u32 s21, s40, s21
	s_mul_i32 s7, s39, s7
	s_addc_u32 s21, s31, s43
	s_addc_u32 s31, s42, 0
	s_add_u32 s7, s21, s7
	s_addc_u32 s21, 0, s31
	s_mul_i32 s42, s34, s7
	s_mul_hi_u32 s31, s34, s7
	s_mul_i32 s41, s34, s21
	v_sub_co_u32 v1, s38, s38, s42
	s_mul_i32 s40, s35, s7
	s_add_i32 s31, s31, s41
	s_delay_alu instid0(SALU_CYCLE_1) | instskip(NEXT) | instid1(VALU_DEP_1)
	s_add_i32 s31, s31, s40
	v_sub_co_u32 v2, s41, v1, s34
	s_sub_i32 s40, s39, s31
	s_cmp_lg_u32 s38, 0
	s_subb_u32 s40, s40, s35
	s_cmp_lg_u32 s41, 0
	v_readfirstlane_b32 s41, v2
	s_subb_u32 s40, s40, 0
	s_delay_alu instid0(SALU_CYCLE_1) | instskip(SKIP_1) | instid1(VALU_DEP_1)
	s_cmp_ge_u32 s40, s35
	s_cselect_b32 s42, -1, 0
	s_cmp_ge_u32 s41, s34
	s_cselect_b32 s41, -1, 0
	s_cmp_eq_u32 s40, s35
	s_cselect_b32 s40, s41, s42
	s_add_u32 s41, s7, 1
	s_addc_u32 s42, s21, 0
	s_add_u32 s43, s7, 2
	s_addc_u32 s44, s21, 0
	s_cmp_lg_u32 s40, 0
	s_cselect_b32 s40, s43, s41
	s_cselect_b32 s41, s44, s42
	s_cmp_lg_u32 s38, 0
	v_readfirstlane_b32 s38, v1
	s_subb_u32 s31, s39, s31
	s_delay_alu instid0(SALU_CYCLE_1) | instskip(SKIP_1) | instid1(VALU_DEP_1)
	s_cmp_ge_u32 s31, s35
	s_cselect_b32 s39, -1, 0
	s_cmp_ge_u32 s38, s34
	s_cselect_b32 s34, -1, 0
	s_cmp_eq_u32 s31, s35
	s_cselect_b32 s31, s34, s39
	s_delay_alu instid0(SALU_CYCLE_1) | instskip(SKIP_3) | instid1(SALU_CYCLE_1)
	s_cmp_lg_u32 s31, 0
	s_cselect_b32 s35, s41, s21
	s_cselect_b32 s34, s40, s7
	s_xor_b64 s[26:27], s[36:37], s[26:27]
	s_xor_b64 s[34:35], s[34:35], s[26:27]
	s_delay_alu instid0(SALU_CYCLE_1)
	s_sub_u32 s26, s34, s26
	s_subb_u32 s27, s35, s27
	s_and_not1_b32 vcc_lo, exec_lo, s30
	s_cbranch_vccnz .LBB40_7
.LBB40_6:
	v_cvt_f32_u32_e32 v1, s28
	s_sub_i32 s21, 0, s28
	s_delay_alu instid0(VALU_DEP_1) | instskip(SKIP_2) | instid1(VALU_DEP_1)
	v_rcp_iflag_f32_e32 v1, v1
	s_waitcnt_depctr 0xfff
	v_mul_f32_e32 v1, 0x4f7ffffe, v1
	v_cvt_u32_f32_e32 v1, v1
	s_delay_alu instid0(VALU_DEP_1) | instskip(NEXT) | instid1(VALU_DEP_1)
	v_readfirstlane_b32 s7, v1
	s_mul_i32 s21, s21, s7
	s_delay_alu instid0(SALU_CYCLE_1) | instskip(NEXT) | instid1(SALU_CYCLE_1)
	s_mul_hi_u32 s21, s7, s21
	s_add_i32 s7, s7, s21
	s_delay_alu instid0(SALU_CYCLE_1) | instskip(NEXT) | instid1(SALU_CYCLE_1)
	s_mul_hi_u32 s7, s24, s7
	s_mul_i32 s21, s7, s28
	s_add_i32 s26, s7, 1
	s_sub_i32 s21, s24, s21
	s_delay_alu instid0(SALU_CYCLE_1)
	s_sub_i32 s27, s21, s28
	s_cmp_ge_u32 s21, s28
	s_cselect_b32 s7, s26, s7
	s_cselect_b32 s21, s27, s21
	s_add_i32 s26, s7, 1
	s_cmp_ge_u32 s21, s28
	s_mov_b32 s27, 0
	s_cselect_b32 s26, s26, s7
.LBB40_7:
	s_delay_alu instid0(SALU_CYCLE_1)
	s_mul_i32 s7, s26, s29
	s_mul_hi_u32 s21, s26, s28
	s_mul_hi_u32 s34, s26, s4
	s_add_i32 s7, s21, s7
	s_mul_i32 s21, s27, s28
	s_mul_i32 s28, s26, s28
	s_add_i32 s7, s7, s21
	s_sub_u32 s30, s24, s28
	s_subb_u32 s31, s25, s7
	s_mul_i32 s35, s27, s4
	s_mul_i32 s28, s26, s4
	s_mul_hi_u32 s27, s30, s5
	s_mul_i32 s31, s31, s5
	s_mul_i32 s24, s30, s5
	s_mov_b32 s36, exec_lo
	v_cmpx_gt_i32_e64 s20, v0
	s_cbranch_execz .LBB40_10
; %bb.8:
	s_load_b32 s37, s[0:1], 0x8c
	s_ashr_i32 s7, s4, 31
	s_ashr_i32 s21, s5, 31
	s_mul_i32 s7, s26, s7
	s_mul_i32 s21, s30, s21
	s_add_i32 s7, s34, s7
	s_add_i32 s21, s27, s21
	;; [unrolled: 1-line block ×4, first 2 shown]
	s_lshl_b64 s[38:39], s[28:29], 1
	s_lshl_b64 s[40:41], s[24:25], 1
	s_ashr_i32 s21, s20, 31
	s_add_u32 s44, s38, s40
	s_addc_u32 s45, s39, s41
	s_add_u32 s25, s44, s18
	s_addc_u32 s29, s45, s19
	s_ashr_i32 s7, s6, 31
	v_lshlrev_b32_e32 v1, 2, v0
	s_lshl_b64 s[38:39], s[6:7], 1
	v_dual_mov_b32 v4, v0 :: v_dual_lshlrev_b32 v3, 1, v0
	s_add_u32 s7, s25, s38
	s_addc_u32 s25, s29, s39
	s_waitcnt lgkmcnt(0)
	s_and_b32 s29, s37, 0xffff
	s_lshl_b64 s[40:41], s[20:21], 1
	s_lshl_b32 s37, s29, 1
	s_add_u32 s22, s22, s40
	s_addc_u32 s23, s23, s41
	s_add_u32 s22, s2, s22
	s_mul_i32 s2, s9, s16
	s_mul_hi_u32 s9, s8, s16
	s_addc_u32 s3, s3, s23
	s_add_i32 s9, s9, s2
	s_mul_i32 s8, s8, s16
	s_mov_b32 s23, 0
	s_lshl_b64 s[42:43], s[8:9], 2
	s_lshl_b64 s[8:9], s[20:21], 2
	s_add_u32 s2, s12, s42
	s_addc_u32 s12, s13, s43
	v_add_co_u32 v1, s2, s2, v1
	s_delay_alu instid0(VALU_DEP_1)
	v_add_co_ci_u32_e64 v2, null, s12, 0, s2
	s_lshl_b32 s12, s29, 2
	s_add_u32 s2, s44, s40
	s_addc_u32 s13, s45, s41
	s_add_u32 s2, s2, s38
	s_addc_u32 s21, s13, s39
	;; [unrolled: 2-line block ×3, first 2 shown]
.LBB40_9:                               ; =>This Inner Loop Header: Depth=1
	v_add_co_u32 v5, s2, s17, v3
	s_delay_alu instid0(VALU_DEP_1) | instskip(SKIP_1) | instid1(VALU_DEP_1)
	v_add_co_ci_u32_e64 v6, null, s33, 0, s2
	v_add_co_u32 v7, s2, s22, v3
	v_add_co_ci_u32_e64 v8, null, s3, 0, s2
	v_add_co_u32 v9, vcc_lo, v1, s8
	v_add_co_ci_u32_e32 v10, vcc_lo, s9, v2, vcc_lo
	global_load_b32 v11, v[1:2], off
	global_load_u16 v12, v[7:8], off
	global_load_u16 v13, v[5:6], off
	global_load_b32 v14, v[9:10], off
	v_add_nc_u32_e32 v4, s29, v4
	v_add_co_u32 v5, s2, s7, v3
	s_add_u32 s17, s17, s37
	v_add_co_ci_u32_e64 v6, null, s25, 0, s2
	v_add_co_u32 v7, s2, s13, v3
	s_addc_u32 s33, s33, 0
	s_add_u32 s22, s22, s37
	v_add_co_ci_u32_e64 v8, null, s21, 0, s2
	s_addc_u32 s3, s3, 0
	v_cmp_le_i32_e32 vcc_lo, s20, v4
	s_add_u32 s13, s13, s37
	s_addc_u32 s21, s21, 0
	s_add_u32 s7, s7, s37
	s_addc_u32 s25, s25, 0
	s_or_b32 s23, vcc_lo, s23
	s_waitcnt vmcnt(2)
	v_lshlrev_b32_e32 v12, 16, v12
	s_waitcnt vmcnt(1)
	v_lshlrev_b32_e32 v13, 16, v13
	s_waitcnt vmcnt(0)
	s_delay_alu instid0(VALU_DEP_2) | instskip(SKIP_1) | instid1(VALU_DEP_2)
	v_mul_f32_e32 v15, v14, v12
	v_mul_f32_e32 v12, v11, v12
	v_fma_f32 v11, v11, v13, -v15
	s_delay_alu instid0(VALU_DEP_2) | instskip(SKIP_2) | instid1(VALU_DEP_1)
	v_fmac_f32_e32 v12, v14, v13
	global_store_b32 v[1:2], v11, off
	v_add_co_u32 v1, s2, v1, s12
	v_add_co_ci_u32_e64 v2, s2, 0, v2, s2
	global_store_b32 v[9:10], v12, off
	global_store_b16 v[5:6], v11, off
	global_store_b16 v[7:8], v12, off
	s_and_not1_b32 exec_lo, exec_lo, s23
	s_cbranch_execnz .LBB40_9
.LBB40_10:
	s_or_b32 exec_lo, exec_lo, s36
	s_delay_alu instid0(SALU_CYCLE_1)
	s_mov_b32 s2, exec_lo
	v_cmpx_gt_i32_e64 s6, v0
	s_cbranch_execz .LBB40_13
; %bb.11:
	s_mul_i32 s3, s16, s11
	s_mul_hi_u32 s7, s16, s10
	s_mul_i32 s2, s16, s10
	s_add_i32 s3, s7, s3
	s_load_b32 s7, s[0:1], 0x8c
	s_lshl_b64 s[2:3], s[2:3], 2
	s_delay_alu instid0(SALU_CYCLE_1) | instskip(SKIP_2) | instid1(SALU_CYCLE_1)
	s_add_u32 s2, s14, s2
	s_addc_u32 s3, s15, s3
	s_ashr_i32 s4, s4, 31
	s_mul_i32 s4, s26, s4
	s_delay_alu instid0(SALU_CYCLE_1) | instskip(NEXT) | instid1(SALU_CYCLE_1)
	s_add_i32 s0, s34, s4
	s_add_i32 s29, s0, s35
	s_delay_alu instid0(SALU_CYCLE_1) | instskip(NEXT) | instid1(SALU_CYCLE_1)
	s_lshl_b64 s[0:1], s[28:29], 1
	s_add_u32 s0, s18, s0
	s_addc_u32 s8, s19, s1
	s_ashr_i32 s1, s5, 31
	s_delay_alu instid0(SALU_CYCLE_1) | instskip(NEXT) | instid1(SALU_CYCLE_1)
	s_mul_i32 s30, s30, s1
	s_add_i32 s1, s27, s30
	s_delay_alu instid0(SALU_CYCLE_1) | instskip(NEXT) | instid1(SALU_CYCLE_1)
	s_add_i32 s25, s1, s31
	s_lshl_b64 s[4:5], s[24:25], 1
	s_delay_alu instid0(SALU_CYCLE_1)
	s_add_u32 s1, s0, s4
	s_addc_u32 s4, s8, s5
	s_waitcnt lgkmcnt(0)
	s_and_b32 s5, s7, 0xffff
	s_mov_b32 s7, 0
	.p2align	6
.LBB40_12:                              ; =>This Inner Loop Header: Depth=1
	v_ashrrev_i32_e32 v1, 31, v0
	s_delay_alu instid0(VALU_DEP_1) | instskip(NEXT) | instid1(VALU_DEP_1)
	v_lshlrev_b64 v[2:3], 2, v[0:1]
	v_add_co_u32 v2, vcc_lo, s2, v2
	s_delay_alu instid0(VALU_DEP_2) | instskip(SKIP_3) | instid1(VALU_DEP_1)
	v_add_co_ci_u32_e32 v3, vcc_lo, s3, v3, vcc_lo
	global_load_u16 v3, v[2:3], off
	v_lshlrev_b64 v[1:2], 1, v[0:1]
	v_add_nc_u32_e32 v0, s5, v0
	v_cmp_le_i32_e32 vcc_lo, s6, v0
	s_delay_alu instid0(VALU_DEP_3) | instskip(NEXT) | instid1(VALU_DEP_1)
	v_add_co_u32 v1, s0, s1, v1
	v_add_co_ci_u32_e64 v2, s0, s4, v2, s0
	s_or_b32 s7, vcc_lo, s7
	s_waitcnt vmcnt(0)
	global_store_b16 v[1:2], v3, off
	s_and_not1_b32 exec_lo, exec_lo, s7
	s_cbranch_execnz .LBB40_12
.LBB40_13:
	s_nop 0
	s_sendmsg sendmsg(MSG_DEALLOC_VGPRS)
	s_endpgm
.LBB40_14:
                                        ; implicit-def: $sgpr26_sgpr27
	s_branch .LBB40_6
	.section	.rodata,"a",@progbits
	.p2align	6, 0x0
	.amdhsa_kernel _ZN4vllm38concat_and_cache_mla_rope_fused_kernelIfN3c108BFloat16ELb1E14__hip_bfloat16S3_LNS_18Fp8KVCacheDataTypeE0EEEvPKlPT_S8_PKS7_PKT0_illlliPT3_S6_iiiiPKf
		.amdhsa_group_segment_fixed_size 0
		.amdhsa_private_segment_fixed_size 0
		.amdhsa_kernarg_size 384
		.amdhsa_user_sgpr_count 15
		.amdhsa_user_sgpr_dispatch_ptr 0
		.amdhsa_user_sgpr_queue_ptr 0
		.amdhsa_user_sgpr_kernarg_segment_ptr 1
		.amdhsa_user_sgpr_dispatch_id 0
		.amdhsa_user_sgpr_private_segment_size 0
		.amdhsa_wavefront_size32 1
		.amdhsa_uses_dynamic_stack 0
		.amdhsa_enable_private_segment 0
		.amdhsa_system_sgpr_workgroup_id_x 1
		.amdhsa_system_sgpr_workgroup_id_y 0
		.amdhsa_system_sgpr_workgroup_id_z 0
		.amdhsa_system_sgpr_workgroup_info 0
		.amdhsa_system_vgpr_workitem_id 0
		.amdhsa_next_free_vgpr 16
		.amdhsa_next_free_sgpr 46
		.amdhsa_reserve_vcc 1
		.amdhsa_float_round_mode_32 0
		.amdhsa_float_round_mode_16_64 0
		.amdhsa_float_denorm_mode_32 3
		.amdhsa_float_denorm_mode_16_64 3
		.amdhsa_dx10_clamp 1
		.amdhsa_ieee_mode 1
		.amdhsa_fp16_overflow 0
		.amdhsa_workgroup_processor_mode 1
		.amdhsa_memory_ordered 1
		.amdhsa_forward_progress 0
		.amdhsa_shared_vgpr_count 0
		.amdhsa_exception_fp_ieee_invalid_op 0
		.amdhsa_exception_fp_denorm_src 0
		.amdhsa_exception_fp_ieee_div_zero 0
		.amdhsa_exception_fp_ieee_overflow 0
		.amdhsa_exception_fp_ieee_underflow 0
		.amdhsa_exception_fp_ieee_inexact 0
		.amdhsa_exception_int_div_zero 0
	.end_amdhsa_kernel
	.section	.text._ZN4vllm38concat_and_cache_mla_rope_fused_kernelIfN3c108BFloat16ELb1E14__hip_bfloat16S3_LNS_18Fp8KVCacheDataTypeE0EEEvPKlPT_S8_PKS7_PKT0_illlliPT3_S6_iiiiPKf,"axG",@progbits,_ZN4vllm38concat_and_cache_mla_rope_fused_kernelIfN3c108BFloat16ELb1E14__hip_bfloat16S3_LNS_18Fp8KVCacheDataTypeE0EEEvPKlPT_S8_PKS7_PKT0_illlliPT3_S6_iiiiPKf,comdat
.Lfunc_end40:
	.size	_ZN4vllm38concat_and_cache_mla_rope_fused_kernelIfN3c108BFloat16ELb1E14__hip_bfloat16S3_LNS_18Fp8KVCacheDataTypeE0EEEvPKlPT_S8_PKS7_PKT0_illlliPT3_S6_iiiiPKf, .Lfunc_end40-_ZN4vllm38concat_and_cache_mla_rope_fused_kernelIfN3c108BFloat16ELb1E14__hip_bfloat16S3_LNS_18Fp8KVCacheDataTypeE0EEEvPKlPT_S8_PKS7_PKT0_illlliPT3_S6_iiiiPKf
                                        ; -- End function
	.section	.AMDGPU.csdata,"",@progbits
; Kernel info:
; codeLenInByte = 2380
; NumSgprs: 48
; NumVgprs: 16
; ScratchSize: 0
; MemoryBound: 0
; FloatMode: 240
; IeeeMode: 1
; LDSByteSize: 0 bytes/workgroup (compile time only)
; SGPRBlocks: 5
; VGPRBlocks: 1
; NumSGPRsForWavesPerEU: 48
; NumVGPRsForWavesPerEU: 16
; Occupancy: 16
; WaveLimiterHint : 1
; COMPUTE_PGM_RSRC2:SCRATCH_EN: 0
; COMPUTE_PGM_RSRC2:USER_SGPR: 15
; COMPUTE_PGM_RSRC2:TRAP_HANDLER: 0
; COMPUTE_PGM_RSRC2:TGID_X_EN: 1
; COMPUTE_PGM_RSRC2:TGID_Y_EN: 0
; COMPUTE_PGM_RSRC2:TGID_Z_EN: 0
; COMPUTE_PGM_RSRC2:TIDIG_COMP_CNT: 0
	.section	.text._ZN4vllm38concat_and_cache_mla_rope_fused_kernelIfN3c108BFloat16ELb0E14__hip_bfloat16S3_LNS_18Fp8KVCacheDataTypeE0EEEvPKlPT_S8_PKS7_PKT0_illlliPT3_S6_iiiiPKf,"axG",@progbits,_ZN4vllm38concat_and_cache_mla_rope_fused_kernelIfN3c108BFloat16ELb0E14__hip_bfloat16S3_LNS_18Fp8KVCacheDataTypeE0EEEvPKlPT_S8_PKS7_PKT0_illlliPT3_S6_iiiiPKf,comdat
	.protected	_ZN4vllm38concat_and_cache_mla_rope_fused_kernelIfN3c108BFloat16ELb0E14__hip_bfloat16S3_LNS_18Fp8KVCacheDataTypeE0EEEvPKlPT_S8_PKS7_PKT0_illlliPT3_S6_iiiiPKf ; -- Begin function _ZN4vllm38concat_and_cache_mla_rope_fused_kernelIfN3c108BFloat16ELb0E14__hip_bfloat16S3_LNS_18Fp8KVCacheDataTypeE0EEEvPKlPT_S8_PKS7_PKT0_illlliPT3_S6_iiiiPKf
	.globl	_ZN4vllm38concat_and_cache_mla_rope_fused_kernelIfN3c108BFloat16ELb0E14__hip_bfloat16S3_LNS_18Fp8KVCacheDataTypeE0EEEvPKlPT_S8_PKS7_PKT0_illlliPT3_S6_iiiiPKf
	.p2align	8
	.type	_ZN4vllm38concat_and_cache_mla_rope_fused_kernelIfN3c108BFloat16ELb0E14__hip_bfloat16S3_LNS_18Fp8KVCacheDataTypeE0EEEvPKlPT_S8_PKS7_PKT0_illlliPT3_S6_iiiiPKf,@function
_ZN4vllm38concat_and_cache_mla_rope_fused_kernelIfN3c108BFloat16ELb0E14__hip_bfloat16S3_LNS_18Fp8KVCacheDataTypeE0EEEvPKlPT_S8_PKS7_PKT0_illlliPT3_S6_iiiiPKf: ; @_ZN4vllm38concat_and_cache_mla_rope_fused_kernelIfN3c108BFloat16ELb0E14__hip_bfloat16S3_LNS_18Fp8KVCacheDataTypeE0EEEvPKlPT_S8_PKS7_PKT0_illlliPT3_S6_iiiiPKf
; %bb.0:
	s_load_b64 s[4:5], s[0:1], 0x60
	s_mov_b32 s16, s15
	s_mov_b32 s17, 0
	s_delay_alu instid0(SALU_CYCLE_1)
	s_lshl_b64 s[2:3], s[16:17], 3
	s_waitcnt lgkmcnt(0)
	s_add_u32 s4, s4, s2
	s_addc_u32 s5, s5, s3
	s_load_b64 s[22:23], s[4:5], 0x0
	s_waitcnt lgkmcnt(0)
	v_cmp_lt_i64_e64 s4, s[22:23], 0
	s_delay_alu instid0(VALU_DEP_1)
	s_and_b32 vcc_lo, exec_lo, s4
	s_cbranch_vccnz .LBB41_13
; %bb.1:
	s_clause 0x3
	s_load_b32 s21, s[0:1], 0x28
	s_load_b64 s[4:5], s[0:1], 0x0
	s_load_b128 s[12:15], s[0:1], 0x10
	s_load_b32 s17, s[0:1], 0x50
	v_lshlrev_b32_e32 v3, 1, v0
	s_waitcnt lgkmcnt(0)
	s_ashr_i32 s26, s21, 31
	s_add_u32 s2, s4, s2
	s_addc_u32 s3, s5, s3
	s_lshr_b32 s20, s21, 31
	s_load_b64 s[24:25], s[2:3], 0x0
	s_clause 0x2
	s_load_b64 s[2:3], s[0:1], 0x20
	s_load_b64 s[18:19], s[0:1], 0x58
	s_load_b256 s[4:11], s[0:1], 0x30
	s_add_i32 s20, s21, s20
	s_delay_alu instid0(SALU_CYCLE_1) | instskip(NEXT) | instid1(SALU_CYCLE_1)
	s_ashr_i32 s20, s20, 1
	s_mul_i32 s17, s20, s17
	s_waitcnt lgkmcnt(0)
	s_mul_i32 s26, s24, s26
	s_mul_hi_u32 s27, s24, s21
	s_mul_i32 s25, s25, s21
	s_add_i32 s26, s27, s26
	s_mul_i32 s24, s24, s21
	s_add_i32 s25, s26, s25
	s_mov_b32 s26, exec_lo
	v_cmpx_gt_i32_e64 s17, v0
	s_cbranch_execz .LBB41_4
; %bb.2:
	s_clause 0x1
	s_load_b64 s[30:31], s[0:1], 0x8
	s_load_b32 s34, s[0:1], 0x8c
	s_lshl_b64 s[28:29], s[24:25], 1
	s_mul_i32 s5, s16, s5
	s_mul_hi_u32 s21, s16, s4
	s_add_u32 s27, s2, s28
	s_mul_i32 s4, s16, s4
	s_addc_u32 s28, s3, s29
	s_add_i32 s5, s21, s5
	s_ashr_i32 s21, s20, 31
	s_lshl_b64 s[4:5], s[4:5], 2
	s_mov_b32 s33, 0
	s_waitcnt lgkmcnt(0)
	s_add_u32 s29, s30, s4
	s_addc_u32 s30, s31, s5
	s_abs_i32 s31, s20
	s_and_b32 s34, s34, 0xffff
	v_cvt_f32_u32_e32 v1, s31
	s_sub_i32 s4, 0, s31
	s_sub_i32 s35, 0, s20
	s_lshl_b32 s37, s34, 1
	s_delay_alu instid0(VALU_DEP_1) | instskip(SKIP_2) | instid1(VALU_DEP_1)
	v_rcp_iflag_f32_e32 v1, v1
	s_waitcnt_depctr 0xfff
	v_mul_f32_e32 v1, 0x4f7ffffe, v1
	v_cvt_u32_f32_e32 v2, v1
	s_delay_alu instid0(VALU_DEP_1) | instskip(SKIP_1) | instid1(SALU_CYCLE_1)
	v_mul_lo_u32 v1, s4, v2
	s_lshl_b32 s4, s20, 1
	s_sub_i32 s36, 0, s4
	s_lshl_b64 s[4:5], s[20:21], 1
	s_delay_alu instid0(VALU_DEP_1) | instskip(NEXT) | instid1(VALU_DEP_1)
	v_mul_hi_u32 v4, v2, v1
	v_dual_mov_b32 v1, v3 :: v_dual_add_nc_u32 v4, v2, v4
	v_mov_b32_e32 v2, v0
.LBB41_3:                               ; =>This Inner Loop Header: Depth=1
	s_delay_alu instid0(VALU_DEP_1) | instskip(SKIP_1) | instid1(VALU_DEP_2)
	v_sub_nc_u32_e32 v5, 0, v2
	v_ashrrev_i32_e32 v6, 31, v2
	v_max_i32_e32 v5, v2, v5
	s_delay_alu instid0(VALU_DEP_2) | instskip(NEXT) | instid1(VALU_DEP_2)
	v_xor_b32_e32 v6, s21, v6
	v_mul_hi_u32 v7, v5, v4
	s_delay_alu instid0(VALU_DEP_1) | instskip(SKIP_1) | instid1(VALU_DEP_2)
	v_mul_lo_u32 v8, v7, s31
	v_add_nc_u32_e32 v9, 1, v7
	v_sub_nc_u32_e32 v5, v5, v8
	s_delay_alu instid0(VALU_DEP_1) | instskip(SKIP_1) | instid1(VALU_DEP_4)
	v_subrev_nc_u32_e32 v8, s31, v5
	v_cmp_le_u32_e32 vcc_lo, s31, v5
	v_cndmask_b32_e32 v7, v7, v9, vcc_lo
	s_delay_alu instid0(VALU_DEP_1) | instskip(NEXT) | instid1(VALU_DEP_1)
	v_dual_cndmask_b32 v5, v5, v8 :: v_dual_add_nc_u32 v8, 1, v7
	v_cmp_le_u32_e32 vcc_lo, s31, v5
	s_delay_alu instid0(VALU_DEP_2) | instskip(NEXT) | instid1(VALU_DEP_1)
	v_cndmask_b32_e32 v5, v7, v8, vcc_lo
	v_xor_b32_e32 v5, v5, v6
	s_delay_alu instid0(VALU_DEP_1) | instskip(NEXT) | instid1(VALU_DEP_1)
	v_sub_nc_u32_e32 v11, v5, v6
	v_mad_u64_u32 v[5:6], null, s35, v11, v[2:3]
	v_ashrrev_i32_e32 v6, 31, v11
	v_mul_lo_u32 v12, v11, s7
	v_mad_u64_u32 v[7:8], null, v11, s6, 0
	v_mad_u64_u32 v[9:10], null, s36, v11, v[1:2]
	s_delay_alu instid0(VALU_DEP_4) | instskip(SKIP_3) | instid1(VALU_DEP_3)
	v_mul_lo_u32 v11, v6, s6
	v_ashrrev_i32_e32 v6, 31, v5
	v_add_nc_u32_e32 v2, s34, v2
	v_add_nc_u32_e32 v1, s37, v1
	v_lshlrev_b64 v[5:6], 1, v[5:6]
	v_ashrrev_i32_e32 v10, 31, v9
	v_add3_u32 v8, v8, v12, v11
	s_delay_alu instid0(VALU_DEP_3) | instskip(NEXT) | instid1(VALU_DEP_2)
	v_add_co_u32 v5, vcc_lo, s27, v5
	v_lshlrev_b64 v[7:8], 2, v[7:8]
	v_add_co_ci_u32_e32 v6, vcc_lo, s28, v6, vcc_lo
	s_delay_alu instid0(VALU_DEP_3) | instskip(SKIP_1) | instid1(VALU_DEP_3)
	v_add_co_u32 v11, vcc_lo, v5, s4
	v_lshlrev_b64 v[9:10], 2, v[9:10]
	v_add_co_ci_u32_e32 v12, vcc_lo, s5, v6, vcc_lo
	v_add_co_u32 v7, vcc_lo, s29, v7
	v_add_co_ci_u32_e32 v8, vcc_lo, s30, v8, vcc_lo
	s_clause 0x1
	global_load_u16 v13, v[5:6], off
	global_load_u16 v11, v[11:12], off
	v_add_co_u32 v5, vcc_lo, v7, v9
	v_add_co_ci_u32_e32 v6, vcc_lo, v8, v10, vcc_lo
	v_cmp_le_i32_e32 vcc_lo, s17, v2
	global_load_b64 v[7:8], v[5:6], off
	s_or_b32 s33, vcc_lo, s33
	s_waitcnt vmcnt(1)
	v_lshlrev_b32_e32 v9, 16, v11
	v_lshlrev_b32_e32 v11, 16, v13
	s_waitcnt vmcnt(0)
	s_delay_alu instid0(VALU_DEP_2) | instskip(SKIP_1) | instid1(VALU_DEP_2)
	v_mul_f32_e32 v12, v8, v9
	v_mul_f32_e32 v10, v7, v9
	v_fma_f32 v9, v7, v11, -v12
	s_delay_alu instid0(VALU_DEP_2)
	v_fmac_f32_e32 v10, v8, v11
	global_store_b64 v[5:6], v[9:10], off
	s_and_not1_b32 exec_lo, exec_lo, s33
	s_cbranch_execnz .LBB41_3
.LBB41_4:
	s_or_b32 exec_lo, exec_lo, s26
	s_load_b128 s[4:7], s[0:1], 0x68
	s_waitcnt lgkmcnt(0)
	s_ashr_i32 s27, s7, 31
	s_mov_b32 s26, s7
	s_delay_alu instid0(SALU_CYCLE_1) | instskip(SKIP_1) | instid1(SALU_CYCLE_1)
	s_or_b64 s[30:31], s[22:23], s[26:27]
	s_mov_b32 s30, 0
	s_cmp_lg_u64 s[30:31], 0
	s_cbranch_scc0 .LBB41_14
; %bb.5:
	s_add_u32 s34, s26, s27
	s_mov_b32 s28, s27
	s_mov_b32 s29, s27
	s_addc_u32 s35, s27, s27
	s_delay_alu instid0(SALU_CYCLE_1) | instskip(NEXT) | instid1(SALU_CYCLE_1)
	s_xor_b64 s[34:35], s[34:35], s[28:29]
	v_cvt_f32_u32_e32 v1, s34
	v_cvt_f32_u32_e32 v2, s35
	s_sub_u32 s21, 0, s34
	s_subb_u32 s31, 0, s35
	s_delay_alu instid0(VALU_DEP_1) | instskip(NEXT) | instid1(VALU_DEP_1)
	v_fmamk_f32 v1, v2, 0x4f800000, v1
	v_rcp_f32_e32 v1, v1
	s_waitcnt_depctr 0xfff
	v_mul_f32_e32 v1, 0x5f7ffffc, v1
	s_delay_alu instid0(VALU_DEP_1) | instskip(NEXT) | instid1(VALU_DEP_1)
	v_mul_f32_e32 v2, 0x2f800000, v1
	v_trunc_f32_e32 v2, v2
	s_delay_alu instid0(VALU_DEP_1) | instskip(SKIP_1) | instid1(VALU_DEP_2)
	v_fmamk_f32 v1, v2, 0xcf800000, v1
	v_cvt_u32_f32_e32 v2, v2
	v_cvt_u32_f32_e32 v1, v1
	s_delay_alu instid0(VALU_DEP_2) | instskip(NEXT) | instid1(VALU_DEP_2)
	v_readfirstlane_b32 s7, v2
	v_readfirstlane_b32 s17, v1
	s_delay_alu instid0(VALU_DEP_2) | instskip(NEXT) | instid1(VALU_DEP_1)
	s_mul_i32 s33, s21, s7
	s_mul_hi_u32 s37, s21, s17
	s_mul_i32 s36, s31, s17
	s_add_i32 s33, s37, s33
	s_mul_i32 s38, s21, s17
	s_add_i32 s33, s33, s36
	s_mul_hi_u32 s37, s17, s38
	s_mul_hi_u32 s39, s7, s38
	s_mul_i32 s36, s7, s38
	s_mul_hi_u32 s38, s17, s33
	s_mul_i32 s17, s17, s33
	s_mul_hi_u32 s40, s7, s33
	s_add_u32 s17, s37, s17
	s_addc_u32 s37, 0, s38
	s_add_u32 s17, s17, s36
	s_mul_i32 s33, s7, s33
	s_addc_u32 s17, s37, s39
	s_addc_u32 s36, s40, 0
	s_add_u32 s17, s17, s33
	s_addc_u32 s33, 0, s36
	v_add_co_u32 v1, s17, v1, s17
	s_delay_alu instid0(VALU_DEP_1) | instskip(SKIP_1) | instid1(VALU_DEP_1)
	s_cmp_lg_u32 s17, 0
	s_addc_u32 s7, s7, s33
	v_readfirstlane_b32 s17, v1
	s_mul_i32 s33, s21, s7
	s_delay_alu instid0(VALU_DEP_1)
	s_mul_hi_u32 s36, s21, s17
	s_mul_i32 s31, s31, s17
	s_add_i32 s33, s36, s33
	s_mul_i32 s21, s21, s17
	s_add_i32 s33, s33, s31
	s_mul_hi_u32 s36, s7, s21
	s_mul_i32 s37, s7, s21
	s_mul_hi_u32 s21, s17, s21
	s_mul_hi_u32 s38, s17, s33
	s_mul_i32 s17, s17, s33
	s_mul_hi_u32 s31, s7, s33
	s_add_u32 s17, s21, s17
	s_addc_u32 s21, 0, s38
	s_add_u32 s17, s17, s37
	s_mul_i32 s33, s7, s33
	s_addc_u32 s17, s21, s36
	s_addc_u32 s21, s31, 0
	s_add_u32 s17, s17, s33
	s_addc_u32 s21, 0, s21
	v_add_co_u32 v1, s17, v1, s17
	s_delay_alu instid0(VALU_DEP_1) | instskip(SKIP_2) | instid1(VALU_DEP_1)
	s_cmp_lg_u32 s17, 0
	s_addc_u32 s7, s7, s21
	s_ashr_i32 s36, s23, 31
	v_readfirstlane_b32 s17, v1
	s_add_u32 s38, s22, s36
	s_mov_b32 s37, s36
	s_addc_u32 s39, s23, s36
	s_delay_alu instid0(SALU_CYCLE_1) | instskip(NEXT) | instid1(SALU_CYCLE_1)
	s_xor_b64 s[38:39], s[38:39], s[36:37]
	s_mul_i32 s31, s38, s7
	s_mul_hi_u32 s33, s38, s17
	s_mul_hi_u32 s21, s38, s7
	;; [unrolled: 1-line block ×3, first 2 shown]
	s_mul_i32 s17, s39, s17
	s_add_u32 s31, s33, s31
	s_addc_u32 s21, 0, s21
	s_mul_hi_u32 s40, s39, s7
	s_add_u32 s17, s31, s17
	s_mul_i32 s7, s39, s7
	s_addc_u32 s17, s21, s41
	s_addc_u32 s21, s40, 0
	s_add_u32 s7, s17, s7
	s_addc_u32 s17, 0, s21
	s_mul_hi_u32 s21, s34, s7
	s_mul_i32 s33, s34, s17
	s_mul_i32 s40, s34, s7
	s_add_i32 s21, s21, s33
	v_sub_co_u32 v1, s33, s38, s40
	s_mul_i32 s31, s35, s7
	s_delay_alu instid0(SALU_CYCLE_1) | instskip(NEXT) | instid1(VALU_DEP_1)
	s_add_i32 s21, s21, s31
	v_sub_co_u32 v2, s38, v1, s34
	s_sub_i32 s31, s39, s21
	s_cmp_lg_u32 s33, 0
	s_subb_u32 s31, s31, s35
	s_cmp_lg_u32 s38, 0
	v_readfirstlane_b32 s38, v2
	s_subb_u32 s31, s31, 0
	s_delay_alu instid0(SALU_CYCLE_1) | instskip(SKIP_1) | instid1(VALU_DEP_1)
	s_cmp_ge_u32 s31, s35
	s_cselect_b32 s40, -1, 0
	s_cmp_ge_u32 s38, s34
	s_cselect_b32 s38, -1, 0
	s_cmp_eq_u32 s31, s35
	s_cselect_b32 s31, s38, s40
	s_add_u32 s38, s7, 1
	s_addc_u32 s40, s17, 0
	s_add_u32 s41, s7, 2
	s_addc_u32 s42, s17, 0
	s_cmp_lg_u32 s31, 0
	s_cselect_b32 s31, s41, s38
	s_cselect_b32 s38, s42, s40
	s_cmp_lg_u32 s33, 0
	v_readfirstlane_b32 s33, v1
	s_subb_u32 s21, s39, s21
	s_delay_alu instid0(SALU_CYCLE_1) | instskip(SKIP_1) | instid1(VALU_DEP_1)
	s_cmp_ge_u32 s21, s35
	s_cselect_b32 s39, -1, 0
	s_cmp_ge_u32 s33, s34
	s_cselect_b32 s33, -1, 0
	s_cmp_eq_u32 s21, s35
	s_cselect_b32 s21, s33, s39
	s_delay_alu instid0(SALU_CYCLE_1) | instskip(SKIP_3) | instid1(SALU_CYCLE_1)
	s_cmp_lg_u32 s21, 0
	s_cselect_b32 s35, s38, s17
	s_cselect_b32 s34, s31, s7
	s_xor_b64 s[28:29], s[36:37], s[28:29]
	s_xor_b64 s[34:35], s[34:35], s[28:29]
	s_delay_alu instid0(SALU_CYCLE_1)
	s_sub_u32 s28, s34, s28
	s_subb_u32 s29, s35, s29
	s_and_not1_b32 vcc_lo, exec_lo, s30
	s_cbranch_vccnz .LBB41_7
.LBB41_6:
	v_cvt_f32_u32_e32 v1, s26
	s_sub_i32 s17, 0, s26
	s_mov_b32 s29, 0
	s_delay_alu instid0(VALU_DEP_1) | instskip(SKIP_2) | instid1(VALU_DEP_1)
	v_rcp_iflag_f32_e32 v1, v1
	s_waitcnt_depctr 0xfff
	v_mul_f32_e32 v1, 0x4f7ffffe, v1
	v_cvt_u32_f32_e32 v1, v1
	s_delay_alu instid0(VALU_DEP_1) | instskip(NEXT) | instid1(VALU_DEP_1)
	v_readfirstlane_b32 s7, v1
	s_mul_i32 s17, s17, s7
	s_delay_alu instid0(SALU_CYCLE_1) | instskip(NEXT) | instid1(SALU_CYCLE_1)
	s_mul_hi_u32 s17, s7, s17
	s_add_i32 s7, s7, s17
	s_delay_alu instid0(SALU_CYCLE_1) | instskip(NEXT) | instid1(SALU_CYCLE_1)
	s_mul_hi_u32 s7, s22, s7
	s_mul_i32 s17, s7, s26
	s_add_i32 s21, s7, 1
	s_sub_i32 s17, s22, s17
	s_delay_alu instid0(SALU_CYCLE_1)
	s_sub_i32 s28, s17, s26
	s_cmp_ge_u32 s17, s26
	s_cselect_b32 s7, s21, s7
	s_cselect_b32 s17, s28, s17
	s_add_i32 s21, s7, 1
	s_cmp_ge_u32 s17, s26
	s_cselect_b32 s28, s21, s7
.LBB41_7:
	s_delay_alu instid0(SALU_CYCLE_1)
	s_mul_i32 s7, s28, s27
	s_mul_hi_u32 s17, s28, s26
	s_mul_i32 s21, s28, s26
	s_add_i32 s7, s17, s7
	s_mul_i32 s17, s29, s26
	s_mul_hi_u32 s31, s28, s4
	s_add_i32 s7, s7, s17
	s_sub_u32 s17, s22, s21
	s_subb_u32 s30, s23, s7
	s_mul_i32 s33, s29, s4
	s_mul_i32 s26, s28, s4
	s_mul_hi_u32 s29, s17, s5
	s_mul_i32 s30, s30, s5
	s_mul_i32 s22, s17, s5
	s_mov_b32 s34, exec_lo
	v_cmpx_gt_i32_e64 s20, v0
	s_cbranch_execz .LBB41_10
; %bb.8:
	s_load_b32 s23, s[0:1], 0x8c
	s_lshl_b64 s[36:37], s[24:25], 1
	s_ashr_i32 s21, s20, 31
	s_ashr_i32 s27, s4, 31
	;; [unrolled: 1-line block ×4, first 2 shown]
	s_mul_i32 s9, s9, s16
	s_mul_hi_u32 s25, s8, s16
	s_mul_i32 s38, s8, s16
	v_dual_mov_b32 v7, v0 :: v_dual_lshlrev_b32 v4, 3, v0
	s_mul_i32 s27, s28, s27
	s_mul_i32 s35, s17, s35
	v_lshlrev_b32_e32 v5, 2, v0
	s_waitcnt lgkmcnt(0)
	s_and_b32 s24, s23, 0xffff
	s_add_u32 s2, s2, s36
	s_addc_u32 s23, s3, s37
	s_add_i32 s39, s25, s9
	v_add_co_u32 v1, s2, s2, v3
	s_lshl_b64 s[36:37], s[38:39], 2
	s_lshl_b32 s3, s24, 1
	s_lshl_b64 s[8:9], s[20:21], 1
	v_add_co_ci_u32_e64 v2, null, s23, 0, s2
	s_add_u32 s2, s12, s36
	s_addc_u32 s12, s13, s37
	v_add_co_u32 v3, s2, s2, v4
	s_add_i32 s13, s31, s27
	v_add_co_ci_u32_e64 v4, null, s12, 0, s2
	s_add_i32 s2, s29, s35
	s_add_i32 s27, s13, s33
	s_add_i32 s23, s2, s30
	s_lshl_b64 s[36:37], s[26:27], 1
	s_lshl_b64 s[38:39], s[22:23], 1
	s_lshl_b32 s12, s24, 3
	s_add_u32 s2, s36, s38
	s_addc_u32 s13, s37, s39
	s_lshl_b64 s[36:37], s[6:7], 1
	v_add_co_u32 v3, vcc_lo, v3, 4
	s_add_u32 s7, s18, s36
	s_addc_u32 s21, s19, s37
	s_add_u32 s2, s7, s2
	s_addc_u32 s7, s21, s13
	v_add_co_u32 v5, s2, s2, v5
	v_add_co_ci_u32_e32 v4, vcc_lo, 0, v4, vcc_lo
	v_add_co_ci_u32_e64 v6, null, s7, 0, s2
	s_mov_b32 s7, 0
	s_lshl_b32 s13, s24, 2
	s_set_inst_prefetch_distance 0x1
	.p2align	6
.LBB41_9:                               ; =>This Inner Loop Header: Depth=1
	v_add_co_u32 v8, vcc_lo, v1, s8
	v_add_co_ci_u32_e32 v9, vcc_lo, s9, v2, vcc_lo
	s_clause 0x1
	global_load_u16 v10, v[1:2], off
	global_load_u16 v11, v[8:9], off
	global_load_b64 v[8:9], v[3:4], off offset:-4
	v_add_co_u32 v1, vcc_lo, v1, s3
	v_add_co_ci_u32_e32 v2, vcc_lo, 0, v2, vcc_lo
	s_waitcnt vmcnt(1)
	v_lshlrev_b32_e32 v11, 16, v11
	v_lshlrev_b32_e32 v12, 16, v10
	s_waitcnt vmcnt(0)
	s_delay_alu instid0(VALU_DEP_1) | instskip(NEXT) | instid1(VALU_DEP_3)
	v_dual_mul_f32 v10, v9, v12 :: v_dual_add_nc_u32 v7, s24, v7
	v_mul_f32_e32 v9, v9, v11
	s_delay_alu instid0(VALU_DEP_2) | instskip(NEXT) | instid1(VALU_DEP_3)
	v_cmp_le_i32_e32 vcc_lo, s20, v7
	v_fmac_f32_e32 v10, v8, v11
	s_delay_alu instid0(VALU_DEP_3) | instskip(SKIP_1) | instid1(VALU_DEP_1)
	v_fma_f32 v9, v8, v12, -v9
	s_or_b32 s7, vcc_lo, s7
	v_perm_b32 v8, v10, v9, 0x5040100
	global_store_b64 v[3:4], v[9:10], off offset:-4
	v_add_co_u32 v3, s2, v3, s12
	s_delay_alu instid0(VALU_DEP_1) | instskip(SKIP_2) | instid1(VALU_DEP_1)
	v_add_co_ci_u32_e64 v4, s2, 0, v4, s2
	global_store_b32 v[5:6], v8, off
	v_add_co_u32 v5, s2, v5, s13
	v_add_co_ci_u32_e64 v6, s2, 0, v6, s2
	s_and_not1_b32 exec_lo, exec_lo, s7
	s_cbranch_execnz .LBB41_9
.LBB41_10:
	s_set_inst_prefetch_distance 0x2
	s_or_b32 exec_lo, exec_lo, s34
	s_delay_alu instid0(SALU_CYCLE_1)
	s_mov_b32 s2, exec_lo
	v_cmpx_gt_i32_e64 s6, v0
	s_cbranch_execz .LBB41_13
; %bb.11:
	s_mul_i32 s3, s16, s11
	s_mul_hi_u32 s7, s16, s10
	s_mul_i32 s2, s16, s10
	s_add_i32 s3, s7, s3
	s_load_b32 s7, s[0:1], 0x8c
	s_lshl_b64 s[2:3], s[2:3], 2
	s_delay_alu instid0(SALU_CYCLE_1) | instskip(SKIP_2) | instid1(SALU_CYCLE_1)
	s_add_u32 s2, s14, s2
	s_addc_u32 s3, s15, s3
	s_ashr_i32 s4, s4, 31
	s_mul_i32 s4, s28, s4
	s_delay_alu instid0(SALU_CYCLE_1) | instskip(NEXT) | instid1(SALU_CYCLE_1)
	s_add_i32 s0, s31, s4
	s_add_i32 s27, s0, s33
	s_delay_alu instid0(SALU_CYCLE_1) | instskip(NEXT) | instid1(SALU_CYCLE_1)
	s_lshl_b64 s[0:1], s[26:27], 1
	s_add_u32 s0, s18, s0
	s_addc_u32 s8, s19, s1
	s_ashr_i32 s1, s5, 31
	s_delay_alu instid0(SALU_CYCLE_1) | instskip(NEXT) | instid1(SALU_CYCLE_1)
	s_mul_i32 s17, s17, s1
	s_add_i32 s1, s29, s17
	s_delay_alu instid0(SALU_CYCLE_1) | instskip(NEXT) | instid1(SALU_CYCLE_1)
	s_add_i32 s23, s1, s30
	s_lshl_b64 s[4:5], s[22:23], 1
	s_delay_alu instid0(SALU_CYCLE_1)
	s_add_u32 s1, s0, s4
	s_addc_u32 s4, s8, s5
	s_waitcnt lgkmcnt(0)
	s_and_b32 s5, s7, 0xffff
	s_mov_b32 s7, 0
	.p2align	6
.LBB41_12:                              ; =>This Inner Loop Header: Depth=1
	v_ashrrev_i32_e32 v1, 31, v0
	s_delay_alu instid0(VALU_DEP_1) | instskip(NEXT) | instid1(VALU_DEP_1)
	v_lshlrev_b64 v[2:3], 2, v[0:1]
	v_add_co_u32 v2, vcc_lo, s2, v2
	s_delay_alu instid0(VALU_DEP_2) | instskip(SKIP_3) | instid1(VALU_DEP_1)
	v_add_co_ci_u32_e32 v3, vcc_lo, s3, v3, vcc_lo
	global_load_u16 v3, v[2:3], off
	v_lshlrev_b64 v[1:2], 1, v[0:1]
	v_add_nc_u32_e32 v0, s5, v0
	v_cmp_le_i32_e32 vcc_lo, s6, v0
	s_delay_alu instid0(VALU_DEP_3) | instskip(NEXT) | instid1(VALU_DEP_1)
	v_add_co_u32 v1, s0, s1, v1
	v_add_co_ci_u32_e64 v2, s0, s4, v2, s0
	s_or_b32 s7, vcc_lo, s7
	s_waitcnt vmcnt(0)
	global_store_b16 v[1:2], v3, off
	s_and_not1_b32 exec_lo, exec_lo, s7
	s_cbranch_execnz .LBB41_12
.LBB41_13:
	s_nop 0
	s_sendmsg sendmsg(MSG_DEALLOC_VGPRS)
	s_endpgm
.LBB41_14:
                                        ; implicit-def: $sgpr28_sgpr29
	s_branch .LBB41_6
	.section	.rodata,"a",@progbits
	.p2align	6, 0x0
	.amdhsa_kernel _ZN4vllm38concat_and_cache_mla_rope_fused_kernelIfN3c108BFloat16ELb0E14__hip_bfloat16S3_LNS_18Fp8KVCacheDataTypeE0EEEvPKlPT_S8_PKS7_PKT0_illlliPT3_S6_iiiiPKf
		.amdhsa_group_segment_fixed_size 0
		.amdhsa_private_segment_fixed_size 0
		.amdhsa_kernarg_size 384
		.amdhsa_user_sgpr_count 15
		.amdhsa_user_sgpr_dispatch_ptr 0
		.amdhsa_user_sgpr_queue_ptr 0
		.amdhsa_user_sgpr_kernarg_segment_ptr 1
		.amdhsa_user_sgpr_dispatch_id 0
		.amdhsa_user_sgpr_private_segment_size 0
		.amdhsa_wavefront_size32 1
		.amdhsa_uses_dynamic_stack 0
		.amdhsa_enable_private_segment 0
		.amdhsa_system_sgpr_workgroup_id_x 1
		.amdhsa_system_sgpr_workgroup_id_y 0
		.amdhsa_system_sgpr_workgroup_id_z 0
		.amdhsa_system_sgpr_workgroup_info 0
		.amdhsa_system_vgpr_workitem_id 0
		.amdhsa_next_free_vgpr 14
		.amdhsa_next_free_sgpr 43
		.amdhsa_reserve_vcc 1
		.amdhsa_float_round_mode_32 0
		.amdhsa_float_round_mode_16_64 0
		.amdhsa_float_denorm_mode_32 3
		.amdhsa_float_denorm_mode_16_64 3
		.amdhsa_dx10_clamp 1
		.amdhsa_ieee_mode 1
		.amdhsa_fp16_overflow 0
		.amdhsa_workgroup_processor_mode 1
		.amdhsa_memory_ordered 1
		.amdhsa_forward_progress 0
		.amdhsa_shared_vgpr_count 0
		.amdhsa_exception_fp_ieee_invalid_op 0
		.amdhsa_exception_fp_denorm_src 0
		.amdhsa_exception_fp_ieee_div_zero 0
		.amdhsa_exception_fp_ieee_overflow 0
		.amdhsa_exception_fp_ieee_underflow 0
		.amdhsa_exception_fp_ieee_inexact 0
		.amdhsa_exception_int_div_zero 0
	.end_amdhsa_kernel
	.section	.text._ZN4vllm38concat_and_cache_mla_rope_fused_kernelIfN3c108BFloat16ELb0E14__hip_bfloat16S3_LNS_18Fp8KVCacheDataTypeE0EEEvPKlPT_S8_PKS7_PKT0_illlliPT3_S6_iiiiPKf,"axG",@progbits,_ZN4vllm38concat_and_cache_mla_rope_fused_kernelIfN3c108BFloat16ELb0E14__hip_bfloat16S3_LNS_18Fp8KVCacheDataTypeE0EEEvPKlPT_S8_PKS7_PKT0_illlliPT3_S6_iiiiPKf,comdat
.Lfunc_end41:
	.size	_ZN4vllm38concat_and_cache_mla_rope_fused_kernelIfN3c108BFloat16ELb0E14__hip_bfloat16S3_LNS_18Fp8KVCacheDataTypeE0EEEvPKlPT_S8_PKS7_PKT0_illlliPT3_S6_iiiiPKf, .Lfunc_end41-_ZN4vllm38concat_and_cache_mla_rope_fused_kernelIfN3c108BFloat16ELb0E14__hip_bfloat16S3_LNS_18Fp8KVCacheDataTypeE0EEEvPKlPT_S8_PKS7_PKT0_illlliPT3_S6_iiiiPKf
                                        ; -- End function
	.section	.AMDGPU.csdata,"",@progbits
; Kernel info:
; codeLenInByte = 2292
; NumSgprs: 45
; NumVgprs: 14
; ScratchSize: 0
; MemoryBound: 0
; FloatMode: 240
; IeeeMode: 1
; LDSByteSize: 0 bytes/workgroup (compile time only)
; SGPRBlocks: 5
; VGPRBlocks: 1
; NumSGPRsForWavesPerEU: 45
; NumVGPRsForWavesPerEU: 14
; Occupancy: 16
; WaveLimiterHint : 1
; COMPUTE_PGM_RSRC2:SCRATCH_EN: 0
; COMPUTE_PGM_RSRC2:USER_SGPR: 15
; COMPUTE_PGM_RSRC2:TRAP_HANDLER: 0
; COMPUTE_PGM_RSRC2:TGID_X_EN: 1
; COMPUTE_PGM_RSRC2:TGID_Y_EN: 0
; COMPUTE_PGM_RSRC2:TGID_Z_EN: 0
; COMPUTE_PGM_RSRC2:TIDIG_COMP_CNT: 0
	.section	.text._ZN4vllm38concat_and_cache_mla_rope_fused_kernelIN3c104HalfEfLb1E14__hip_bfloat16S3_LNS_18Fp8KVCacheDataTypeE0EEEvPKlPT_S8_PKS7_PKT0_illlliPT3_S6_iiiiPKf,"axG",@progbits,_ZN4vllm38concat_and_cache_mla_rope_fused_kernelIN3c104HalfEfLb1E14__hip_bfloat16S3_LNS_18Fp8KVCacheDataTypeE0EEEvPKlPT_S8_PKS7_PKT0_illlliPT3_S6_iiiiPKf,comdat
	.protected	_ZN4vllm38concat_and_cache_mla_rope_fused_kernelIN3c104HalfEfLb1E14__hip_bfloat16S3_LNS_18Fp8KVCacheDataTypeE0EEEvPKlPT_S8_PKS7_PKT0_illlliPT3_S6_iiiiPKf ; -- Begin function _ZN4vllm38concat_and_cache_mla_rope_fused_kernelIN3c104HalfEfLb1E14__hip_bfloat16S3_LNS_18Fp8KVCacheDataTypeE0EEEvPKlPT_S8_PKS7_PKT0_illlliPT3_S6_iiiiPKf
	.globl	_ZN4vllm38concat_and_cache_mla_rope_fused_kernelIN3c104HalfEfLb1E14__hip_bfloat16S3_LNS_18Fp8KVCacheDataTypeE0EEEvPKlPT_S8_PKS7_PKT0_illlliPT3_S6_iiiiPKf
	.p2align	8
	.type	_ZN4vllm38concat_and_cache_mla_rope_fused_kernelIN3c104HalfEfLb1E14__hip_bfloat16S3_LNS_18Fp8KVCacheDataTypeE0EEEvPKlPT_S8_PKS7_PKT0_illlliPT3_S6_iiiiPKf,@function
_ZN4vllm38concat_and_cache_mla_rope_fused_kernelIN3c104HalfEfLb1E14__hip_bfloat16S3_LNS_18Fp8KVCacheDataTypeE0EEEvPKlPT_S8_PKS7_PKT0_illlliPT3_S6_iiiiPKf: ; @_ZN4vllm38concat_and_cache_mla_rope_fused_kernelIN3c104HalfEfLb1E14__hip_bfloat16S3_LNS_18Fp8KVCacheDataTypeE0EEEvPKlPT_S8_PKS7_PKT0_illlliPT3_S6_iiiiPKf
; %bb.0:
	s_load_b64 s[6:7], s[0:1], 0x60
	s_mov_b32 s2, s15
	s_mov_b32 s3, 0
	s_delay_alu instid0(SALU_CYCLE_1)
	s_lshl_b64 s[4:5], s[2:3], 3
	s_waitcnt lgkmcnt(0)
	s_add_u32 s6, s6, s4
	s_addc_u32 s7, s7, s5
	s_load_b64 s[24:25], s[6:7], 0x0
	s_waitcnt lgkmcnt(0)
	v_cmp_lt_i64_e64 s3, s[24:25], 0
	s_delay_alu instid0(VALU_DEP_1)
	s_and_b32 vcc_lo, exec_lo, s3
	s_cbranch_vccnz .LBB42_13
; %bb.1:
	s_clause 0x3
	s_load_b32 s19, s[0:1], 0x28
	s_load_b64 s[6:7], s[0:1], 0x0
	s_load_b128 s[12:15], s[0:1], 0x10
	s_load_b32 s3, s[0:1], 0x50
	s_mov_b32 s28, exec_lo
	s_waitcnt lgkmcnt(0)
	s_ashr_i32 s26, s19, 31
	s_add_u32 s4, s6, s4
	s_addc_u32 s5, s7, s5
	s_lshr_b32 s18, s19, 31
	s_load_b64 s[22:23], s[4:5], 0x0
	s_clause 0x2
	s_load_b64 s[20:21], s[0:1], 0x20
	s_load_b64 s[16:17], s[0:1], 0x58
	s_load_b256 s[4:11], s[0:1], 0x30
	s_add_i32 s18, s19, s18
	s_delay_alu instid0(SALU_CYCLE_1) | instskip(NEXT) | instid1(SALU_CYCLE_1)
	s_ashr_i32 s18, s18, 1
	s_mul_i32 s3, s18, s3
	s_waitcnt lgkmcnt(0)
	s_mul_i32 s26, s22, s26
	s_mul_hi_u32 s27, s22, s19
	s_mul_i32 s23, s23, s19
	s_add_i32 s26, s27, s26
	s_mul_i32 s22, s22, s19
	s_add_i32 s23, s26, s23
	v_cmpx_gt_i32_e64 s3, v0
	s_cbranch_execz .LBB42_4
; %bb.2:
	s_clause 0x1
	s_load_b64 s[26:27], s[0:1], 0x8
	s_load_b32 s36, s[0:1], 0x8c
	s_lshl_b64 s[30:31], s[22:23], 2
	s_mul_i32 s5, s2, s5
	s_mul_hi_u32 s19, s2, s4
	s_add_u32 s29, s20, s30
	s_mul_i32 s4, s2, s4
	s_addc_u32 s30, s21, s31
	s_add_i32 s5, s19, s5
	s_ashr_i32 s19, s18, 31
	s_lshl_b64 s[4:5], s[4:5], 1
	s_mov_b32 s35, 0
	s_waitcnt lgkmcnt(0)
	s_add_u32 s31, s26, s4
	s_addc_u32 s33, s27, s5
	s_abs_i32 s34, s18
	s_and_b32 s36, s36, 0xffff
	v_cvt_f32_u32_e32 v1, s34
	s_sub_i32 s4, 0, s34
	s_sub_i32 s37, 0, s18
	s_lshl_b64 s[26:27], s[18:19], 1
	s_delay_alu instid0(VALU_DEP_1) | instskip(SKIP_2) | instid1(VALU_DEP_1)
	v_rcp_iflag_f32_e32 v1, v1
	s_waitcnt_depctr 0xfff
	v_mul_f32_e32 v1, 0x4f7ffffe, v1
	v_cvt_u32_f32_e32 v1, v1
	s_delay_alu instid0(VALU_DEP_1) | instskip(SKIP_1) | instid1(VALU_DEP_1)
	v_mul_lo_u32 v2, s4, v1
	s_lshl_b64 s[4:5], s[18:19], 2
	v_mul_hi_u32 v2, v1, v2
	s_delay_alu instid0(VALU_DEP_1)
	v_dual_mov_b32 v1, v0 :: v_dual_add_nc_u32 v2, v1, v2
.LBB42_3:                               ; =>This Inner Loop Header: Depth=1
	s_delay_alu instid0(VALU_DEP_1) | instskip(SKIP_1) | instid1(VALU_DEP_2)
	v_sub_nc_u32_e32 v3, 0, v1
	v_ashrrev_i32_e32 v4, 31, v1
	v_max_i32_e32 v3, v1, v3
	s_delay_alu instid0(VALU_DEP_2) | instskip(NEXT) | instid1(VALU_DEP_2)
	v_xor_b32_e32 v4, s19, v4
	v_mul_hi_u32 v5, v3, v2
	s_delay_alu instid0(VALU_DEP_1) | instskip(SKIP_1) | instid1(VALU_DEP_2)
	v_mul_lo_u32 v6, v5, s34
	v_add_nc_u32_e32 v7, 1, v5
	v_sub_nc_u32_e32 v3, v3, v6
	s_delay_alu instid0(VALU_DEP_1) | instskip(SKIP_1) | instid1(VALU_DEP_4)
	v_subrev_nc_u32_e32 v6, s34, v3
	v_cmp_le_u32_e32 vcc_lo, s34, v3
	v_cndmask_b32_e32 v5, v5, v7, vcc_lo
	s_delay_alu instid0(VALU_DEP_1) | instskip(NEXT) | instid1(VALU_DEP_1)
	v_dual_cndmask_b32 v3, v3, v6 :: v_dual_add_nc_u32 v6, 1, v5
	v_cmp_le_u32_e32 vcc_lo, s34, v3
	s_delay_alu instid0(VALU_DEP_2) | instskip(NEXT) | instid1(VALU_DEP_1)
	v_cndmask_b32_e32 v3, v5, v6, vcc_lo
	v_xor_b32_e32 v3, v3, v4
	s_delay_alu instid0(VALU_DEP_1) | instskip(NEXT) | instid1(VALU_DEP_1)
	v_sub_nc_u32_e32 v7, v3, v4
	v_ashrrev_i32_e32 v8, 31, v7
	v_mad_u64_u32 v[3:4], null, s37, v7, v[1:2]
	v_mul_lo_u32 v9, v7, s7
	v_mad_u64_u32 v[5:6], null, v7, s6, 0
	s_delay_alu instid0(VALU_DEP_4) | instskip(SKIP_2) | instid1(VALU_DEP_3)
	v_mul_lo_u32 v7, v8, s6
	v_add_nc_u32_e32 v1, s36, v1
	v_ashrrev_i32_e32 v4, 31, v3
	v_add3_u32 v6, v6, v9, v7
	s_delay_alu instid0(VALU_DEP_2) | instskip(SKIP_1) | instid1(VALU_DEP_3)
	v_lshlrev_b64 v[7:8], 2, v[3:4]
	v_lshlrev_b64 v[3:4], 1, v[3:4]
	;; [unrolled: 1-line block ×3, first 2 shown]
	s_delay_alu instid0(VALU_DEP_3) | instskip(NEXT) | instid1(VALU_DEP_4)
	v_add_co_u32 v7, vcc_lo, s29, v7
	v_add_co_ci_u32_e32 v8, vcc_lo, s30, v8, vcc_lo
	s_delay_alu instid0(VALU_DEP_3) | instskip(NEXT) | instid1(VALU_DEP_4)
	v_add_co_u32 v10, vcc_lo, s31, v5
	v_add_co_ci_u32_e32 v11, vcc_lo, s33, v6, vcc_lo
	s_delay_alu instid0(VALU_DEP_4) | instskip(NEXT) | instid1(VALU_DEP_4)
	v_add_co_u32 v5, vcc_lo, v7, s4
	v_add_co_ci_u32_e32 v6, vcc_lo, s5, v8, vcc_lo
	s_delay_alu instid0(VALU_DEP_4) | instskip(NEXT) | instid1(VALU_DEP_4)
	v_add_co_u32 v3, vcc_lo, v10, v3
	v_add_co_ci_u32_e32 v4, vcc_lo, v11, v4, vcc_lo
	s_clause 0x1
	global_load_b32 v9, v[7:8], off
	global_load_b32 v7, v[5:6], off
	v_add_co_u32 v5, vcc_lo, v3, s26
	v_add_co_ci_u32_e32 v6, vcc_lo, s27, v4, vcc_lo
	s_clause 0x1
	global_load_u16 v8, v[3:4], off
	global_load_u16 v10, v[5:6], off
	v_cmp_le_i32_e32 vcc_lo, s3, v1
	s_or_b32 s35, vcc_lo, s35
	s_waitcnt vmcnt(3)
	v_cvt_f16_f32_e32 v9, v9
	s_waitcnt vmcnt(2)
	v_cvt_f16_f32_e32 v7, v7
	s_waitcnt vmcnt(0)
	s_delay_alu instid0(VALU_DEP_1) | instskip(SKIP_1) | instid1(VALU_DEP_2)
	v_mul_f16_e32 v11, v10, v7
	v_mul_f16_e32 v10, v10, v9
	v_fma_f16 v9, v8, v9, -v11
	s_delay_alu instid0(VALU_DEP_2)
	v_fmac_f16_e32 v10, v8, v7
	s_clause 0x1
	global_store_b16 v[3:4], v9, off
	global_store_b16 v[5:6], v10, off
	s_and_not1_b32 exec_lo, exec_lo, s35
	s_cbranch_execnz .LBB42_3
.LBB42_4:
	s_or_b32 exec_lo, exec_lo, s28
	s_load_b128 s[4:7], s[0:1], 0x68
	s_waitcnt lgkmcnt(0)
	s_ashr_i32 s29, s7, 31
	s_mov_b32 s28, s7
	s_delay_alu instid0(SALU_CYCLE_1) | instskip(SKIP_1) | instid1(SALU_CYCLE_1)
	s_or_b64 s[30:31], s[24:25], s[28:29]
	s_mov_b32 s30, 0
	s_cmp_lg_u64 s[30:31], 0
	s_cbranch_scc0 .LBB42_14
; %bb.5:
	s_add_u32 s34, s28, s29
	s_mov_b32 s26, s29
	s_mov_b32 s27, s29
	s_addc_u32 s35, s29, s29
	s_delay_alu instid0(SALU_CYCLE_1) | instskip(NEXT) | instid1(SALU_CYCLE_1)
	s_xor_b64 s[34:35], s[34:35], s[26:27]
	v_cvt_f32_u32_e32 v1, s34
	v_cvt_f32_u32_e32 v2, s35
	s_sub_u32 s19, 0, s34
	s_subb_u32 s31, 0, s35
	s_delay_alu instid0(VALU_DEP_1) | instskip(NEXT) | instid1(VALU_DEP_1)
	v_fmamk_f32 v1, v2, 0x4f800000, v1
	v_rcp_f32_e32 v1, v1
	s_waitcnt_depctr 0xfff
	v_mul_f32_e32 v1, 0x5f7ffffc, v1
	s_delay_alu instid0(VALU_DEP_1) | instskip(NEXT) | instid1(VALU_DEP_1)
	v_mul_f32_e32 v2, 0x2f800000, v1
	v_trunc_f32_e32 v2, v2
	s_delay_alu instid0(VALU_DEP_1) | instskip(SKIP_1) | instid1(VALU_DEP_2)
	v_fmamk_f32 v1, v2, 0xcf800000, v1
	v_cvt_u32_f32_e32 v2, v2
	v_cvt_u32_f32_e32 v1, v1
	s_delay_alu instid0(VALU_DEP_2) | instskip(NEXT) | instid1(VALU_DEP_2)
	v_readfirstlane_b32 s3, v2
	v_readfirstlane_b32 s7, v1
	s_delay_alu instid0(VALU_DEP_2) | instskip(NEXT) | instid1(VALU_DEP_1)
	s_mul_i32 s33, s19, s3
	s_mul_hi_u32 s37, s19, s7
	s_mul_i32 s36, s31, s7
	s_add_i32 s33, s37, s33
	s_mul_i32 s38, s19, s7
	s_add_i32 s33, s33, s36
	s_mul_hi_u32 s37, s7, s38
	s_mul_hi_u32 s39, s3, s38
	s_mul_i32 s36, s3, s38
	s_mul_hi_u32 s38, s7, s33
	s_mul_i32 s7, s7, s33
	s_mul_hi_u32 s40, s3, s33
	s_add_u32 s7, s37, s7
	s_addc_u32 s37, 0, s38
	s_add_u32 s7, s7, s36
	s_mul_i32 s33, s3, s33
	s_addc_u32 s7, s37, s39
	s_addc_u32 s36, s40, 0
	s_add_u32 s7, s7, s33
	s_addc_u32 s33, 0, s36
	v_add_co_u32 v1, s7, v1, s7
	s_delay_alu instid0(VALU_DEP_1) | instskip(SKIP_1) | instid1(VALU_DEP_1)
	s_cmp_lg_u32 s7, 0
	s_addc_u32 s3, s3, s33
	v_readfirstlane_b32 s7, v1
	s_mul_i32 s33, s19, s3
	s_delay_alu instid0(VALU_DEP_1)
	s_mul_hi_u32 s36, s19, s7
	s_mul_i32 s31, s31, s7
	s_add_i32 s33, s36, s33
	s_mul_i32 s19, s19, s7
	s_add_i32 s33, s33, s31
	s_mul_hi_u32 s36, s3, s19
	s_mul_i32 s37, s3, s19
	s_mul_hi_u32 s19, s7, s19
	s_mul_hi_u32 s38, s7, s33
	s_mul_i32 s7, s7, s33
	s_mul_hi_u32 s31, s3, s33
	s_add_u32 s7, s19, s7
	s_addc_u32 s19, 0, s38
	s_add_u32 s7, s7, s37
	s_mul_i32 s33, s3, s33
	s_addc_u32 s7, s19, s36
	s_addc_u32 s19, s31, 0
	s_add_u32 s7, s7, s33
	s_addc_u32 s19, 0, s19
	v_add_co_u32 v1, s7, v1, s7
	s_delay_alu instid0(VALU_DEP_1) | instskip(SKIP_2) | instid1(VALU_DEP_1)
	s_cmp_lg_u32 s7, 0
	s_addc_u32 s3, s3, s19
	s_ashr_i32 s36, s25, 31
	v_readfirstlane_b32 s7, v1
	s_add_u32 s38, s24, s36
	s_mov_b32 s37, s36
	s_addc_u32 s39, s25, s36
	s_delay_alu instid0(SALU_CYCLE_1) | instskip(NEXT) | instid1(SALU_CYCLE_1)
	s_xor_b64 s[38:39], s[38:39], s[36:37]
	s_mul_i32 s31, s38, s3
	s_mul_hi_u32 s33, s38, s7
	s_mul_hi_u32 s19, s38, s3
	s_mul_hi_u32 s41, s39, s7
	s_mul_i32 s7, s39, s7
	s_add_u32 s31, s33, s31
	s_addc_u32 s19, 0, s19
	s_mul_hi_u32 s40, s39, s3
	s_add_u32 s7, s31, s7
	s_mul_i32 s3, s39, s3
	s_addc_u32 s7, s19, s41
	s_addc_u32 s19, s40, 0
	s_add_u32 s3, s7, s3
	s_addc_u32 s7, 0, s19
	s_mul_hi_u32 s19, s34, s3
	s_mul_i32 s33, s34, s7
	s_mul_i32 s40, s34, s3
	s_add_i32 s19, s19, s33
	v_sub_co_u32 v1, s33, s38, s40
	s_mul_i32 s31, s35, s3
	s_delay_alu instid0(SALU_CYCLE_1) | instskip(NEXT) | instid1(VALU_DEP_1)
	s_add_i32 s19, s19, s31
	v_sub_co_u32 v2, s38, v1, s34
	s_sub_i32 s31, s39, s19
	s_cmp_lg_u32 s33, 0
	s_subb_u32 s31, s31, s35
	s_cmp_lg_u32 s38, 0
	v_readfirstlane_b32 s38, v2
	s_subb_u32 s31, s31, 0
	s_delay_alu instid0(SALU_CYCLE_1) | instskip(SKIP_1) | instid1(VALU_DEP_1)
	s_cmp_ge_u32 s31, s35
	s_cselect_b32 s40, -1, 0
	s_cmp_ge_u32 s38, s34
	s_cselect_b32 s38, -1, 0
	s_cmp_eq_u32 s31, s35
	s_cselect_b32 s31, s38, s40
	s_add_u32 s38, s3, 1
	s_addc_u32 s40, s7, 0
	s_add_u32 s41, s3, 2
	s_addc_u32 s42, s7, 0
	s_cmp_lg_u32 s31, 0
	s_cselect_b32 s31, s41, s38
	s_cselect_b32 s38, s42, s40
	s_cmp_lg_u32 s33, 0
	v_readfirstlane_b32 s33, v1
	s_subb_u32 s19, s39, s19
	s_delay_alu instid0(SALU_CYCLE_1) | instskip(SKIP_1) | instid1(VALU_DEP_1)
	s_cmp_ge_u32 s19, s35
	s_cselect_b32 s39, -1, 0
	s_cmp_ge_u32 s33, s34
	s_cselect_b32 s33, -1, 0
	s_cmp_eq_u32 s19, s35
	s_cselect_b32 s19, s33, s39
	s_delay_alu instid0(SALU_CYCLE_1) | instskip(SKIP_3) | instid1(SALU_CYCLE_1)
	s_cmp_lg_u32 s19, 0
	s_cselect_b32 s35, s38, s7
	s_cselect_b32 s34, s31, s3
	s_xor_b64 s[26:27], s[36:37], s[26:27]
	s_xor_b64 s[34:35], s[34:35], s[26:27]
	s_delay_alu instid0(SALU_CYCLE_1)
	s_sub_u32 s26, s34, s26
	s_subb_u32 s27, s35, s27
	s_and_not1_b32 vcc_lo, exec_lo, s30
	s_cbranch_vccnz .LBB42_7
.LBB42_6:
	v_cvt_f32_u32_e32 v1, s28
	s_sub_i32 s7, 0, s28
	s_mov_b32 s27, 0
	s_delay_alu instid0(VALU_DEP_1) | instskip(SKIP_2) | instid1(VALU_DEP_1)
	v_rcp_iflag_f32_e32 v1, v1
	s_waitcnt_depctr 0xfff
	v_mul_f32_e32 v1, 0x4f7ffffe, v1
	v_cvt_u32_f32_e32 v1, v1
	s_delay_alu instid0(VALU_DEP_1) | instskip(NEXT) | instid1(VALU_DEP_1)
	v_readfirstlane_b32 s3, v1
	s_mul_i32 s7, s7, s3
	s_delay_alu instid0(SALU_CYCLE_1) | instskip(NEXT) | instid1(SALU_CYCLE_1)
	s_mul_hi_u32 s7, s3, s7
	s_add_i32 s3, s3, s7
	s_delay_alu instid0(SALU_CYCLE_1) | instskip(NEXT) | instid1(SALU_CYCLE_1)
	s_mul_hi_u32 s3, s24, s3
	s_mul_i32 s7, s3, s28
	s_add_i32 s19, s3, 1
	s_sub_i32 s7, s24, s7
	s_delay_alu instid0(SALU_CYCLE_1)
	s_sub_i32 s26, s7, s28
	s_cmp_ge_u32 s7, s28
	s_cselect_b32 s3, s19, s3
	s_cselect_b32 s7, s26, s7
	s_add_i32 s19, s3, 1
	s_cmp_ge_u32 s7, s28
	s_cselect_b32 s26, s19, s3
.LBB42_7:
	s_delay_alu instid0(SALU_CYCLE_1)
	s_mul_i32 s3, s26, s29
	s_mul_hi_u32 s7, s26, s28
	s_mul_i32 s19, s26, s28
	s_add_i32 s3, s7, s3
	s_mul_i32 s7, s27, s28
	s_mul_hi_u32 s31, s26, s4
	s_add_i32 s7, s3, s7
	s_sub_u32 s3, s24, s19
	s_subb_u32 s30, s25, s7
	s_mul_i32 s33, s27, s4
	s_mul_i32 s28, s26, s4
	s_mul_hi_u32 s27, s3, s5
	s_mul_i32 s30, s30, s5
	s_mul_i32 s24, s3, s5
	s_mov_b32 s34, exec_lo
	v_cmpx_gt_i32_e64 s18, v0
	s_cbranch_execz .LBB42_10
; %bb.8:
	s_mul_i32 s7, s2, s9
	s_mul_hi_u32 s9, s2, s8
	s_mul_i32 s8, s2, s8
	s_add_i32 s9, s9, s7
	s_ashr_i32 s19, s18, 31
	s_lshl_b64 s[38:39], s[8:9], 1
	s_load_b32 s37, s[0:1], 0x8c
	s_add_u32 s35, s12, s38
	s_addc_u32 s36, s13, s39
	s_ashr_i32 s7, s4, 31
	s_ashr_i32 s8, s5, 31
	s_mul_i32 s7, s26, s7
	s_mul_i32 s8, s3, s8
	s_add_i32 s7, s31, s7
	s_add_i32 s8, s27, s8
	;; [unrolled: 1-line block ×4, first 2 shown]
	s_lshl_b64 s[8:9], s[28:29], 1
	s_lshl_b64 s[40:41], s[24:25], 1
	v_dual_mov_b32 v4, v0 :: v_dual_lshlrev_b32 v1, 2, v0
	s_add_u32 s44, s8, s40
	s_addc_u32 s45, s9, s41
	s_add_u32 s8, s44, s16
	s_addc_u32 s9, s45, s17
	s_ashr_i32 s7, s6, 31
	v_lshlrev_b32_e32 v3, 1, v0
	s_lshl_b64 s[40:41], s[6:7], 1
	s_delay_alu instid0(SALU_CYCLE_1)
	s_add_u32 s7, s8, s40
	s_addc_u32 s25, s9, s41
	s_lshl_b64 s[8:9], s[22:23], 2
	s_waitcnt lgkmcnt(0)
	s_and_b32 s29, s37, 0xffff
	s_add_u32 s8, s20, s8
	s_addc_u32 s9, s21, s9
	v_add_co_u32 v1, s8, s8, v1
	s_lshl_b64 s[42:43], s[18:19], 1
	v_add_co_ci_u32_e64 v2, null, s9, 0, s8
	s_lshl_b32 s20, s29, 2
	s_lshl_b64 s[8:9], s[18:19], 2
	s_add_u32 s19, s38, s42
	s_addc_u32 s21, s39, s43
	s_add_u32 s12, s12, s19
	s_addc_u32 s13, s13, s21
	s_lshl_b32 s19, s29, 1
	s_add_u32 s21, s44, s42
	s_addc_u32 s23, s45, s43
	s_add_u32 s21, s21, s40
	s_addc_u32 s23, s23, s41
	s_add_u32 s21, s16, s21
	s_mov_b32 s22, 0
	s_addc_u32 s23, s17, s23
.LBB42_9:                               ; =>This Inner Loop Header: Depth=1
	v_add_co_u32 v7, s37, s35, v3
	v_add_co_u32 v5, vcc_lo, v1, s8
	v_add_co_ci_u32_e64 v8, null, s36, 0, s37
	v_add_co_u32 v9, s37, s12, v3
	v_add_co_ci_u32_e32 v6, vcc_lo, s9, v2, vcc_lo
	v_add_co_ci_u32_e64 v10, null, s13, 0, s37
	s_clause 0x1
	global_load_b32 v13, v[1:2], off
	global_load_b32 v14, v[5:6], off
	global_load_u16 v15, v[9:10], off
	global_load_u16 v16, v[7:8], off
	v_add_nc_u32_e32 v4, s29, v4
	v_add_co_u32 v1, vcc_lo, v1, s20
	s_add_u32 s12, s12, s19
	v_add_co_u32 v5, s37, s7, v3
	s_addc_u32 s13, s13, 0
	v_add_co_ci_u32_e32 v2, vcc_lo, 0, v2, vcc_lo
	s_add_u32 s35, s35, s19
	v_add_co_ci_u32_e64 v6, null, s25, 0, s37
	v_add_co_u32 v11, s37, s21, v3
	s_addc_u32 s36, s36, 0
	v_cmp_le_i32_e32 vcc_lo, s18, v4
	s_add_u32 s21, s21, s19
	v_add_co_ci_u32_e64 v12, null, s23, 0, s37
	s_addc_u32 s23, s23, 0
	s_add_u32 s7, s7, s19
	s_addc_u32 s25, s25, 0
	s_or_b32 s22, vcc_lo, s22
	s_waitcnt vmcnt(3)
	v_cvt_f16_f32_e32 v13, v13
	s_waitcnt vmcnt(2)
	v_cvt_f16_f32_e32 v14, v14
	s_waitcnt vmcnt(1)
	s_delay_alu instid0(VALU_DEP_2) | instskip(NEXT) | instid1(VALU_DEP_2)
	v_mul_f16_e32 v17, v15, v13
	v_mul_f16_e32 v15, v15, v14
	s_waitcnt vmcnt(0)
	s_delay_alu instid0(VALU_DEP_2) | instskip(NEXT) | instid1(VALU_DEP_2)
	v_fmac_f16_e32 v17, v16, v14
	v_fma_f16 v13, v16, v13, -v15
	global_store_b16 v[7:8], v13, off
	global_store_b16 v[9:10], v17, off
	global_store_b16 v[5:6], v13, off
	global_store_b16 v[11:12], v17, off
	s_and_not1_b32 exec_lo, exec_lo, s22
	s_cbranch_execnz .LBB42_9
.LBB42_10:
	s_or_b32 exec_lo, exec_lo, s34
	s_delay_alu instid0(SALU_CYCLE_1)
	s_mov_b32 s7, exec_lo
	v_cmpx_gt_i32_e64 s6, v0
	s_cbranch_execz .LBB42_13
; %bb.11:
	s_mul_i32 s7, s2, s11
	s_mul_hi_u32 s9, s2, s10
	s_mul_i32 s8, s2, s10
	s_add_i32 s9, s9, s7
	s_delay_alu instid0(SALU_CYCLE_1) | instskip(NEXT) | instid1(SALU_CYCLE_1)
	s_lshl_b64 s[8:9], s[8:9], 1
	s_add_u32 s2, s14, s8
	s_addc_u32 s7, s15, s9
	s_ashr_i32 s4, s4, 31
	s_load_b32 s8, s[0:1], 0x8c
	s_mul_i32 s4, s26, s4
	s_delay_alu instid0(SALU_CYCLE_1) | instskip(NEXT) | instid1(SALU_CYCLE_1)
	s_add_i32 s0, s31, s4
	s_add_i32 s29, s0, s33
	s_delay_alu instid0(SALU_CYCLE_1) | instskip(NEXT) | instid1(SALU_CYCLE_1)
	s_lshl_b64 s[0:1], s[28:29], 1
	s_add_u32 s0, s16, s0
	s_addc_u32 s9, s17, s1
	s_ashr_i32 s1, s5, 31
	s_delay_alu instid0(SALU_CYCLE_1) | instskip(NEXT) | instid1(SALU_CYCLE_1)
	s_mul_i32 s3, s3, s1
	s_add_i32 s1, s27, s3
	s_delay_alu instid0(SALU_CYCLE_1) | instskip(NEXT) | instid1(SALU_CYCLE_1)
	s_add_i32 s25, s1, s30
	s_lshl_b64 s[4:5], s[24:25], 1
	s_delay_alu instid0(SALU_CYCLE_1)
	s_add_u32 s1, s0, s4
	s_addc_u32 s3, s9, s5
	s_waitcnt lgkmcnt(0)
	s_and_b32 s4, s8, 0xffff
	s_mov_b32 s5, 0
	.p2align	6
.LBB42_12:                              ; =>This Inner Loop Header: Depth=1
	v_ashrrev_i32_e32 v1, 31, v0
	s_delay_alu instid0(VALU_DEP_1) | instskip(SKIP_1) | instid1(VALU_DEP_2)
	v_lshlrev_b64 v[1:2], 1, v[0:1]
	v_add_nc_u32_e32 v0, s4, v0
	v_add_co_u32 v3, vcc_lo, s2, v1
	s_delay_alu instid0(VALU_DEP_3) | instskip(NEXT) | instid1(VALU_DEP_3)
	v_add_co_ci_u32_e32 v4, vcc_lo, s7, v2, vcc_lo
	v_cmp_le_i32_e32 vcc_lo, s6, v0
	v_add_co_u32 v1, s0, s1, v1
	global_load_u16 v3, v[3:4], off
	v_add_co_ci_u32_e64 v2, s0, s3, v2, s0
	s_or_b32 s5, vcc_lo, s5
	s_waitcnt vmcnt(0)
	global_store_b16 v[1:2], v3, off
	s_and_not1_b32 exec_lo, exec_lo, s5
	s_cbranch_execnz .LBB42_12
.LBB42_13:
	s_nop 0
	s_sendmsg sendmsg(MSG_DEALLOC_VGPRS)
	s_endpgm
.LBB42_14:
                                        ; implicit-def: $sgpr26_sgpr27
	s_branch .LBB42_6
	.section	.rodata,"a",@progbits
	.p2align	6, 0x0
	.amdhsa_kernel _ZN4vllm38concat_and_cache_mla_rope_fused_kernelIN3c104HalfEfLb1E14__hip_bfloat16S3_LNS_18Fp8KVCacheDataTypeE0EEEvPKlPT_S8_PKS7_PKT0_illlliPT3_S6_iiiiPKf
		.amdhsa_group_segment_fixed_size 0
		.amdhsa_private_segment_fixed_size 0
		.amdhsa_kernarg_size 384
		.amdhsa_user_sgpr_count 15
		.amdhsa_user_sgpr_dispatch_ptr 0
		.amdhsa_user_sgpr_queue_ptr 0
		.amdhsa_user_sgpr_kernarg_segment_ptr 1
		.amdhsa_user_sgpr_dispatch_id 0
		.amdhsa_user_sgpr_private_segment_size 0
		.amdhsa_wavefront_size32 1
		.amdhsa_uses_dynamic_stack 0
		.amdhsa_enable_private_segment 0
		.amdhsa_system_sgpr_workgroup_id_x 1
		.amdhsa_system_sgpr_workgroup_id_y 0
		.amdhsa_system_sgpr_workgroup_id_z 0
		.amdhsa_system_sgpr_workgroup_info 0
		.amdhsa_system_vgpr_workitem_id 0
		.amdhsa_next_free_vgpr 18
		.amdhsa_next_free_sgpr 46
		.amdhsa_reserve_vcc 1
		.amdhsa_float_round_mode_32 0
		.amdhsa_float_round_mode_16_64 0
		.amdhsa_float_denorm_mode_32 3
		.amdhsa_float_denorm_mode_16_64 3
		.amdhsa_dx10_clamp 1
		.amdhsa_ieee_mode 1
		.amdhsa_fp16_overflow 0
		.amdhsa_workgroup_processor_mode 1
		.amdhsa_memory_ordered 1
		.amdhsa_forward_progress 0
		.amdhsa_shared_vgpr_count 0
		.amdhsa_exception_fp_ieee_invalid_op 0
		.amdhsa_exception_fp_denorm_src 0
		.amdhsa_exception_fp_ieee_div_zero 0
		.amdhsa_exception_fp_ieee_overflow 0
		.amdhsa_exception_fp_ieee_underflow 0
		.amdhsa_exception_fp_ieee_inexact 0
		.amdhsa_exception_int_div_zero 0
	.end_amdhsa_kernel
	.section	.text._ZN4vllm38concat_and_cache_mla_rope_fused_kernelIN3c104HalfEfLb1E14__hip_bfloat16S3_LNS_18Fp8KVCacheDataTypeE0EEEvPKlPT_S8_PKS7_PKT0_illlliPT3_S6_iiiiPKf,"axG",@progbits,_ZN4vllm38concat_and_cache_mla_rope_fused_kernelIN3c104HalfEfLb1E14__hip_bfloat16S3_LNS_18Fp8KVCacheDataTypeE0EEEvPKlPT_S8_PKS7_PKT0_illlliPT3_S6_iiiiPKf,comdat
.Lfunc_end42:
	.size	_ZN4vllm38concat_and_cache_mla_rope_fused_kernelIN3c104HalfEfLb1E14__hip_bfloat16S3_LNS_18Fp8KVCacheDataTypeE0EEEvPKlPT_S8_PKS7_PKT0_illlliPT3_S6_iiiiPKf, .Lfunc_end42-_ZN4vllm38concat_and_cache_mla_rope_fused_kernelIN3c104HalfEfLb1E14__hip_bfloat16S3_LNS_18Fp8KVCacheDataTypeE0EEEvPKlPT_S8_PKS7_PKT0_illlliPT3_S6_iiiiPKf
                                        ; -- End function
	.section	.AMDGPU.csdata,"",@progbits
; Kernel info:
; codeLenInByte = 2368
; NumSgprs: 48
; NumVgprs: 18
; ScratchSize: 0
; MemoryBound: 0
; FloatMode: 240
; IeeeMode: 1
; LDSByteSize: 0 bytes/workgroup (compile time only)
; SGPRBlocks: 5
; VGPRBlocks: 2
; NumSGPRsForWavesPerEU: 48
; NumVGPRsForWavesPerEU: 18
; Occupancy: 16
; WaveLimiterHint : 1
; COMPUTE_PGM_RSRC2:SCRATCH_EN: 0
; COMPUTE_PGM_RSRC2:USER_SGPR: 15
; COMPUTE_PGM_RSRC2:TRAP_HANDLER: 0
; COMPUTE_PGM_RSRC2:TGID_X_EN: 1
; COMPUTE_PGM_RSRC2:TGID_Y_EN: 0
; COMPUTE_PGM_RSRC2:TGID_Z_EN: 0
; COMPUTE_PGM_RSRC2:TIDIG_COMP_CNT: 0
	.section	.text._ZN4vllm38concat_and_cache_mla_rope_fused_kernelIN3c104HalfEfLb0E14__hip_bfloat16S3_LNS_18Fp8KVCacheDataTypeE0EEEvPKlPT_S8_PKS7_PKT0_illlliPT3_S6_iiiiPKf,"axG",@progbits,_ZN4vllm38concat_and_cache_mla_rope_fused_kernelIN3c104HalfEfLb0E14__hip_bfloat16S3_LNS_18Fp8KVCacheDataTypeE0EEEvPKlPT_S8_PKS7_PKT0_illlliPT3_S6_iiiiPKf,comdat
	.protected	_ZN4vllm38concat_and_cache_mla_rope_fused_kernelIN3c104HalfEfLb0E14__hip_bfloat16S3_LNS_18Fp8KVCacheDataTypeE0EEEvPKlPT_S8_PKS7_PKT0_illlliPT3_S6_iiiiPKf ; -- Begin function _ZN4vllm38concat_and_cache_mla_rope_fused_kernelIN3c104HalfEfLb0E14__hip_bfloat16S3_LNS_18Fp8KVCacheDataTypeE0EEEvPKlPT_S8_PKS7_PKT0_illlliPT3_S6_iiiiPKf
	.globl	_ZN4vllm38concat_and_cache_mla_rope_fused_kernelIN3c104HalfEfLb0E14__hip_bfloat16S3_LNS_18Fp8KVCacheDataTypeE0EEEvPKlPT_S8_PKS7_PKT0_illlliPT3_S6_iiiiPKf
	.p2align	8
	.type	_ZN4vllm38concat_and_cache_mla_rope_fused_kernelIN3c104HalfEfLb0E14__hip_bfloat16S3_LNS_18Fp8KVCacheDataTypeE0EEEvPKlPT_S8_PKS7_PKT0_illlliPT3_S6_iiiiPKf,@function
_ZN4vllm38concat_and_cache_mla_rope_fused_kernelIN3c104HalfEfLb0E14__hip_bfloat16S3_LNS_18Fp8KVCacheDataTypeE0EEEvPKlPT_S8_PKS7_PKT0_illlliPT3_S6_iiiiPKf: ; @_ZN4vllm38concat_and_cache_mla_rope_fused_kernelIN3c104HalfEfLb0E14__hip_bfloat16S3_LNS_18Fp8KVCacheDataTypeE0EEEvPKlPT_S8_PKS7_PKT0_illlliPT3_S6_iiiiPKf
; %bb.0:
	s_load_b64 s[6:7], s[0:1], 0x60
	s_mov_b32 s2, s15
	s_mov_b32 s3, 0
	s_delay_alu instid0(SALU_CYCLE_1)
	s_lshl_b64 s[4:5], s[2:3], 3
	s_waitcnt lgkmcnt(0)
	s_add_u32 s6, s6, s4
	s_addc_u32 s7, s7, s5
	s_load_b64 s[22:23], s[6:7], 0x0
	s_waitcnt lgkmcnt(0)
	v_cmp_lt_i64_e64 s3, s[22:23], 0
	s_delay_alu instid0(VALU_DEP_1)
	s_and_b32 vcc_lo, exec_lo, s3
	s_cbranch_vccnz .LBB43_13
; %bb.1:
	s_clause 0x3
	s_load_b32 s19, s[0:1], 0x28
	s_load_b64 s[6:7], s[0:1], 0x0
	s_load_b128 s[12:15], s[0:1], 0x10
	s_load_b32 s3, s[0:1], 0x50
	s_waitcnt lgkmcnt(0)
	s_ashr_i32 s26, s19, 31
	s_add_u32 s4, s6, s4
	s_addc_u32 s5, s7, s5
	s_lshr_b32 s18, s19, 31
	s_load_b64 s[24:25], s[4:5], 0x0
	s_clause 0x2
	s_load_b64 s[20:21], s[0:1], 0x20
	s_load_b64 s[16:17], s[0:1], 0x58
	s_load_b256 s[4:11], s[0:1], 0x30
	s_add_i32 s18, s19, s18
	s_delay_alu instid0(SALU_CYCLE_1) | instskip(NEXT) | instid1(SALU_CYCLE_1)
	s_ashr_i32 s18, s18, 1
	s_mul_i32 s3, s18, s3
	s_waitcnt lgkmcnt(0)
	s_mul_i32 s26, s24, s26
	s_mul_hi_u32 s27, s24, s19
	s_mul_i32 s25, s25, s19
	s_add_i32 s26, s27, s26
	s_mul_i32 s24, s24, s19
	s_add_i32 s25, s26, s25
	s_mov_b32 s26, exec_lo
	v_cmpx_gt_i32_e64 s3, v0
	s_cbranch_execz .LBB43_4
; %bb.2:
	s_clause 0x1
	s_load_b64 s[30:31], s[0:1], 0x8
	s_load_b32 s34, s[0:1], 0x8c
	s_lshl_b64 s[28:29], s[24:25], 2
	s_mul_i32 s5, s2, s5
	s_mul_hi_u32 s19, s2, s4
	s_add_u32 s27, s20, s28
	s_mul_i32 s4, s2, s4
	s_addc_u32 s28, s21, s29
	s_add_i32 s5, s19, s5
	s_ashr_i32 s19, s18, 31
	s_lshl_b64 s[4:5], s[4:5], 1
	s_mov_b32 s33, 0
	s_waitcnt lgkmcnt(0)
	s_add_u32 s29, s30, s4
	s_addc_u32 s30, s31, s5
	s_abs_i32 s31, s18
	s_and_b32 s34, s34, 0xffff
	v_cvt_f32_u32_e32 v1, s31
	s_sub_i32 s4, 0, s31
	s_sub_i32 s35, 0, s18
	s_lshl_b32 s37, s34, 1
	s_delay_alu instid0(VALU_DEP_1) | instskip(SKIP_2) | instid1(VALU_DEP_1)
	v_rcp_iflag_f32_e32 v1, v1
	s_waitcnt_depctr 0xfff
	v_mul_f32_e32 v1, 0x4f7ffffe, v1
	v_cvt_u32_f32_e32 v2, v1
	s_delay_alu instid0(VALU_DEP_1) | instskip(SKIP_1) | instid1(SALU_CYCLE_1)
	v_mul_lo_u32 v1, s4, v2
	s_lshl_b32 s4, s18, 1
	s_sub_i32 s36, 0, s4
	s_lshl_b64 s[4:5], s[18:19], 2
	s_delay_alu instid0(VALU_DEP_1) | instskip(SKIP_1) | instid1(VALU_DEP_2)
	v_mul_hi_u32 v3, v2, v1
	v_lshlrev_b32_e32 v1, 1, v0
	v_dual_mov_b32 v2, v0 :: v_dual_add_nc_u32 v3, v2, v3
.LBB43_3:                               ; =>This Inner Loop Header: Depth=1
	s_delay_alu instid0(VALU_DEP_1) | instskip(SKIP_1) | instid1(VALU_DEP_2)
	v_sub_nc_u32_e32 v4, 0, v2
	v_ashrrev_i32_e32 v5, 31, v2
	v_max_i32_e32 v4, v2, v4
	s_delay_alu instid0(VALU_DEP_2) | instskip(NEXT) | instid1(VALU_DEP_2)
	v_xor_b32_e32 v5, s19, v5
	v_mul_hi_u32 v6, v4, v3
	s_delay_alu instid0(VALU_DEP_1) | instskip(SKIP_1) | instid1(VALU_DEP_2)
	v_mul_lo_u32 v7, v6, s31
	v_add_nc_u32_e32 v8, 1, v6
	v_sub_nc_u32_e32 v4, v4, v7
	s_delay_alu instid0(VALU_DEP_1) | instskip(SKIP_1) | instid1(VALU_DEP_4)
	v_subrev_nc_u32_e32 v7, s31, v4
	v_cmp_le_u32_e32 vcc_lo, s31, v4
	v_cndmask_b32_e32 v6, v6, v8, vcc_lo
	s_delay_alu instid0(VALU_DEP_1) | instskip(NEXT) | instid1(VALU_DEP_1)
	v_dual_cndmask_b32 v4, v4, v7 :: v_dual_add_nc_u32 v7, 1, v6
	v_cmp_le_u32_e32 vcc_lo, s31, v4
	s_delay_alu instid0(VALU_DEP_2) | instskip(NEXT) | instid1(VALU_DEP_1)
	v_cndmask_b32_e32 v4, v6, v7, vcc_lo
	v_xor_b32_e32 v4, v4, v5
	s_delay_alu instid0(VALU_DEP_1) | instskip(NEXT) | instid1(VALU_DEP_1)
	v_sub_nc_u32_e32 v10, v4, v5
	v_mad_u64_u32 v[4:5], null, s35, v10, v[2:3]
	v_ashrrev_i32_e32 v5, 31, v10
	v_mul_lo_u32 v11, v10, s7
	v_mad_u64_u32 v[6:7], null, v10, s6, 0
	v_mad_u64_u32 v[8:9], null, s36, v10, v[1:2]
	s_delay_alu instid0(VALU_DEP_4) | instskip(SKIP_3) | instid1(VALU_DEP_3)
	v_mul_lo_u32 v10, v5, s6
	v_ashrrev_i32_e32 v5, 31, v4
	v_add_nc_u32_e32 v2, s34, v2
	v_add_nc_u32_e32 v1, s37, v1
	v_lshlrev_b64 v[4:5], 2, v[4:5]
	v_ashrrev_i32_e32 v9, 31, v8
	v_add3_u32 v7, v7, v11, v10
	s_delay_alu instid0(VALU_DEP_3) | instskip(NEXT) | instid1(VALU_DEP_2)
	v_add_co_u32 v4, vcc_lo, s27, v4
	v_lshlrev_b64 v[6:7], 1, v[6:7]
	v_add_co_ci_u32_e32 v5, vcc_lo, s28, v5, vcc_lo
	v_lshlrev_b64 v[8:9], 1, v[8:9]
	s_delay_alu instid0(VALU_DEP_3) | instskip(NEXT) | instid1(VALU_DEP_4)
	v_add_co_u32 v10, vcc_lo, s29, v6
	v_add_co_ci_u32_e32 v11, vcc_lo, s30, v7, vcc_lo
	v_add_co_u32 v6, vcc_lo, v4, s4
	v_add_co_ci_u32_e32 v7, vcc_lo, s5, v5, vcc_lo
	s_delay_alu instid0(VALU_DEP_4) | instskip(NEXT) | instid1(VALU_DEP_4)
	v_add_co_u32 v8, vcc_lo, v10, v8
	v_add_co_ci_u32_e32 v9, vcc_lo, v11, v9, vcc_lo
	s_clause 0x1
	global_load_b32 v4, v[4:5], off
	global_load_b32 v5, v[6:7], off
	;; [unrolled: 1-line block ×3, first 2 shown]
	v_cmp_le_i32_e32 vcc_lo, s3, v2
	s_or_b32 s33, vcc_lo, s33
	s_waitcnt vmcnt(2)
	v_cvt_f16_f32_e32 v4, v4
	s_waitcnt vmcnt(1)
	v_cvt_f16_f32_e32 v5, v5
	s_waitcnt vmcnt(0)
	v_lshrrev_b32_e32 v7, 16, v6
	s_delay_alu instid0(VALU_DEP_1) | instskip(SKIP_1) | instid1(VALU_DEP_2)
	v_mul_f16_e32 v10, v7, v5
	v_mul_f16_e32 v7, v7, v4
	v_fma_f16 v4, v6, v4, -v10
	s_delay_alu instid0(VALU_DEP_2) | instskip(NEXT) | instid1(VALU_DEP_1)
	v_fmac_f16_e32 v7, v6, v5
	v_pack_b32_f16 v4, v4, v7
	global_store_b32 v[8:9], v4, off
	s_and_not1_b32 exec_lo, exec_lo, s33
	s_cbranch_execnz .LBB43_3
.LBB43_4:
	s_or_b32 exec_lo, exec_lo, s26
	s_load_b128 s[4:7], s[0:1], 0x68
	s_waitcnt lgkmcnt(0)
	s_ashr_i32 s27, s7, 31
	s_mov_b32 s26, s7
	s_delay_alu instid0(SALU_CYCLE_1) | instskip(SKIP_1) | instid1(SALU_CYCLE_1)
	s_or_b64 s[30:31], s[22:23], s[26:27]
	s_mov_b32 s30, 0
	s_cmp_lg_u64 s[30:31], 0
	s_cbranch_scc0 .LBB43_14
; %bb.5:
	s_add_u32 s34, s26, s27
	s_mov_b32 s28, s27
	s_mov_b32 s29, s27
	s_addc_u32 s35, s27, s27
	s_delay_alu instid0(SALU_CYCLE_1) | instskip(NEXT) | instid1(SALU_CYCLE_1)
	s_xor_b64 s[34:35], s[34:35], s[28:29]
	v_cvt_f32_u32_e32 v1, s34
	v_cvt_f32_u32_e32 v2, s35
	s_sub_u32 s19, 0, s34
	s_subb_u32 s31, 0, s35
	s_delay_alu instid0(VALU_DEP_1) | instskip(NEXT) | instid1(VALU_DEP_1)
	v_fmamk_f32 v1, v2, 0x4f800000, v1
	v_rcp_f32_e32 v1, v1
	s_waitcnt_depctr 0xfff
	v_mul_f32_e32 v1, 0x5f7ffffc, v1
	s_delay_alu instid0(VALU_DEP_1) | instskip(NEXT) | instid1(VALU_DEP_1)
	v_mul_f32_e32 v2, 0x2f800000, v1
	v_trunc_f32_e32 v2, v2
	s_delay_alu instid0(VALU_DEP_1) | instskip(SKIP_1) | instid1(VALU_DEP_2)
	v_fmamk_f32 v1, v2, 0xcf800000, v1
	v_cvt_u32_f32_e32 v2, v2
	v_cvt_u32_f32_e32 v1, v1
	s_delay_alu instid0(VALU_DEP_2) | instskip(NEXT) | instid1(VALU_DEP_2)
	v_readfirstlane_b32 s3, v2
	v_readfirstlane_b32 s7, v1
	s_delay_alu instid0(VALU_DEP_2) | instskip(NEXT) | instid1(VALU_DEP_1)
	s_mul_i32 s33, s19, s3
	s_mul_hi_u32 s37, s19, s7
	s_mul_i32 s36, s31, s7
	s_add_i32 s33, s37, s33
	s_mul_i32 s38, s19, s7
	s_add_i32 s33, s33, s36
	s_mul_hi_u32 s37, s7, s38
	s_mul_hi_u32 s39, s3, s38
	s_mul_i32 s36, s3, s38
	s_mul_hi_u32 s38, s7, s33
	s_mul_i32 s7, s7, s33
	s_mul_hi_u32 s40, s3, s33
	s_add_u32 s7, s37, s7
	s_addc_u32 s37, 0, s38
	s_add_u32 s7, s7, s36
	s_mul_i32 s33, s3, s33
	s_addc_u32 s7, s37, s39
	s_addc_u32 s36, s40, 0
	s_add_u32 s7, s7, s33
	s_addc_u32 s33, 0, s36
	v_add_co_u32 v1, s7, v1, s7
	s_delay_alu instid0(VALU_DEP_1) | instskip(SKIP_1) | instid1(VALU_DEP_1)
	s_cmp_lg_u32 s7, 0
	s_addc_u32 s3, s3, s33
	v_readfirstlane_b32 s7, v1
	s_mul_i32 s33, s19, s3
	s_delay_alu instid0(VALU_DEP_1)
	s_mul_hi_u32 s36, s19, s7
	s_mul_i32 s31, s31, s7
	s_add_i32 s33, s36, s33
	s_mul_i32 s19, s19, s7
	s_add_i32 s33, s33, s31
	s_mul_hi_u32 s36, s3, s19
	s_mul_i32 s37, s3, s19
	s_mul_hi_u32 s19, s7, s19
	s_mul_hi_u32 s38, s7, s33
	s_mul_i32 s7, s7, s33
	s_mul_hi_u32 s31, s3, s33
	s_add_u32 s7, s19, s7
	s_addc_u32 s19, 0, s38
	s_add_u32 s7, s7, s37
	s_mul_i32 s33, s3, s33
	s_addc_u32 s7, s19, s36
	s_addc_u32 s19, s31, 0
	s_add_u32 s7, s7, s33
	s_addc_u32 s19, 0, s19
	v_add_co_u32 v1, s7, v1, s7
	s_delay_alu instid0(VALU_DEP_1) | instskip(SKIP_2) | instid1(VALU_DEP_1)
	s_cmp_lg_u32 s7, 0
	s_addc_u32 s3, s3, s19
	s_ashr_i32 s36, s23, 31
	v_readfirstlane_b32 s7, v1
	s_add_u32 s38, s22, s36
	s_mov_b32 s37, s36
	s_addc_u32 s39, s23, s36
	s_delay_alu instid0(SALU_CYCLE_1) | instskip(NEXT) | instid1(SALU_CYCLE_1)
	s_xor_b64 s[38:39], s[38:39], s[36:37]
	s_mul_i32 s31, s38, s3
	s_mul_hi_u32 s33, s38, s7
	s_mul_hi_u32 s19, s38, s3
	;; [unrolled: 1-line block ×3, first 2 shown]
	s_mul_i32 s7, s39, s7
	s_add_u32 s31, s33, s31
	s_addc_u32 s19, 0, s19
	s_mul_hi_u32 s40, s39, s3
	s_add_u32 s7, s31, s7
	s_mul_i32 s3, s39, s3
	s_addc_u32 s7, s19, s41
	s_addc_u32 s19, s40, 0
	s_add_u32 s3, s7, s3
	s_addc_u32 s7, 0, s19
	s_mul_hi_u32 s19, s34, s3
	s_mul_i32 s33, s34, s7
	s_mul_i32 s40, s34, s3
	s_add_i32 s19, s19, s33
	v_sub_co_u32 v1, s33, s38, s40
	s_mul_i32 s31, s35, s3
	s_delay_alu instid0(SALU_CYCLE_1) | instskip(NEXT) | instid1(VALU_DEP_1)
	s_add_i32 s19, s19, s31
	v_sub_co_u32 v2, s38, v1, s34
	s_sub_i32 s31, s39, s19
	s_cmp_lg_u32 s33, 0
	s_subb_u32 s31, s31, s35
	s_cmp_lg_u32 s38, 0
	v_readfirstlane_b32 s38, v2
	s_subb_u32 s31, s31, 0
	s_delay_alu instid0(SALU_CYCLE_1) | instskip(SKIP_1) | instid1(VALU_DEP_1)
	s_cmp_ge_u32 s31, s35
	s_cselect_b32 s40, -1, 0
	s_cmp_ge_u32 s38, s34
	s_cselect_b32 s38, -1, 0
	s_cmp_eq_u32 s31, s35
	s_cselect_b32 s31, s38, s40
	s_add_u32 s38, s3, 1
	s_addc_u32 s40, s7, 0
	s_add_u32 s41, s3, 2
	s_addc_u32 s42, s7, 0
	s_cmp_lg_u32 s31, 0
	s_cselect_b32 s31, s41, s38
	s_cselect_b32 s38, s42, s40
	s_cmp_lg_u32 s33, 0
	v_readfirstlane_b32 s33, v1
	s_subb_u32 s19, s39, s19
	s_delay_alu instid0(SALU_CYCLE_1) | instskip(SKIP_1) | instid1(VALU_DEP_1)
	s_cmp_ge_u32 s19, s35
	s_cselect_b32 s39, -1, 0
	s_cmp_ge_u32 s33, s34
	s_cselect_b32 s33, -1, 0
	s_cmp_eq_u32 s19, s35
	s_cselect_b32 s19, s33, s39
	s_delay_alu instid0(SALU_CYCLE_1) | instskip(SKIP_3) | instid1(SALU_CYCLE_1)
	s_cmp_lg_u32 s19, 0
	s_cselect_b32 s35, s38, s7
	s_cselect_b32 s34, s31, s3
	s_xor_b64 s[28:29], s[36:37], s[28:29]
	s_xor_b64 s[34:35], s[34:35], s[28:29]
	s_delay_alu instid0(SALU_CYCLE_1)
	s_sub_u32 s28, s34, s28
	s_subb_u32 s29, s35, s29
	s_and_not1_b32 vcc_lo, exec_lo, s30
	s_cbranch_vccnz .LBB43_7
.LBB43_6:
	v_cvt_f32_u32_e32 v1, s26
	s_sub_i32 s7, 0, s26
	s_mov_b32 s29, 0
	s_delay_alu instid0(VALU_DEP_1) | instskip(SKIP_2) | instid1(VALU_DEP_1)
	v_rcp_iflag_f32_e32 v1, v1
	s_waitcnt_depctr 0xfff
	v_mul_f32_e32 v1, 0x4f7ffffe, v1
	v_cvt_u32_f32_e32 v1, v1
	s_delay_alu instid0(VALU_DEP_1) | instskip(NEXT) | instid1(VALU_DEP_1)
	v_readfirstlane_b32 s3, v1
	s_mul_i32 s7, s7, s3
	s_delay_alu instid0(SALU_CYCLE_1) | instskip(NEXT) | instid1(SALU_CYCLE_1)
	s_mul_hi_u32 s7, s3, s7
	s_add_i32 s3, s3, s7
	s_delay_alu instid0(SALU_CYCLE_1) | instskip(NEXT) | instid1(SALU_CYCLE_1)
	s_mul_hi_u32 s3, s22, s3
	s_mul_i32 s7, s3, s26
	s_add_i32 s19, s3, 1
	s_sub_i32 s7, s22, s7
	s_delay_alu instid0(SALU_CYCLE_1)
	s_sub_i32 s28, s7, s26
	s_cmp_ge_u32 s7, s26
	s_cselect_b32 s3, s19, s3
	s_cselect_b32 s7, s28, s7
	s_add_i32 s19, s3, 1
	s_cmp_ge_u32 s7, s26
	s_cselect_b32 s28, s19, s3
.LBB43_7:
	s_delay_alu instid0(SALU_CYCLE_1)
	s_mul_i32 s3, s28, s27
	s_mul_hi_u32 s7, s28, s26
	s_mul_i32 s19, s28, s26
	s_add_i32 s3, s7, s3
	s_mul_i32 s7, s29, s26
	s_mul_hi_u32 s31, s28, s4
	s_add_i32 s7, s3, s7
	s_sub_u32 s3, s22, s19
	s_subb_u32 s30, s23, s7
	s_mul_i32 s33, s29, s4
	s_mul_i32 s26, s28, s4
	s_mul_hi_u32 s29, s3, s5
	s_mul_i32 s30, s30, s5
	s_mul_i32 s22, s3, s5
	s_mov_b32 s34, exec_lo
	v_cmpx_gt_i32_e64 s18, v0
	s_cbranch_execz .LBB43_10
; %bb.8:
	s_load_b32 s23, s[0:1], 0x8c
	s_ashr_i32 s27, s4, 31
	s_ashr_i32 s35, s5, 31
	s_lshl_b64 s[36:37], s[24:25], 2
	s_ashr_i32 s19, s18, 31
	s_ashr_i32 s7, s6, 31
	s_mul_i32 s25, s28, s27
	s_mul_i32 s27, s3, s35
	v_lshlrev_b32_e32 v7, 2, v0
	s_mul_i32 s9, s9, s2
	v_mov_b32_e32 v9, v0
	s_waitcnt lgkmcnt(0)
	s_and_b32 s24, s23, 0xffff
	s_add_u32 s35, s20, s36
	s_addc_u32 s21, s21, s37
	s_lshl_b64 s[36:37], s[18:19], 2
	s_add_i32 s19, s31, s25
	s_add_i32 s23, s29, s27
	;; [unrolled: 1-line block ×4, first 2 shown]
	s_lshl_b64 s[38:39], s[26:27], 1
	s_lshl_b64 s[40:41], s[22:23], 1
	v_add_co_u32 v1, s19, s35, v7
	s_lshl_b32 s20, s24, 2
	v_add_co_ci_u32_e64 v2, null, s21, 0, s19
	s_add_u32 s19, s38, s40
	s_addc_u32 s21, s39, s41
	s_lshl_b64 s[38:39], s[6:7], 1
	v_add_co_u32 v3, vcc_lo, v1, s36
	s_add_u32 s7, s16, s38
	s_addc_u32 s23, s17, s39
	s_add_u32 s7, s7, s19
	s_mul_hi_u32 s19, s8, s2
	s_addc_u32 s21, s23, s21
	s_add_i32 s9, s19, s9
	s_mul_i32 s8, s8, s2
	v_add_co_u32 v5, s7, s7, v7
	s_lshl_b64 s[8:9], s[8:9], 1
	v_add_co_ci_u32_e64 v6, null, s21, 0, s7
	s_add_u32 s7, s12, s8
	v_add_co_ci_u32_e32 v4, vcc_lo, s37, v2, vcc_lo
	v_add_co_u32 v5, vcc_lo, v5, 2
	s_addc_u32 s8, s13, s9
	v_add_co_u32 v7, s7, s7, v7
	v_add_co_ci_u32_e32 v6, vcc_lo, 0, v6, vcc_lo
	v_add_co_ci_u32_e64 v8, null, s8, 0, s7
	s_mov_b32 s7, 0
	s_mov_b64 s[8:9], 0
	s_set_inst_prefetch_distance 0x1
	.p2align	6
.LBB43_9:                               ; =>This Inner Loop Header: Depth=1
	v_add_co_u32 v10, vcc_lo, v3, s8
	v_add_co_ci_u32_e32 v11, vcc_lo, s9, v4, vcc_lo
	v_add_co_u32 v12, vcc_lo, v7, s8
	v_add_co_ci_u32_e32 v13, vcc_lo, s9, v8, vcc_lo
	;; [unrolled: 2-line block ×3, first 2 shown]
	global_load_b32 v10, v[10:11], off
	global_load_b32 v11, v[12:13], off
	;; [unrolled: 1-line block ×3, first 2 shown]
	v_add_nc_u32_e32 v9, s24, v9
	s_waitcnt vmcnt(2)
	v_cvt_f16_f32_e32 v15, v10
	s_waitcnt vmcnt(1)
	v_lshrrev_b32_e32 v10, 16, v11
	s_waitcnt vmcnt(0)
	v_cvt_f16_f32_e32 v14, v14
	s_delay_alu instid0(VALU_DEP_2) | instskip(NEXT) | instid1(VALU_DEP_2)
	v_mul_f16_e32 v16, v10, v15
	v_mul_f16_e32 v17, v10, v14
	v_add_co_u32 v10, vcc_lo, v5, s8
	s_add_u32 s8, s8, s20
	s_delay_alu instid0(VALU_DEP_3) | instskip(NEXT) | instid1(VALU_DEP_3)
	v_fma_f16 v14, v11, v14, -v16
	v_fmac_f16_e32 v17, v11, v15
	v_add_co_ci_u32_e32 v11, vcc_lo, s9, v6, vcc_lo
	v_cmp_le_i32_e32 vcc_lo, s18, v9
	s_addc_u32 s9, s9, 0
	s_delay_alu instid0(VALU_DEP_3) | instskip(SKIP_3) | instid1(SALU_CYCLE_1)
	v_pack_b32_f16 v14, v14, v17
	global_store_b32 v[12:13], v14, off
	global_store_b32 v[10:11], v14, off offset:-2
	s_or_b32 s7, vcc_lo, s7
	s_and_not1_b32 exec_lo, exec_lo, s7
	s_cbranch_execnz .LBB43_9
.LBB43_10:
	s_set_inst_prefetch_distance 0x2
	s_or_b32 exec_lo, exec_lo, s34
	s_delay_alu instid0(SALU_CYCLE_1)
	s_mov_b32 s7, exec_lo
	v_cmpx_gt_i32_e64 s6, v0
	s_cbranch_execz .LBB43_13
; %bb.11:
	s_mul_i32 s7, s2, s11
	s_mul_hi_u32 s9, s2, s10
	s_mul_i32 s8, s2, s10
	s_add_i32 s9, s9, s7
	s_delay_alu instid0(SALU_CYCLE_1) | instskip(NEXT) | instid1(SALU_CYCLE_1)
	s_lshl_b64 s[8:9], s[8:9], 1
	s_add_u32 s2, s14, s8
	s_addc_u32 s7, s15, s9
	s_ashr_i32 s4, s4, 31
	s_load_b32 s8, s[0:1], 0x8c
	s_mul_i32 s4, s28, s4
	s_delay_alu instid0(SALU_CYCLE_1) | instskip(NEXT) | instid1(SALU_CYCLE_1)
	s_add_i32 s0, s31, s4
	s_add_i32 s27, s0, s33
	s_delay_alu instid0(SALU_CYCLE_1) | instskip(NEXT) | instid1(SALU_CYCLE_1)
	s_lshl_b64 s[0:1], s[26:27], 1
	s_add_u32 s0, s16, s0
	s_addc_u32 s9, s17, s1
	s_ashr_i32 s1, s5, 31
	s_delay_alu instid0(SALU_CYCLE_1) | instskip(NEXT) | instid1(SALU_CYCLE_1)
	s_mul_i32 s3, s3, s1
	s_add_i32 s1, s29, s3
	s_delay_alu instid0(SALU_CYCLE_1) | instskip(NEXT) | instid1(SALU_CYCLE_1)
	s_add_i32 s23, s1, s30
	s_lshl_b64 s[4:5], s[22:23], 1
	s_delay_alu instid0(SALU_CYCLE_1)
	s_add_u32 s1, s0, s4
	s_addc_u32 s3, s9, s5
	s_waitcnt lgkmcnt(0)
	s_and_b32 s4, s8, 0xffff
	s_mov_b32 s5, 0
	.p2align	6
.LBB43_12:                              ; =>This Inner Loop Header: Depth=1
	v_ashrrev_i32_e32 v1, 31, v0
	s_delay_alu instid0(VALU_DEP_1) | instskip(SKIP_1) | instid1(VALU_DEP_2)
	v_lshlrev_b64 v[1:2], 1, v[0:1]
	v_add_nc_u32_e32 v0, s4, v0
	v_add_co_u32 v3, vcc_lo, s2, v1
	s_delay_alu instid0(VALU_DEP_3) | instskip(NEXT) | instid1(VALU_DEP_3)
	v_add_co_ci_u32_e32 v4, vcc_lo, s7, v2, vcc_lo
	v_cmp_le_i32_e32 vcc_lo, s6, v0
	v_add_co_u32 v1, s0, s1, v1
	global_load_u16 v3, v[3:4], off
	v_add_co_ci_u32_e64 v2, s0, s3, v2, s0
	s_or_b32 s5, vcc_lo, s5
	s_waitcnt vmcnt(0)
	global_store_b16 v[1:2], v3, off
	s_and_not1_b32 exec_lo, exec_lo, s5
	s_cbranch_execnz .LBB43_12
.LBB43_13:
	s_nop 0
	s_sendmsg sendmsg(MSG_DEALLOC_VGPRS)
	s_endpgm
.LBB43_14:
                                        ; implicit-def: $sgpr28_sgpr29
	s_branch .LBB43_6
	.section	.rodata,"a",@progbits
	.p2align	6, 0x0
	.amdhsa_kernel _ZN4vllm38concat_and_cache_mla_rope_fused_kernelIN3c104HalfEfLb0E14__hip_bfloat16S3_LNS_18Fp8KVCacheDataTypeE0EEEvPKlPT_S8_PKS7_PKT0_illlliPT3_S6_iiiiPKf
		.amdhsa_group_segment_fixed_size 0
		.amdhsa_private_segment_fixed_size 0
		.amdhsa_kernarg_size 384
		.amdhsa_user_sgpr_count 15
		.amdhsa_user_sgpr_dispatch_ptr 0
		.amdhsa_user_sgpr_queue_ptr 0
		.amdhsa_user_sgpr_kernarg_segment_ptr 1
		.amdhsa_user_sgpr_dispatch_id 0
		.amdhsa_user_sgpr_private_segment_size 0
		.amdhsa_wavefront_size32 1
		.amdhsa_uses_dynamic_stack 0
		.amdhsa_enable_private_segment 0
		.amdhsa_system_sgpr_workgroup_id_x 1
		.amdhsa_system_sgpr_workgroup_id_y 0
		.amdhsa_system_sgpr_workgroup_id_z 0
		.amdhsa_system_sgpr_workgroup_info 0
		.amdhsa_system_vgpr_workitem_id 0
		.amdhsa_next_free_vgpr 18
		.amdhsa_next_free_sgpr 43
		.amdhsa_reserve_vcc 1
		.amdhsa_float_round_mode_32 0
		.amdhsa_float_round_mode_16_64 0
		.amdhsa_float_denorm_mode_32 3
		.amdhsa_float_denorm_mode_16_64 3
		.amdhsa_dx10_clamp 1
		.amdhsa_ieee_mode 1
		.amdhsa_fp16_overflow 0
		.amdhsa_workgroup_processor_mode 1
		.amdhsa_memory_ordered 1
		.amdhsa_forward_progress 0
		.amdhsa_shared_vgpr_count 0
		.amdhsa_exception_fp_ieee_invalid_op 0
		.amdhsa_exception_fp_denorm_src 0
		.amdhsa_exception_fp_ieee_div_zero 0
		.amdhsa_exception_fp_ieee_overflow 0
		.amdhsa_exception_fp_ieee_underflow 0
		.amdhsa_exception_fp_ieee_inexact 0
		.amdhsa_exception_int_div_zero 0
	.end_amdhsa_kernel
	.section	.text._ZN4vllm38concat_and_cache_mla_rope_fused_kernelIN3c104HalfEfLb0E14__hip_bfloat16S3_LNS_18Fp8KVCacheDataTypeE0EEEvPKlPT_S8_PKS7_PKT0_illlliPT3_S6_iiiiPKf,"axG",@progbits,_ZN4vllm38concat_and_cache_mla_rope_fused_kernelIN3c104HalfEfLb0E14__hip_bfloat16S3_LNS_18Fp8KVCacheDataTypeE0EEEvPKlPT_S8_PKS7_PKT0_illlliPT3_S6_iiiiPKf,comdat
.Lfunc_end43:
	.size	_ZN4vllm38concat_and_cache_mla_rope_fused_kernelIN3c104HalfEfLb0E14__hip_bfloat16S3_LNS_18Fp8KVCacheDataTypeE0EEEvPKlPT_S8_PKS7_PKT0_illlliPT3_S6_iiiiPKf, .Lfunc_end43-_ZN4vllm38concat_and_cache_mla_rope_fused_kernelIN3c104HalfEfLb0E14__hip_bfloat16S3_LNS_18Fp8KVCacheDataTypeE0EEEvPKlPT_S8_PKS7_PKT0_illlliPT3_S6_iiiiPKf
                                        ; -- End function
	.section	.AMDGPU.csdata,"",@progbits
; Kernel info:
; codeLenInByte = 2296
; NumSgprs: 45
; NumVgprs: 18
; ScratchSize: 0
; MemoryBound: 0
; FloatMode: 240
; IeeeMode: 1
; LDSByteSize: 0 bytes/workgroup (compile time only)
; SGPRBlocks: 5
; VGPRBlocks: 2
; NumSGPRsForWavesPerEU: 45
; NumVGPRsForWavesPerEU: 18
; Occupancy: 16
; WaveLimiterHint : 1
; COMPUTE_PGM_RSRC2:SCRATCH_EN: 0
; COMPUTE_PGM_RSRC2:USER_SGPR: 15
; COMPUTE_PGM_RSRC2:TRAP_HANDLER: 0
; COMPUTE_PGM_RSRC2:TGID_X_EN: 1
; COMPUTE_PGM_RSRC2:TGID_Y_EN: 0
; COMPUTE_PGM_RSRC2:TGID_Z_EN: 0
; COMPUTE_PGM_RSRC2:TIDIG_COMP_CNT: 0
	.section	.text._ZN4vllm38concat_and_cache_mla_rope_fused_kernelIN3c104HalfES2_Lb1E14__hip_bfloat16S3_LNS_18Fp8KVCacheDataTypeE0EEEvPKlPT_S8_PKS7_PKT0_illlliPT3_S6_iiiiPKf,"axG",@progbits,_ZN4vllm38concat_and_cache_mla_rope_fused_kernelIN3c104HalfES2_Lb1E14__hip_bfloat16S3_LNS_18Fp8KVCacheDataTypeE0EEEvPKlPT_S8_PKS7_PKT0_illlliPT3_S6_iiiiPKf,comdat
	.protected	_ZN4vllm38concat_and_cache_mla_rope_fused_kernelIN3c104HalfES2_Lb1E14__hip_bfloat16S3_LNS_18Fp8KVCacheDataTypeE0EEEvPKlPT_S8_PKS7_PKT0_illlliPT3_S6_iiiiPKf ; -- Begin function _ZN4vllm38concat_and_cache_mla_rope_fused_kernelIN3c104HalfES2_Lb1E14__hip_bfloat16S3_LNS_18Fp8KVCacheDataTypeE0EEEvPKlPT_S8_PKS7_PKT0_illlliPT3_S6_iiiiPKf
	.globl	_ZN4vllm38concat_and_cache_mla_rope_fused_kernelIN3c104HalfES2_Lb1E14__hip_bfloat16S3_LNS_18Fp8KVCacheDataTypeE0EEEvPKlPT_S8_PKS7_PKT0_illlliPT3_S6_iiiiPKf
	.p2align	8
	.type	_ZN4vllm38concat_and_cache_mla_rope_fused_kernelIN3c104HalfES2_Lb1E14__hip_bfloat16S3_LNS_18Fp8KVCacheDataTypeE0EEEvPKlPT_S8_PKS7_PKT0_illlliPT3_S6_iiiiPKf,@function
_ZN4vllm38concat_and_cache_mla_rope_fused_kernelIN3c104HalfES2_Lb1E14__hip_bfloat16S3_LNS_18Fp8KVCacheDataTypeE0EEEvPKlPT_S8_PKS7_PKT0_illlliPT3_S6_iiiiPKf: ; @_ZN4vllm38concat_and_cache_mla_rope_fused_kernelIN3c104HalfES2_Lb1E14__hip_bfloat16S3_LNS_18Fp8KVCacheDataTypeE0EEEvPKlPT_S8_PKS7_PKT0_illlliPT3_S6_iiiiPKf
; %bb.0:
	s_load_b64 s[6:7], s[0:1], 0x60
	s_mov_b32 s2, s15
	s_mov_b32 s3, 0
	s_delay_alu instid0(SALU_CYCLE_1)
	s_lshl_b64 s[4:5], s[2:3], 3
	s_waitcnt lgkmcnt(0)
	s_add_u32 s6, s6, s4
	s_addc_u32 s7, s7, s5
	s_load_b64 s[24:25], s[6:7], 0x0
	s_waitcnt lgkmcnt(0)
	v_cmp_lt_i64_e64 s3, s[24:25], 0
	s_delay_alu instid0(VALU_DEP_1)
	s_and_b32 vcc_lo, exec_lo, s3
	s_cbranch_vccnz .LBB44_13
; %bb.1:
	s_clause 0x2
	s_load_b32 s26, s[0:1], 0x28
	s_load_b64 s[6:7], s[0:1], 0x0
	s_load_b128 s[12:15], s[0:1], 0x10
	s_waitcnt lgkmcnt(0)
	s_ashr_i32 s3, s26, 31
	s_add_u32 s4, s6, s4
	s_addc_u32 s5, s7, s5
	s_load_b64 s[18:19], s[4:5], 0x0
	s_clause 0x3
	s_load_b64 s[20:21], s[0:1], 0x20
	s_load_b32 s27, s[0:1], 0x50
	s_load_b64 s[16:17], s[0:1], 0x58
	s_load_b256 s[4:11], s[0:1], 0x30
	s_waitcnt lgkmcnt(0)
	s_mul_i32 s3, s18, s3
	s_mul_hi_u32 s22, s18, s26
	s_mul_i32 s19, s19, s26
	s_add_i32 s3, s22, s3
	s_mul_i32 s18, s18, s26
	s_add_i32 s19, s3, s19
	s_delay_alu instid0(SALU_CYCLE_1) | instskip(NEXT) | instid1(SALU_CYCLE_1)
	s_lshl_b64 s[22:23], s[18:19], 1
	s_add_u32 s3, s20, s22
	s_addc_u32 s33, s21, s23
	s_lshr_b32 s18, s26, 31
	s_delay_alu instid0(SALU_CYCLE_1) | instskip(NEXT) | instid1(SALU_CYCLE_1)
	s_add_i32 s26, s26, s18
	s_ashr_i32 s18, s26, 1
	s_delay_alu instid0(SALU_CYCLE_1)
	s_mul_i32 s26, s18, s27
	s_mov_b32 s27, exec_lo
	v_cmpx_gt_i32_e64 s26, v0
	s_cbranch_execz .LBB44_4
; %bb.2:
	s_clause 0x1
	s_load_b64 s[28:29], s[0:1], 0x8
	s_load_b32 s31, s[0:1], 0x8c
	s_mul_i32 s5, s2, s5
	s_mul_hi_u32 s19, s2, s4
	s_mul_i32 s4, s2, s4
	s_add_i32 s5, s19, s5
	s_ashr_i32 s19, s18, 31
	s_lshl_b64 s[4:5], s[4:5], 1
	s_mov_b32 s34, 0
	s_waitcnt lgkmcnt(0)
	s_add_u32 s28, s28, s4
	s_addc_u32 s29, s29, s5
	s_abs_i32 s30, s18
	s_and_b32 s31, s31, 0xffff
	v_cvt_f32_u32_e32 v1, s30
	s_sub_i32 s4, 0, s30
	s_sub_i32 s35, 0, s18
	s_delay_alu instid0(VALU_DEP_1) | instskip(SKIP_2) | instid1(VALU_DEP_1)
	v_rcp_iflag_f32_e32 v1, v1
	s_waitcnt_depctr 0xfff
	v_mul_f32_e32 v1, 0x4f7ffffe, v1
	v_cvt_u32_f32_e32 v1, v1
	s_delay_alu instid0(VALU_DEP_1) | instskip(SKIP_1) | instid1(VALU_DEP_1)
	v_mul_lo_u32 v2, s4, v1
	s_lshl_b64 s[4:5], s[18:19], 1
	v_mul_hi_u32 v2, v1, v2
	s_delay_alu instid0(VALU_DEP_1)
	v_dual_mov_b32 v1, v0 :: v_dual_add_nc_u32 v2, v1, v2
.LBB44_3:                               ; =>This Inner Loop Header: Depth=1
	s_delay_alu instid0(VALU_DEP_1) | instskip(SKIP_1) | instid1(VALU_DEP_2)
	v_sub_nc_u32_e32 v3, 0, v1
	v_ashrrev_i32_e32 v4, 31, v1
	v_max_i32_e32 v3, v1, v3
	s_delay_alu instid0(VALU_DEP_2) | instskip(NEXT) | instid1(VALU_DEP_2)
	v_xor_b32_e32 v4, s19, v4
	v_mul_hi_u32 v5, v3, v2
	s_delay_alu instid0(VALU_DEP_1) | instskip(SKIP_1) | instid1(VALU_DEP_2)
	v_mul_lo_u32 v6, v5, s30
	v_add_nc_u32_e32 v7, 1, v5
	v_sub_nc_u32_e32 v3, v3, v6
	s_delay_alu instid0(VALU_DEP_1) | instskip(SKIP_1) | instid1(VALU_DEP_4)
	v_subrev_nc_u32_e32 v6, s30, v3
	v_cmp_le_u32_e32 vcc_lo, s30, v3
	v_cndmask_b32_e32 v5, v5, v7, vcc_lo
	s_delay_alu instid0(VALU_DEP_1) | instskip(NEXT) | instid1(VALU_DEP_1)
	v_dual_cndmask_b32 v3, v3, v6 :: v_dual_add_nc_u32 v6, 1, v5
	v_cmp_le_u32_e32 vcc_lo, s30, v3
	s_delay_alu instid0(VALU_DEP_2) | instskip(NEXT) | instid1(VALU_DEP_1)
	v_cndmask_b32_e32 v3, v5, v6, vcc_lo
	v_xor_b32_e32 v3, v3, v4
	s_delay_alu instid0(VALU_DEP_1) | instskip(NEXT) | instid1(VALU_DEP_1)
	v_sub_nc_u32_e32 v7, v3, v4
	v_ashrrev_i32_e32 v8, 31, v7
	v_mad_u64_u32 v[3:4], null, s35, v7, v[1:2]
	v_mul_lo_u32 v9, v7, s7
	v_mad_u64_u32 v[5:6], null, v7, s6, 0
	s_delay_alu instid0(VALU_DEP_4) | instskip(SKIP_2) | instid1(VALU_DEP_3)
	v_mul_lo_u32 v7, v8, s6
	v_add_nc_u32_e32 v1, s31, v1
	v_ashrrev_i32_e32 v4, 31, v3
	v_add3_u32 v6, v6, v9, v7
	s_delay_alu instid0(VALU_DEP_2) | instskip(NEXT) | instid1(VALU_DEP_2)
	v_lshlrev_b64 v[3:4], 1, v[3:4]
	v_lshlrev_b64 v[5:6], 1, v[5:6]
	s_delay_alu instid0(VALU_DEP_2) | instskip(NEXT) | instid1(VALU_DEP_3)
	v_add_co_u32 v7, vcc_lo, s3, v3
	v_add_co_ci_u32_e32 v8, vcc_lo, s33, v4, vcc_lo
	s_delay_alu instid0(VALU_DEP_3) | instskip(NEXT) | instid1(VALU_DEP_4)
	v_add_co_u32 v9, vcc_lo, s28, v5
	v_add_co_ci_u32_e32 v10, vcc_lo, s29, v6, vcc_lo
	s_delay_alu instid0(VALU_DEP_4) | instskip(NEXT) | instid1(VALU_DEP_4)
	v_add_co_u32 v5, vcc_lo, v7, s4
	v_add_co_ci_u32_e32 v6, vcc_lo, s5, v8, vcc_lo
	s_delay_alu instid0(VALU_DEP_4) | instskip(NEXT) | instid1(VALU_DEP_4)
	v_add_co_u32 v3, vcc_lo, v9, v3
	v_add_co_ci_u32_e32 v4, vcc_lo, v10, v4, vcc_lo
	s_delay_alu instid0(VALU_DEP_2) | instskip(NEXT) | instid1(VALU_DEP_2)
	v_add_co_u32 v9, vcc_lo, v3, s4
	v_add_co_ci_u32_e32 v10, vcc_lo, s5, v4, vcc_lo
	s_clause 0x1
	global_load_u16 v7, v[7:8], off
	global_load_u16 v5, v[5:6], off
	s_clause 0x1
	global_load_u16 v6, v[3:4], off
	global_load_u16 v8, v[9:10], off
	v_cmp_le_i32_e32 vcc_lo, s26, v1
	s_or_b32 s34, vcc_lo, s34
	s_waitcnt vmcnt(0)
	v_mul_f16_e32 v11, v5, v8
	v_mul_f16_e32 v8, v7, v8
	s_delay_alu instid0(VALU_DEP_2) | instskip(NEXT) | instid1(VALU_DEP_2)
	v_fma_f16 v7, v7, v6, -v11
	v_fmac_f16_e32 v8, v5, v6
	s_clause 0x1
	global_store_b16 v[3:4], v7, off
	global_store_b16 v[9:10], v8, off
	s_and_not1_b32 exec_lo, exec_lo, s34
	s_cbranch_execnz .LBB44_3
.LBB44_4:
	s_or_b32 exec_lo, exec_lo, s27
	s_load_b128 s[4:7], s[0:1], 0x68
	s_waitcnt lgkmcnt(0)
	s_ashr_i32 s29, s7, 31
	s_mov_b32 s28, s7
	s_delay_alu instid0(SALU_CYCLE_1) | instskip(SKIP_1) | instid1(SALU_CYCLE_1)
	s_or_b64 s[30:31], s[24:25], s[28:29]
	s_mov_b32 s30, 0
	s_cmp_lg_u64 s[30:31], 0
	s_cbranch_scc0 .LBB44_14
; %bb.5:
	s_add_u32 s34, s28, s29
	s_mov_b32 s26, s29
	s_mov_b32 s27, s29
	s_addc_u32 s35, s29, s29
	s_delay_alu instid0(SALU_CYCLE_1) | instskip(NEXT) | instid1(SALU_CYCLE_1)
	s_xor_b64 s[34:35], s[34:35], s[26:27]
	v_cvt_f32_u32_e32 v1, s34
	v_cvt_f32_u32_e32 v2, s35
	s_sub_u32 s31, 0, s34
	s_subb_u32 s36, 0, s35
	s_delay_alu instid0(VALU_DEP_1) | instskip(NEXT) | instid1(VALU_DEP_1)
	v_fmamk_f32 v1, v2, 0x4f800000, v1
	v_rcp_f32_e32 v1, v1
	s_waitcnt_depctr 0xfff
	v_mul_f32_e32 v1, 0x5f7ffffc, v1
	s_delay_alu instid0(VALU_DEP_1) | instskip(NEXT) | instid1(VALU_DEP_1)
	v_mul_f32_e32 v2, 0x2f800000, v1
	v_trunc_f32_e32 v2, v2
	s_delay_alu instid0(VALU_DEP_1) | instskip(SKIP_1) | instid1(VALU_DEP_2)
	v_fmamk_f32 v1, v2, 0xcf800000, v1
	v_cvt_u32_f32_e32 v2, v2
	v_cvt_u32_f32_e32 v1, v1
	s_delay_alu instid0(VALU_DEP_2) | instskip(NEXT) | instid1(VALU_DEP_2)
	v_readfirstlane_b32 s7, v2
	v_readfirstlane_b32 s19, v1
	s_delay_alu instid0(VALU_DEP_2) | instskip(NEXT) | instid1(VALU_DEP_1)
	s_mul_i32 s37, s31, s7
	s_mul_hi_u32 s39, s31, s19
	s_mul_i32 s38, s36, s19
	s_add_i32 s37, s39, s37
	s_mul_i32 s40, s31, s19
	s_add_i32 s37, s37, s38
	s_mul_hi_u32 s39, s19, s40
	s_mul_hi_u32 s41, s7, s40
	s_mul_i32 s38, s7, s40
	s_mul_hi_u32 s40, s19, s37
	s_mul_i32 s19, s19, s37
	s_mul_hi_u32 s42, s7, s37
	s_add_u32 s19, s39, s19
	s_addc_u32 s39, 0, s40
	s_add_u32 s19, s19, s38
	s_mul_i32 s37, s7, s37
	s_addc_u32 s19, s39, s41
	s_addc_u32 s38, s42, 0
	s_add_u32 s19, s19, s37
	s_addc_u32 s37, 0, s38
	v_add_co_u32 v1, s19, v1, s19
	s_delay_alu instid0(VALU_DEP_1) | instskip(SKIP_1) | instid1(VALU_DEP_1)
	s_cmp_lg_u32 s19, 0
	s_addc_u32 s7, s7, s37
	v_readfirstlane_b32 s19, v1
	s_mul_i32 s37, s31, s7
	s_delay_alu instid0(VALU_DEP_1)
	s_mul_hi_u32 s38, s31, s19
	s_mul_i32 s36, s36, s19
	s_add_i32 s37, s38, s37
	s_mul_i32 s31, s31, s19
	s_add_i32 s37, s37, s36
	s_mul_hi_u32 s38, s7, s31
	s_mul_i32 s39, s7, s31
	s_mul_hi_u32 s31, s19, s31
	s_mul_hi_u32 s40, s19, s37
	s_mul_i32 s19, s19, s37
	s_mul_hi_u32 s36, s7, s37
	s_add_u32 s19, s31, s19
	s_addc_u32 s31, 0, s40
	s_add_u32 s19, s19, s39
	s_mul_i32 s37, s7, s37
	s_addc_u32 s19, s31, s38
	s_addc_u32 s31, s36, 0
	s_add_u32 s19, s19, s37
	s_addc_u32 s31, 0, s31
	v_add_co_u32 v1, s19, v1, s19
	s_delay_alu instid0(VALU_DEP_1) | instskip(SKIP_2) | instid1(VALU_DEP_1)
	s_cmp_lg_u32 s19, 0
	s_addc_u32 s7, s7, s31
	s_ashr_i32 s36, s25, 31
	v_readfirstlane_b32 s19, v1
	s_add_u32 s38, s24, s36
	s_mov_b32 s37, s36
	s_addc_u32 s39, s25, s36
	s_delay_alu instid0(SALU_CYCLE_1) | instskip(NEXT) | instid1(SALU_CYCLE_1)
	s_xor_b64 s[38:39], s[38:39], s[36:37]
	s_mul_i32 s40, s38, s7
	s_mul_hi_u32 s41, s38, s19
	s_mul_hi_u32 s31, s38, s7
	;; [unrolled: 1-line block ×3, first 2 shown]
	s_mul_i32 s19, s39, s19
	s_add_u32 s40, s41, s40
	s_addc_u32 s31, 0, s31
	s_mul_hi_u32 s42, s39, s7
	s_add_u32 s19, s40, s19
	s_mul_i32 s7, s39, s7
	s_addc_u32 s19, s31, s43
	s_addc_u32 s31, s42, 0
	s_add_u32 s7, s19, s7
	s_addc_u32 s19, 0, s31
	s_mul_i32 s42, s34, s7
	s_mul_hi_u32 s31, s34, s7
	s_mul_i32 s41, s34, s19
	v_sub_co_u32 v1, s38, s38, s42
	s_mul_i32 s40, s35, s7
	s_add_i32 s31, s31, s41
	s_delay_alu instid0(SALU_CYCLE_1) | instskip(NEXT) | instid1(VALU_DEP_1)
	s_add_i32 s31, s31, s40
	v_sub_co_u32 v2, s41, v1, s34
	s_sub_i32 s40, s39, s31
	s_cmp_lg_u32 s38, 0
	s_subb_u32 s40, s40, s35
	s_cmp_lg_u32 s41, 0
	v_readfirstlane_b32 s41, v2
	s_subb_u32 s40, s40, 0
	s_delay_alu instid0(SALU_CYCLE_1) | instskip(SKIP_1) | instid1(VALU_DEP_1)
	s_cmp_ge_u32 s40, s35
	s_cselect_b32 s42, -1, 0
	s_cmp_ge_u32 s41, s34
	s_cselect_b32 s41, -1, 0
	s_cmp_eq_u32 s40, s35
	s_cselect_b32 s40, s41, s42
	s_add_u32 s41, s7, 1
	s_addc_u32 s42, s19, 0
	s_add_u32 s43, s7, 2
	s_addc_u32 s44, s19, 0
	s_cmp_lg_u32 s40, 0
	s_cselect_b32 s40, s43, s41
	s_cselect_b32 s41, s44, s42
	s_cmp_lg_u32 s38, 0
	v_readfirstlane_b32 s38, v1
	s_subb_u32 s31, s39, s31
	s_delay_alu instid0(SALU_CYCLE_1) | instskip(SKIP_1) | instid1(VALU_DEP_1)
	s_cmp_ge_u32 s31, s35
	s_cselect_b32 s39, -1, 0
	s_cmp_ge_u32 s38, s34
	s_cselect_b32 s34, -1, 0
	s_cmp_eq_u32 s31, s35
	s_cselect_b32 s31, s34, s39
	s_delay_alu instid0(SALU_CYCLE_1) | instskip(SKIP_3) | instid1(SALU_CYCLE_1)
	s_cmp_lg_u32 s31, 0
	s_cselect_b32 s35, s41, s19
	s_cselect_b32 s34, s40, s7
	s_xor_b64 s[26:27], s[36:37], s[26:27]
	s_xor_b64 s[34:35], s[34:35], s[26:27]
	s_delay_alu instid0(SALU_CYCLE_1)
	s_sub_u32 s26, s34, s26
	s_subb_u32 s27, s35, s27
	s_and_not1_b32 vcc_lo, exec_lo, s30
	s_cbranch_vccnz .LBB44_7
.LBB44_6:
	v_cvt_f32_u32_e32 v1, s28
	s_sub_i32 s19, 0, s28
	s_delay_alu instid0(VALU_DEP_1) | instskip(SKIP_2) | instid1(VALU_DEP_1)
	v_rcp_iflag_f32_e32 v1, v1
	s_waitcnt_depctr 0xfff
	v_mul_f32_e32 v1, 0x4f7ffffe, v1
	v_cvt_u32_f32_e32 v1, v1
	s_delay_alu instid0(VALU_DEP_1) | instskip(NEXT) | instid1(VALU_DEP_1)
	v_readfirstlane_b32 s7, v1
	s_mul_i32 s19, s19, s7
	s_delay_alu instid0(SALU_CYCLE_1) | instskip(NEXT) | instid1(SALU_CYCLE_1)
	s_mul_hi_u32 s19, s7, s19
	s_add_i32 s7, s7, s19
	s_delay_alu instid0(SALU_CYCLE_1) | instskip(NEXT) | instid1(SALU_CYCLE_1)
	s_mul_hi_u32 s7, s24, s7
	s_mul_i32 s19, s7, s28
	s_add_i32 s26, s7, 1
	s_sub_i32 s19, s24, s19
	s_delay_alu instid0(SALU_CYCLE_1)
	s_sub_i32 s27, s19, s28
	s_cmp_ge_u32 s19, s28
	s_cselect_b32 s7, s26, s7
	s_cselect_b32 s19, s27, s19
	s_add_i32 s26, s7, 1
	s_cmp_ge_u32 s19, s28
	s_mov_b32 s27, 0
	s_cselect_b32 s26, s26, s7
.LBB44_7:
	s_delay_alu instid0(SALU_CYCLE_1)
	s_mul_i32 s7, s26, s29
	s_mul_hi_u32 s19, s26, s28
	s_mul_hi_u32 s34, s26, s4
	s_add_i32 s7, s19, s7
	s_mul_i32 s19, s27, s28
	s_mul_i32 s28, s26, s28
	s_add_i32 s7, s7, s19
	s_sub_u32 s30, s24, s28
	s_subb_u32 s31, s25, s7
	s_mul_i32 s35, s27, s4
	s_mul_i32 s28, s26, s4
	s_mul_hi_u32 s27, s30, s5
	s_mul_i32 s31, s31, s5
	s_mul_i32 s24, s30, s5
	s_mov_b32 s36, exec_lo
	v_cmpx_gt_i32_e64 s18, v0
	s_cbranch_execz .LBB44_10
; %bb.8:
	s_mul_i32 s7, s2, s9
	s_mul_hi_u32 s9, s2, s8
	s_mul_i32 s8, s2, s8
	s_add_i32 s9, s9, s7
	s_ashr_i32 s19, s18, 31
	s_lshl_b64 s[38:39], s[8:9], 1
	s_load_b32 s37, s[0:1], 0x8c
	s_add_u32 s8, s12, s38
	s_addc_u32 s9, s13, s39
	s_ashr_i32 s7, s4, 31
	s_ashr_i32 s25, s5, 31
	s_mul_i32 s7, s26, s7
	s_mul_i32 s25, s30, s25
	s_add_i32 s7, s34, s7
	s_add_i32 s25, s27, s25
	;; [unrolled: 1-line block ×4, first 2 shown]
	s_lshl_b64 s[40:41], s[28:29], 1
	s_lshl_b64 s[42:43], s[24:25], 1
	v_dual_mov_b32 v2, v0 :: v_dual_lshlrev_b32 v1, 1, v0
	s_add_u32 s44, s40, s42
	s_addc_u32 s45, s41, s43
	s_add_u32 s25, s44, s16
	s_addc_u32 s29, s45, s17
	s_ashr_i32 s7, s6, 31
	s_delay_alu instid0(SALU_CYCLE_1) | instskip(NEXT) | instid1(SALU_CYCLE_1)
	s_lshl_b64 s[40:41], s[6:7], 1
	s_add_u32 s7, s25, s40
	s_addc_u32 s25, s29, s41
	s_waitcnt lgkmcnt(0)
	s_and_b32 s29, s37, 0xffff
	s_lshl_b64 s[42:43], s[18:19], 1
	s_lshl_b32 s19, s29, 1
	s_add_u32 s22, s22, s42
	s_addc_u32 s23, s23, s43
	s_add_u32 s20, s20, s22
	s_addc_u32 s21, s21, s23
	;; [unrolled: 2-line block ×6, first 2 shown]
	s_add_u32 s22, s16, s22
	s_mov_b32 s37, 0
	s_addc_u32 s23, s17, s23
.LBB44_9:                               ; =>This Inner Loop Header: Depth=1
	v_add_co_u32 v3, s38, s3, v1
	s_delay_alu instid0(VALU_DEP_1) | instskip(SKIP_1) | instid1(VALU_DEP_1)
	v_add_co_ci_u32_e64 v4, null, s33, 0, s38
	v_add_co_u32 v5, s38, s20, v1
	v_add_co_ci_u32_e64 v6, null, s21, 0, s38
	v_add_co_u32 v7, s38, s12, v1
	s_delay_alu instid0(VALU_DEP_1) | instskip(SKIP_1) | instid1(VALU_DEP_1)
	v_add_co_ci_u32_e64 v8, null, s13, 0, s38
	v_add_co_u32 v9, s38, s8, v1
	v_add_co_ci_u32_e64 v10, null, s9, 0, s38
	global_load_u16 v11, v[5:6], off
	global_load_u16 v12, v[7:8], off
	;; [unrolled: 1-line block ×4, first 2 shown]
	s_add_u32 s3, s3, s19
	s_addc_u32 s33, s33, 0
	v_add_nc_u32_e32 v2, s29, v2
	s_add_u32 s20, s20, s19
	s_addc_u32 s21, s21, 0
	s_add_u32 s12, s12, s19
	v_add_co_u32 v3, s38, s7, v1
	s_addc_u32 s13, s13, 0
	s_add_u32 s8, s8, s19
	v_add_co_ci_u32_e64 v4, null, s25, 0, s38
	v_add_co_u32 v5, s38, s22, v1
	v_cmp_le_i32_e32 vcc_lo, s18, v2
	s_addc_u32 s9, s9, 0
	s_add_u32 s22, s22, s19
	v_add_co_ci_u32_e64 v6, null, s23, 0, s38
	s_addc_u32 s23, s23, 0
	s_add_u32 s7, s7, s19
	s_addc_u32 s25, s25, 0
	s_or_b32 s37, vcc_lo, s37
	s_waitcnt vmcnt(2)
	v_mul_f16_e32 v15, v11, v12
	s_waitcnt vmcnt(1)
	v_mul_f16_e32 v12, v13, v12
	s_waitcnt vmcnt(0)
	s_delay_alu instid0(VALU_DEP_2) | instskip(NEXT) | instid1(VALU_DEP_2)
	v_fma_f16 v13, v13, v14, -v15
	v_fmac_f16_e32 v12, v11, v14
	global_store_b16 v[9:10], v13, off
	global_store_b16 v[7:8], v12, off
	;; [unrolled: 1-line block ×4, first 2 shown]
	s_and_not1_b32 exec_lo, exec_lo, s37
	s_cbranch_execnz .LBB44_9
.LBB44_10:
	s_or_b32 exec_lo, exec_lo, s36
	s_delay_alu instid0(SALU_CYCLE_1)
	s_mov_b32 s3, exec_lo
	v_cmpx_gt_i32_e64 s6, v0
	s_cbranch_execz .LBB44_13
; %bb.11:
	s_mul_i32 s3, s2, s11
	s_mul_hi_u32 s7, s2, s10
	s_mul_i32 s2, s2, s10
	s_add_i32 s3, s7, s3
	s_load_b32 s7, s[0:1], 0x8c
	s_lshl_b64 s[2:3], s[2:3], 1
	s_delay_alu instid0(SALU_CYCLE_1) | instskip(SKIP_2) | instid1(SALU_CYCLE_1)
	s_add_u32 s2, s14, s2
	s_addc_u32 s3, s15, s3
	s_ashr_i32 s4, s4, 31
	s_mul_i32 s4, s26, s4
	s_delay_alu instid0(SALU_CYCLE_1) | instskip(NEXT) | instid1(SALU_CYCLE_1)
	s_add_i32 s0, s34, s4
	s_add_i32 s29, s0, s35
	s_delay_alu instid0(SALU_CYCLE_1) | instskip(NEXT) | instid1(SALU_CYCLE_1)
	s_lshl_b64 s[0:1], s[28:29], 1
	s_add_u32 s0, s16, s0
	s_addc_u32 s8, s17, s1
	s_ashr_i32 s1, s5, 31
	s_delay_alu instid0(SALU_CYCLE_1) | instskip(NEXT) | instid1(SALU_CYCLE_1)
	s_mul_i32 s30, s30, s1
	s_add_i32 s1, s27, s30
	s_delay_alu instid0(SALU_CYCLE_1) | instskip(NEXT) | instid1(SALU_CYCLE_1)
	s_add_i32 s25, s1, s31
	s_lshl_b64 s[4:5], s[24:25], 1
	s_delay_alu instid0(SALU_CYCLE_1)
	s_add_u32 s1, s0, s4
	s_addc_u32 s4, s8, s5
	s_waitcnt lgkmcnt(0)
	s_and_b32 s5, s7, 0xffff
	s_mov_b32 s7, 0
	.p2align	6
.LBB44_12:                              ; =>This Inner Loop Header: Depth=1
	v_ashrrev_i32_e32 v1, 31, v0
	s_delay_alu instid0(VALU_DEP_1) | instskip(SKIP_1) | instid1(VALU_DEP_2)
	v_lshlrev_b64 v[1:2], 1, v[0:1]
	v_add_nc_u32_e32 v0, s5, v0
	v_add_co_u32 v3, vcc_lo, s2, v1
	s_delay_alu instid0(VALU_DEP_3) | instskip(NEXT) | instid1(VALU_DEP_3)
	v_add_co_ci_u32_e32 v4, vcc_lo, s3, v2, vcc_lo
	v_cmp_le_i32_e32 vcc_lo, s6, v0
	v_add_co_u32 v1, s0, s1, v1
	global_load_u16 v3, v[3:4], off
	v_add_co_ci_u32_e64 v2, s0, s4, v2, s0
	s_or_b32 s7, vcc_lo, s7
	s_waitcnt vmcnt(0)
	global_store_b16 v[1:2], v3, off
	s_and_not1_b32 exec_lo, exec_lo, s7
	s_cbranch_execnz .LBB44_12
.LBB44_13:
	s_nop 0
	s_sendmsg sendmsg(MSG_DEALLOC_VGPRS)
	s_endpgm
.LBB44_14:
                                        ; implicit-def: $sgpr26_sgpr27
	s_branch .LBB44_6
	.section	.rodata,"a",@progbits
	.p2align	6, 0x0
	.amdhsa_kernel _ZN4vllm38concat_and_cache_mla_rope_fused_kernelIN3c104HalfES2_Lb1E14__hip_bfloat16S3_LNS_18Fp8KVCacheDataTypeE0EEEvPKlPT_S8_PKS7_PKT0_illlliPT3_S6_iiiiPKf
		.amdhsa_group_segment_fixed_size 0
		.amdhsa_private_segment_fixed_size 0
		.amdhsa_kernarg_size 384
		.amdhsa_user_sgpr_count 15
		.amdhsa_user_sgpr_dispatch_ptr 0
		.amdhsa_user_sgpr_queue_ptr 0
		.amdhsa_user_sgpr_kernarg_segment_ptr 1
		.amdhsa_user_sgpr_dispatch_id 0
		.amdhsa_user_sgpr_private_segment_size 0
		.amdhsa_wavefront_size32 1
		.amdhsa_uses_dynamic_stack 0
		.amdhsa_enable_private_segment 0
		.amdhsa_system_sgpr_workgroup_id_x 1
		.amdhsa_system_sgpr_workgroup_id_y 0
		.amdhsa_system_sgpr_workgroup_id_z 0
		.amdhsa_system_sgpr_workgroup_info 0
		.amdhsa_system_vgpr_workitem_id 0
		.amdhsa_next_free_vgpr 16
		.amdhsa_next_free_sgpr 46
		.amdhsa_reserve_vcc 1
		.amdhsa_float_round_mode_32 0
		.amdhsa_float_round_mode_16_64 0
		.amdhsa_float_denorm_mode_32 3
		.amdhsa_float_denorm_mode_16_64 3
		.amdhsa_dx10_clamp 1
		.amdhsa_ieee_mode 1
		.amdhsa_fp16_overflow 0
		.amdhsa_workgroup_processor_mode 1
		.amdhsa_memory_ordered 1
		.amdhsa_forward_progress 0
		.amdhsa_shared_vgpr_count 0
		.amdhsa_exception_fp_ieee_invalid_op 0
		.amdhsa_exception_fp_denorm_src 0
		.amdhsa_exception_fp_ieee_div_zero 0
		.amdhsa_exception_fp_ieee_overflow 0
		.amdhsa_exception_fp_ieee_underflow 0
		.amdhsa_exception_fp_ieee_inexact 0
		.amdhsa_exception_int_div_zero 0
	.end_amdhsa_kernel
	.section	.text._ZN4vllm38concat_and_cache_mla_rope_fused_kernelIN3c104HalfES2_Lb1E14__hip_bfloat16S3_LNS_18Fp8KVCacheDataTypeE0EEEvPKlPT_S8_PKS7_PKT0_illlliPT3_S6_iiiiPKf,"axG",@progbits,_ZN4vllm38concat_and_cache_mla_rope_fused_kernelIN3c104HalfES2_Lb1E14__hip_bfloat16S3_LNS_18Fp8KVCacheDataTypeE0EEEvPKlPT_S8_PKS7_PKT0_illlliPT3_S6_iiiiPKf,comdat
.Lfunc_end44:
	.size	_ZN4vllm38concat_and_cache_mla_rope_fused_kernelIN3c104HalfES2_Lb1E14__hip_bfloat16S3_LNS_18Fp8KVCacheDataTypeE0EEEvPKlPT_S8_PKS7_PKT0_illlliPT3_S6_iiiiPKf, .Lfunc_end44-_ZN4vllm38concat_and_cache_mla_rope_fused_kernelIN3c104HalfES2_Lb1E14__hip_bfloat16S3_LNS_18Fp8KVCacheDataTypeE0EEEvPKlPT_S8_PKS7_PKT0_illlliPT3_S6_iiiiPKf
                                        ; -- End function
	.section	.AMDGPU.csdata,"",@progbits
; Kernel info:
; codeLenInByte = 2336
; NumSgprs: 48
; NumVgprs: 16
; ScratchSize: 0
; MemoryBound: 0
; FloatMode: 240
; IeeeMode: 1
; LDSByteSize: 0 bytes/workgroup (compile time only)
; SGPRBlocks: 5
; VGPRBlocks: 1
; NumSGPRsForWavesPerEU: 48
; NumVGPRsForWavesPerEU: 16
; Occupancy: 16
; WaveLimiterHint : 1
; COMPUTE_PGM_RSRC2:SCRATCH_EN: 0
; COMPUTE_PGM_RSRC2:USER_SGPR: 15
; COMPUTE_PGM_RSRC2:TRAP_HANDLER: 0
; COMPUTE_PGM_RSRC2:TGID_X_EN: 1
; COMPUTE_PGM_RSRC2:TGID_Y_EN: 0
; COMPUTE_PGM_RSRC2:TGID_Z_EN: 0
; COMPUTE_PGM_RSRC2:TIDIG_COMP_CNT: 0
	.section	.text._ZN4vllm38concat_and_cache_mla_rope_fused_kernelIN3c104HalfES2_Lb0E14__hip_bfloat16S3_LNS_18Fp8KVCacheDataTypeE0EEEvPKlPT_S8_PKS7_PKT0_illlliPT3_S6_iiiiPKf,"axG",@progbits,_ZN4vllm38concat_and_cache_mla_rope_fused_kernelIN3c104HalfES2_Lb0E14__hip_bfloat16S3_LNS_18Fp8KVCacheDataTypeE0EEEvPKlPT_S8_PKS7_PKT0_illlliPT3_S6_iiiiPKf,comdat
	.protected	_ZN4vllm38concat_and_cache_mla_rope_fused_kernelIN3c104HalfES2_Lb0E14__hip_bfloat16S3_LNS_18Fp8KVCacheDataTypeE0EEEvPKlPT_S8_PKS7_PKT0_illlliPT3_S6_iiiiPKf ; -- Begin function _ZN4vllm38concat_and_cache_mla_rope_fused_kernelIN3c104HalfES2_Lb0E14__hip_bfloat16S3_LNS_18Fp8KVCacheDataTypeE0EEEvPKlPT_S8_PKS7_PKT0_illlliPT3_S6_iiiiPKf
	.globl	_ZN4vllm38concat_and_cache_mla_rope_fused_kernelIN3c104HalfES2_Lb0E14__hip_bfloat16S3_LNS_18Fp8KVCacheDataTypeE0EEEvPKlPT_S8_PKS7_PKT0_illlliPT3_S6_iiiiPKf
	.p2align	8
	.type	_ZN4vllm38concat_and_cache_mla_rope_fused_kernelIN3c104HalfES2_Lb0E14__hip_bfloat16S3_LNS_18Fp8KVCacheDataTypeE0EEEvPKlPT_S8_PKS7_PKT0_illlliPT3_S6_iiiiPKf,@function
_ZN4vllm38concat_and_cache_mla_rope_fused_kernelIN3c104HalfES2_Lb0E14__hip_bfloat16S3_LNS_18Fp8KVCacheDataTypeE0EEEvPKlPT_S8_PKS7_PKT0_illlliPT3_S6_iiiiPKf: ; @_ZN4vllm38concat_and_cache_mla_rope_fused_kernelIN3c104HalfES2_Lb0E14__hip_bfloat16S3_LNS_18Fp8KVCacheDataTypeE0EEEvPKlPT_S8_PKS7_PKT0_illlliPT3_S6_iiiiPKf
; %bb.0:
	s_load_b64 s[6:7], s[0:1], 0x60
	s_mov_b32 s2, s15
	s_mov_b32 s3, 0
	s_delay_alu instid0(SALU_CYCLE_1)
	s_lshl_b64 s[4:5], s[2:3], 3
	s_waitcnt lgkmcnt(0)
	s_add_u32 s6, s6, s4
	s_addc_u32 s7, s7, s5
	s_load_b64 s[22:23], s[6:7], 0x0
	s_waitcnt lgkmcnt(0)
	v_cmp_lt_i64_e64 s3, s[22:23], 0
	s_delay_alu instid0(VALU_DEP_1)
	s_and_b32 vcc_lo, exec_lo, s3
	s_cbranch_vccnz .LBB45_13
; %bb.1:
	s_clause 0x3
	s_load_b32 s19, s[0:1], 0x28
	s_load_b64 s[6:7], s[0:1], 0x0
	s_load_b128 s[12:15], s[0:1], 0x10
	s_load_b32 s3, s[0:1], 0x50
	v_lshlrev_b32_e32 v3, 1, v0
	s_waitcnt lgkmcnt(0)
	s_ashr_i32 s26, s19, 31
	s_add_u32 s4, s6, s4
	s_addc_u32 s5, s7, s5
	s_lshr_b32 s18, s19, 31
	s_load_b64 s[24:25], s[4:5], 0x0
	s_clause 0x2
	s_load_b64 s[20:21], s[0:1], 0x20
	s_load_b64 s[16:17], s[0:1], 0x58
	s_load_b256 s[4:11], s[0:1], 0x30
	s_add_i32 s18, s19, s18
	s_delay_alu instid0(SALU_CYCLE_1) | instskip(NEXT) | instid1(SALU_CYCLE_1)
	s_ashr_i32 s18, s18, 1
	s_mul_i32 s3, s18, s3
	s_waitcnt lgkmcnt(0)
	s_mul_i32 s26, s24, s26
	s_mul_hi_u32 s27, s24, s19
	s_mul_i32 s25, s25, s19
	s_add_i32 s26, s27, s26
	s_mul_i32 s24, s24, s19
	s_add_i32 s25, s26, s25
	s_mov_b32 s26, exec_lo
	v_cmpx_gt_i32_e64 s3, v0
	s_cbranch_execz .LBB45_4
; %bb.2:
	s_clause 0x1
	s_load_b64 s[30:31], s[0:1], 0x8
	s_load_b32 s34, s[0:1], 0x8c
	s_lshl_b64 s[28:29], s[24:25], 1
	s_mul_i32 s5, s2, s5
	s_mul_hi_u32 s19, s2, s4
	s_add_u32 s27, s20, s28
	s_mul_i32 s4, s2, s4
	s_addc_u32 s28, s21, s29
	s_add_i32 s5, s19, s5
	s_ashr_i32 s19, s18, 31
	s_lshl_b64 s[4:5], s[4:5], 1
	s_mov_b32 s33, 0
	s_waitcnt lgkmcnt(0)
	s_add_u32 s29, s30, s4
	s_addc_u32 s30, s31, s5
	s_abs_i32 s31, s18
	s_and_b32 s34, s34, 0xffff
	v_cvt_f32_u32_e32 v1, s31
	s_sub_i32 s4, 0, s31
	s_sub_i32 s35, 0, s18
	s_lshl_b32 s37, s34, 1
	s_delay_alu instid0(VALU_DEP_1) | instskip(SKIP_2) | instid1(VALU_DEP_1)
	v_rcp_iflag_f32_e32 v1, v1
	s_waitcnt_depctr 0xfff
	v_mul_f32_e32 v1, 0x4f7ffffe, v1
	v_cvt_u32_f32_e32 v2, v1
	s_delay_alu instid0(VALU_DEP_1) | instskip(SKIP_1) | instid1(SALU_CYCLE_1)
	v_mul_lo_u32 v1, s4, v2
	s_lshl_b32 s4, s18, 1
	s_sub_i32 s36, 0, s4
	s_lshl_b64 s[4:5], s[18:19], 1
	s_delay_alu instid0(VALU_DEP_1) | instskip(NEXT) | instid1(VALU_DEP_1)
	v_mul_hi_u32 v4, v2, v1
	v_dual_mov_b32 v1, v3 :: v_dual_add_nc_u32 v4, v2, v4
	v_mov_b32_e32 v2, v0
.LBB45_3:                               ; =>This Inner Loop Header: Depth=1
	s_delay_alu instid0(VALU_DEP_1) | instskip(SKIP_1) | instid1(VALU_DEP_2)
	v_sub_nc_u32_e32 v5, 0, v2
	v_ashrrev_i32_e32 v6, 31, v2
	v_max_i32_e32 v5, v2, v5
	s_delay_alu instid0(VALU_DEP_2) | instskip(NEXT) | instid1(VALU_DEP_2)
	v_xor_b32_e32 v6, s19, v6
	v_mul_hi_u32 v7, v5, v4
	s_delay_alu instid0(VALU_DEP_1) | instskip(SKIP_1) | instid1(VALU_DEP_2)
	v_mul_lo_u32 v8, v7, s31
	v_add_nc_u32_e32 v9, 1, v7
	v_sub_nc_u32_e32 v5, v5, v8
	s_delay_alu instid0(VALU_DEP_1) | instskip(SKIP_1) | instid1(VALU_DEP_4)
	v_subrev_nc_u32_e32 v8, s31, v5
	v_cmp_le_u32_e32 vcc_lo, s31, v5
	v_cndmask_b32_e32 v7, v7, v9, vcc_lo
	s_delay_alu instid0(VALU_DEP_1) | instskip(NEXT) | instid1(VALU_DEP_1)
	v_dual_cndmask_b32 v5, v5, v8 :: v_dual_add_nc_u32 v8, 1, v7
	v_cmp_le_u32_e32 vcc_lo, s31, v5
	s_delay_alu instid0(VALU_DEP_2) | instskip(NEXT) | instid1(VALU_DEP_1)
	v_cndmask_b32_e32 v5, v7, v8, vcc_lo
	v_xor_b32_e32 v5, v5, v6
	s_delay_alu instid0(VALU_DEP_1) | instskip(NEXT) | instid1(VALU_DEP_1)
	v_sub_nc_u32_e32 v11, v5, v6
	v_mad_u64_u32 v[5:6], null, s35, v11, v[2:3]
	v_ashrrev_i32_e32 v6, 31, v11
	v_mul_lo_u32 v12, v11, s7
	v_mad_u64_u32 v[7:8], null, v11, s6, 0
	v_mad_u64_u32 v[9:10], null, s36, v11, v[1:2]
	s_delay_alu instid0(VALU_DEP_4) | instskip(SKIP_3) | instid1(VALU_DEP_3)
	v_mul_lo_u32 v11, v6, s6
	v_ashrrev_i32_e32 v6, 31, v5
	v_add_nc_u32_e32 v2, s34, v2
	v_add_nc_u32_e32 v1, s37, v1
	v_lshlrev_b64 v[5:6], 1, v[5:6]
	v_ashrrev_i32_e32 v10, 31, v9
	v_add3_u32 v8, v8, v12, v11
	s_delay_alu instid0(VALU_DEP_3) | instskip(NEXT) | instid1(VALU_DEP_2)
	v_add_co_u32 v5, vcc_lo, s27, v5
	v_lshlrev_b64 v[7:8], 1, v[7:8]
	s_delay_alu instid0(VALU_DEP_4) | instskip(SKIP_1) | instid1(VALU_DEP_3)
	v_lshlrev_b64 v[9:10], 1, v[9:10]
	v_add_co_ci_u32_e32 v6, vcc_lo, s28, v6, vcc_lo
	v_add_co_u32 v7, vcc_lo, s29, v7
	s_delay_alu instid0(VALU_DEP_4) | instskip(NEXT) | instid1(VALU_DEP_2)
	v_add_co_ci_u32_e32 v8, vcc_lo, s30, v8, vcc_lo
	v_add_co_u32 v7, vcc_lo, v7, v9
	s_delay_alu instid0(VALU_DEP_2)
	v_add_co_ci_u32_e32 v8, vcc_lo, v8, v10, vcc_lo
	v_add_co_u32 v9, vcc_lo, v5, s4
	v_add_co_ci_u32_e32 v10, vcc_lo, s5, v6, vcc_lo
	global_load_b32 v11, v[7:8], off
	s_clause 0x1
	global_load_u16 v5, v[5:6], off
	global_load_u16 v6, v[9:10], off
	v_cmp_le_i32_e32 vcc_lo, s3, v2
	s_or_b32 s33, vcc_lo, s33
	s_waitcnt vmcnt(2)
	v_lshrrev_b32_e32 v9, 16, v11
	s_waitcnt vmcnt(0)
	s_delay_alu instid0(VALU_DEP_1) | instskip(SKIP_1) | instid1(VALU_DEP_2)
	v_mul_f16_e32 v10, v6, v9
	v_mul_f16_e32 v9, v5, v9
	v_fma_f16 v5, v5, v11, -v10
	s_delay_alu instid0(VALU_DEP_2) | instskip(NEXT) | instid1(VALU_DEP_1)
	v_fmac_f16_e32 v9, v6, v11
	v_pack_b32_f16 v5, v5, v9
	global_store_b32 v[7:8], v5, off
	s_and_not1_b32 exec_lo, exec_lo, s33
	s_cbranch_execnz .LBB45_3
.LBB45_4:
	s_or_b32 exec_lo, exec_lo, s26
	s_load_b128 s[4:7], s[0:1], 0x68
	s_waitcnt lgkmcnt(0)
	s_ashr_i32 s27, s7, 31
	s_mov_b32 s26, s7
	s_delay_alu instid0(SALU_CYCLE_1) | instskip(SKIP_1) | instid1(SALU_CYCLE_1)
	s_or_b64 s[30:31], s[22:23], s[26:27]
	s_mov_b32 s30, 0
	s_cmp_lg_u64 s[30:31], 0
	s_cbranch_scc0 .LBB45_14
; %bb.5:
	s_add_u32 s34, s26, s27
	s_mov_b32 s28, s27
	s_mov_b32 s29, s27
	s_addc_u32 s35, s27, s27
	s_delay_alu instid0(SALU_CYCLE_1) | instskip(NEXT) | instid1(SALU_CYCLE_1)
	s_xor_b64 s[34:35], s[34:35], s[28:29]
	v_cvt_f32_u32_e32 v1, s34
	v_cvt_f32_u32_e32 v2, s35
	s_sub_u32 s19, 0, s34
	s_subb_u32 s31, 0, s35
	s_delay_alu instid0(VALU_DEP_1) | instskip(NEXT) | instid1(VALU_DEP_1)
	v_fmamk_f32 v1, v2, 0x4f800000, v1
	v_rcp_f32_e32 v1, v1
	s_waitcnt_depctr 0xfff
	v_mul_f32_e32 v1, 0x5f7ffffc, v1
	s_delay_alu instid0(VALU_DEP_1) | instskip(NEXT) | instid1(VALU_DEP_1)
	v_mul_f32_e32 v2, 0x2f800000, v1
	v_trunc_f32_e32 v2, v2
	s_delay_alu instid0(VALU_DEP_1) | instskip(SKIP_1) | instid1(VALU_DEP_2)
	v_fmamk_f32 v1, v2, 0xcf800000, v1
	v_cvt_u32_f32_e32 v2, v2
	v_cvt_u32_f32_e32 v1, v1
	s_delay_alu instid0(VALU_DEP_2) | instskip(NEXT) | instid1(VALU_DEP_2)
	v_readfirstlane_b32 s3, v2
	v_readfirstlane_b32 s7, v1
	s_delay_alu instid0(VALU_DEP_2) | instskip(NEXT) | instid1(VALU_DEP_1)
	s_mul_i32 s33, s19, s3
	s_mul_hi_u32 s37, s19, s7
	s_mul_i32 s36, s31, s7
	s_add_i32 s33, s37, s33
	s_mul_i32 s38, s19, s7
	s_add_i32 s33, s33, s36
	s_mul_hi_u32 s37, s7, s38
	s_mul_hi_u32 s39, s3, s38
	s_mul_i32 s36, s3, s38
	s_mul_hi_u32 s38, s7, s33
	s_mul_i32 s7, s7, s33
	s_mul_hi_u32 s40, s3, s33
	s_add_u32 s7, s37, s7
	s_addc_u32 s37, 0, s38
	s_add_u32 s7, s7, s36
	s_mul_i32 s33, s3, s33
	s_addc_u32 s7, s37, s39
	s_addc_u32 s36, s40, 0
	s_add_u32 s7, s7, s33
	s_addc_u32 s33, 0, s36
	v_add_co_u32 v1, s7, v1, s7
	s_delay_alu instid0(VALU_DEP_1) | instskip(SKIP_1) | instid1(VALU_DEP_1)
	s_cmp_lg_u32 s7, 0
	s_addc_u32 s3, s3, s33
	v_readfirstlane_b32 s7, v1
	s_mul_i32 s33, s19, s3
	s_delay_alu instid0(VALU_DEP_1)
	s_mul_hi_u32 s36, s19, s7
	s_mul_i32 s31, s31, s7
	s_add_i32 s33, s36, s33
	s_mul_i32 s19, s19, s7
	s_add_i32 s33, s33, s31
	s_mul_hi_u32 s36, s3, s19
	s_mul_i32 s37, s3, s19
	s_mul_hi_u32 s19, s7, s19
	s_mul_hi_u32 s38, s7, s33
	s_mul_i32 s7, s7, s33
	s_mul_hi_u32 s31, s3, s33
	s_add_u32 s7, s19, s7
	s_addc_u32 s19, 0, s38
	s_add_u32 s7, s7, s37
	s_mul_i32 s33, s3, s33
	s_addc_u32 s7, s19, s36
	s_addc_u32 s19, s31, 0
	s_add_u32 s7, s7, s33
	s_addc_u32 s19, 0, s19
	v_add_co_u32 v1, s7, v1, s7
	s_delay_alu instid0(VALU_DEP_1) | instskip(SKIP_2) | instid1(VALU_DEP_1)
	s_cmp_lg_u32 s7, 0
	s_addc_u32 s3, s3, s19
	s_ashr_i32 s36, s23, 31
	v_readfirstlane_b32 s7, v1
	s_add_u32 s38, s22, s36
	s_mov_b32 s37, s36
	s_addc_u32 s39, s23, s36
	s_delay_alu instid0(SALU_CYCLE_1) | instskip(NEXT) | instid1(SALU_CYCLE_1)
	s_xor_b64 s[38:39], s[38:39], s[36:37]
	s_mul_i32 s31, s38, s3
	s_mul_hi_u32 s33, s38, s7
	s_mul_hi_u32 s19, s38, s3
	;; [unrolled: 1-line block ×3, first 2 shown]
	s_mul_i32 s7, s39, s7
	s_add_u32 s31, s33, s31
	s_addc_u32 s19, 0, s19
	s_mul_hi_u32 s40, s39, s3
	s_add_u32 s7, s31, s7
	s_mul_i32 s3, s39, s3
	s_addc_u32 s7, s19, s41
	s_addc_u32 s19, s40, 0
	s_add_u32 s3, s7, s3
	s_addc_u32 s7, 0, s19
	s_mul_hi_u32 s19, s34, s3
	s_mul_i32 s33, s34, s7
	s_mul_i32 s40, s34, s3
	s_add_i32 s19, s19, s33
	v_sub_co_u32 v1, s33, s38, s40
	s_mul_i32 s31, s35, s3
	s_delay_alu instid0(SALU_CYCLE_1) | instskip(NEXT) | instid1(VALU_DEP_1)
	s_add_i32 s19, s19, s31
	v_sub_co_u32 v2, s38, v1, s34
	s_sub_i32 s31, s39, s19
	s_cmp_lg_u32 s33, 0
	s_subb_u32 s31, s31, s35
	s_cmp_lg_u32 s38, 0
	v_readfirstlane_b32 s38, v2
	s_subb_u32 s31, s31, 0
	s_delay_alu instid0(SALU_CYCLE_1) | instskip(SKIP_1) | instid1(VALU_DEP_1)
	s_cmp_ge_u32 s31, s35
	s_cselect_b32 s40, -1, 0
	s_cmp_ge_u32 s38, s34
	s_cselect_b32 s38, -1, 0
	s_cmp_eq_u32 s31, s35
	s_cselect_b32 s31, s38, s40
	s_add_u32 s38, s3, 1
	s_addc_u32 s40, s7, 0
	s_add_u32 s41, s3, 2
	s_addc_u32 s42, s7, 0
	s_cmp_lg_u32 s31, 0
	s_cselect_b32 s31, s41, s38
	s_cselect_b32 s38, s42, s40
	s_cmp_lg_u32 s33, 0
	v_readfirstlane_b32 s33, v1
	s_subb_u32 s19, s39, s19
	s_delay_alu instid0(SALU_CYCLE_1) | instskip(SKIP_1) | instid1(VALU_DEP_1)
	s_cmp_ge_u32 s19, s35
	s_cselect_b32 s39, -1, 0
	s_cmp_ge_u32 s33, s34
	s_cselect_b32 s33, -1, 0
	s_cmp_eq_u32 s19, s35
	s_cselect_b32 s19, s33, s39
	s_delay_alu instid0(SALU_CYCLE_1) | instskip(SKIP_3) | instid1(SALU_CYCLE_1)
	s_cmp_lg_u32 s19, 0
	s_cselect_b32 s35, s38, s7
	s_cselect_b32 s34, s31, s3
	s_xor_b64 s[28:29], s[36:37], s[28:29]
	s_xor_b64 s[34:35], s[34:35], s[28:29]
	s_delay_alu instid0(SALU_CYCLE_1)
	s_sub_u32 s28, s34, s28
	s_subb_u32 s29, s35, s29
	s_and_not1_b32 vcc_lo, exec_lo, s30
	s_cbranch_vccnz .LBB45_7
.LBB45_6:
	v_cvt_f32_u32_e32 v1, s26
	s_sub_i32 s7, 0, s26
	s_mov_b32 s29, 0
	s_delay_alu instid0(VALU_DEP_1) | instskip(SKIP_2) | instid1(VALU_DEP_1)
	v_rcp_iflag_f32_e32 v1, v1
	s_waitcnt_depctr 0xfff
	v_mul_f32_e32 v1, 0x4f7ffffe, v1
	v_cvt_u32_f32_e32 v1, v1
	s_delay_alu instid0(VALU_DEP_1) | instskip(NEXT) | instid1(VALU_DEP_1)
	v_readfirstlane_b32 s3, v1
	s_mul_i32 s7, s7, s3
	s_delay_alu instid0(SALU_CYCLE_1) | instskip(NEXT) | instid1(SALU_CYCLE_1)
	s_mul_hi_u32 s7, s3, s7
	s_add_i32 s3, s3, s7
	s_delay_alu instid0(SALU_CYCLE_1) | instskip(NEXT) | instid1(SALU_CYCLE_1)
	s_mul_hi_u32 s3, s22, s3
	s_mul_i32 s7, s3, s26
	s_add_i32 s19, s3, 1
	s_sub_i32 s7, s22, s7
	s_delay_alu instid0(SALU_CYCLE_1)
	s_sub_i32 s28, s7, s26
	s_cmp_ge_u32 s7, s26
	s_cselect_b32 s3, s19, s3
	s_cselect_b32 s7, s28, s7
	s_add_i32 s19, s3, 1
	s_cmp_ge_u32 s7, s26
	s_cselect_b32 s28, s19, s3
.LBB45_7:
	s_delay_alu instid0(SALU_CYCLE_1)
	s_mul_i32 s3, s28, s27
	s_mul_hi_u32 s7, s28, s26
	s_mul_i32 s19, s28, s26
	s_add_i32 s3, s7, s3
	s_mul_i32 s7, s29, s26
	s_mul_hi_u32 s31, s28, s4
	s_add_i32 s7, s3, s7
	s_sub_u32 s3, s22, s19
	s_subb_u32 s30, s23, s7
	s_mul_i32 s33, s29, s4
	s_mul_i32 s26, s28, s4
	s_mul_hi_u32 s29, s3, s5
	s_mul_i32 s30, s30, s5
	s_mul_i32 s22, s3, s5
	s_mov_b32 s34, exec_lo
	v_cmpx_gt_i32_e64 s18, v0
	s_cbranch_execz .LBB45_10
; %bb.8:
	s_load_b32 s23, s[0:1], 0x8c
	s_ashr_i32 s27, s4, 31
	s_ashr_i32 s35, s5, 31
	s_lshl_b64 s[36:37], s[24:25], 1
	s_ashr_i32 s19, s18, 31
	s_ashr_i32 s7, s6, 31
	s_mul_i32 s25, s9, s2
	s_mul_hi_u32 s39, s8, s2
	s_mul_i32 s38, s8, s2
	s_mul_i32 s8, s28, s27
	;; [unrolled: 1-line block ×3, first 2 shown]
	v_lshlrev_b32_e32 v5, 2, v0
	v_mov_b32_e32 v7, v0
	s_waitcnt lgkmcnt(0)
	s_and_b32 s24, s23, 0xffff
	s_add_u32 s35, s20, s36
	s_addc_u32 s21, s21, s37
	s_add_i32 s8, s31, s8
	s_add_i32 s9, s29, s9
	;; [unrolled: 1-line block ×4, first 2 shown]
	s_lshl_b64 s[36:37], s[26:27], 1
	s_lshl_b64 s[40:41], s[22:23], 1
	s_lshl_b32 s20, s24, 1
	s_lshl_b64 s[8:9], s[18:19], 1
	s_add_u32 s19, s36, s40
	s_addc_u32 s23, s37, s41
	s_lshl_b64 s[36:37], s[6:7], 1
	v_add_co_u32 v1, s7, s35, v3
	s_delay_alu instid0(VALU_DEP_1)
	v_add_co_ci_u32_e64 v2, null, s21, 0, s7
	s_add_u32 s7, s16, s36
	s_addc_u32 s21, s17, s37
	s_add_u32 s7, s7, s19
	s_addc_u32 s19, s21, s23
	s_add_i32 s39, s39, s25
	v_add_co_u32 v3, s7, s7, v5
	s_lshl_b64 s[36:37], s[38:39], 1
	v_add_co_ci_u32_e64 v4, null, s19, 0, s7
	s_lshl_b32 s7, s24, 2
	s_add_u32 s12, s12, s36
	v_add_co_u32 v3, vcc_lo, v3, 2
	s_addc_u32 s13, s13, s37
	v_add_co_u32 v5, s12, s12, v5
	v_add_co_ci_u32_e32 v4, vcc_lo, 0, v4, vcc_lo
	v_add_co_ci_u32_e64 v6, null, s13, 0, s12
	s_mov_b32 s19, 0
	s_mov_b64 s[12:13], 0
	s_set_inst_prefetch_distance 0x1
	.p2align	6
.LBB45_9:                               ; =>This Inner Loop Header: Depth=1
	v_add_co_u32 v8, vcc_lo, v5, s12
	v_add_co_ci_u32_e32 v9, vcc_lo, s13, v6, vcc_lo
	v_add_co_u32 v10, vcc_lo, v1, s8
	v_add_co_ci_u32_e32 v11, vcc_lo, s9, v2, vcc_lo
	global_load_b32 v12, v[8:9], off
	s_clause 0x1
	global_load_u16 v13, v[1:2], off
	global_load_u16 v14, v[10:11], off
	v_add_co_u32 v10, vcc_lo, v3, s12
	v_add_nc_u32_e32 v7, s24, v7
	v_add_co_ci_u32_e32 v11, vcc_lo, s13, v4, vcc_lo
	v_add_co_u32 v1, vcc_lo, v1, s20
	v_add_co_ci_u32_e32 v2, vcc_lo, 0, v2, vcc_lo
	s_delay_alu instid0(VALU_DEP_4)
	v_cmp_le_i32_e32 vcc_lo, s18, v7
	s_add_u32 s12, s12, s7
	s_addc_u32 s13, s13, 0
	s_or_b32 s19, vcc_lo, s19
	s_waitcnt vmcnt(2)
	v_lshrrev_b32_e32 v15, 16, v12
	s_waitcnt vmcnt(0)
	s_delay_alu instid0(VALU_DEP_1) | instskip(SKIP_1) | instid1(VALU_DEP_2)
	v_mul_f16_e32 v16, v14, v15
	v_mul_f16_e32 v15, v13, v15
	v_fma_f16 v13, v13, v12, -v16
	s_delay_alu instid0(VALU_DEP_2) | instskip(NEXT) | instid1(VALU_DEP_1)
	v_fmac_f16_e32 v15, v14, v12
	v_pack_b32_f16 v12, v13, v15
	global_store_b32 v[8:9], v12, off
	global_store_b32 v[10:11], v12, off offset:-2
	s_and_not1_b32 exec_lo, exec_lo, s19
	s_cbranch_execnz .LBB45_9
.LBB45_10:
	s_set_inst_prefetch_distance 0x2
	s_or_b32 exec_lo, exec_lo, s34
	s_delay_alu instid0(SALU_CYCLE_1)
	s_mov_b32 s7, exec_lo
	v_cmpx_gt_i32_e64 s6, v0
	s_cbranch_execz .LBB45_13
; %bb.11:
	s_mul_i32 s7, s2, s11
	s_mul_hi_u32 s9, s2, s10
	s_mul_i32 s8, s2, s10
	s_add_i32 s9, s9, s7
	s_delay_alu instid0(SALU_CYCLE_1) | instskip(NEXT) | instid1(SALU_CYCLE_1)
	s_lshl_b64 s[8:9], s[8:9], 1
	s_add_u32 s2, s14, s8
	s_addc_u32 s7, s15, s9
	s_ashr_i32 s4, s4, 31
	s_load_b32 s8, s[0:1], 0x8c
	s_mul_i32 s4, s28, s4
	s_delay_alu instid0(SALU_CYCLE_1) | instskip(NEXT) | instid1(SALU_CYCLE_1)
	s_add_i32 s0, s31, s4
	s_add_i32 s27, s0, s33
	s_delay_alu instid0(SALU_CYCLE_1) | instskip(NEXT) | instid1(SALU_CYCLE_1)
	s_lshl_b64 s[0:1], s[26:27], 1
	s_add_u32 s0, s16, s0
	s_addc_u32 s9, s17, s1
	s_ashr_i32 s1, s5, 31
	s_delay_alu instid0(SALU_CYCLE_1) | instskip(NEXT) | instid1(SALU_CYCLE_1)
	s_mul_i32 s3, s3, s1
	s_add_i32 s1, s29, s3
	s_delay_alu instid0(SALU_CYCLE_1) | instskip(NEXT) | instid1(SALU_CYCLE_1)
	s_add_i32 s23, s1, s30
	s_lshl_b64 s[4:5], s[22:23], 1
	s_delay_alu instid0(SALU_CYCLE_1)
	s_add_u32 s1, s0, s4
	s_addc_u32 s3, s9, s5
	s_waitcnt lgkmcnt(0)
	s_and_b32 s4, s8, 0xffff
	s_mov_b32 s5, 0
	.p2align	6
.LBB45_12:                              ; =>This Inner Loop Header: Depth=1
	v_ashrrev_i32_e32 v1, 31, v0
	s_delay_alu instid0(VALU_DEP_1) | instskip(SKIP_1) | instid1(VALU_DEP_2)
	v_lshlrev_b64 v[1:2], 1, v[0:1]
	v_add_nc_u32_e32 v0, s4, v0
	v_add_co_u32 v3, vcc_lo, s2, v1
	s_delay_alu instid0(VALU_DEP_3) | instskip(NEXT) | instid1(VALU_DEP_3)
	v_add_co_ci_u32_e32 v4, vcc_lo, s7, v2, vcc_lo
	v_cmp_le_i32_e32 vcc_lo, s6, v0
	v_add_co_u32 v1, s0, s1, v1
	global_load_u16 v3, v[3:4], off
	v_add_co_ci_u32_e64 v2, s0, s3, v2, s0
	s_or_b32 s5, vcc_lo, s5
	s_waitcnt vmcnt(0)
	global_store_b16 v[1:2], v3, off
	s_and_not1_b32 exec_lo, exec_lo, s5
	s_cbranch_execnz .LBB45_12
.LBB45_13:
	s_nop 0
	s_sendmsg sendmsg(MSG_DEALLOC_VGPRS)
	s_endpgm
.LBB45_14:
                                        ; implicit-def: $sgpr28_sgpr29
	s_branch .LBB45_6
	.section	.rodata,"a",@progbits
	.p2align	6, 0x0
	.amdhsa_kernel _ZN4vllm38concat_and_cache_mla_rope_fused_kernelIN3c104HalfES2_Lb0E14__hip_bfloat16S3_LNS_18Fp8KVCacheDataTypeE0EEEvPKlPT_S8_PKS7_PKT0_illlliPT3_S6_iiiiPKf
		.amdhsa_group_segment_fixed_size 0
		.amdhsa_private_segment_fixed_size 0
		.amdhsa_kernarg_size 384
		.amdhsa_user_sgpr_count 15
		.amdhsa_user_sgpr_dispatch_ptr 0
		.amdhsa_user_sgpr_queue_ptr 0
		.amdhsa_user_sgpr_kernarg_segment_ptr 1
		.amdhsa_user_sgpr_dispatch_id 0
		.amdhsa_user_sgpr_private_segment_size 0
		.amdhsa_wavefront_size32 1
		.amdhsa_uses_dynamic_stack 0
		.amdhsa_enable_private_segment 0
		.amdhsa_system_sgpr_workgroup_id_x 1
		.amdhsa_system_sgpr_workgroup_id_y 0
		.amdhsa_system_sgpr_workgroup_id_z 0
		.amdhsa_system_sgpr_workgroup_info 0
		.amdhsa_system_vgpr_workitem_id 0
		.amdhsa_next_free_vgpr 17
		.amdhsa_next_free_sgpr 43
		.amdhsa_reserve_vcc 1
		.amdhsa_float_round_mode_32 0
		.amdhsa_float_round_mode_16_64 0
		.amdhsa_float_denorm_mode_32 3
		.amdhsa_float_denorm_mode_16_64 3
		.amdhsa_dx10_clamp 1
		.amdhsa_ieee_mode 1
		.amdhsa_fp16_overflow 0
		.amdhsa_workgroup_processor_mode 1
		.amdhsa_memory_ordered 1
		.amdhsa_forward_progress 0
		.amdhsa_shared_vgpr_count 0
		.amdhsa_exception_fp_ieee_invalid_op 0
		.amdhsa_exception_fp_denorm_src 0
		.amdhsa_exception_fp_ieee_div_zero 0
		.amdhsa_exception_fp_ieee_overflow 0
		.amdhsa_exception_fp_ieee_underflow 0
		.amdhsa_exception_fp_ieee_inexact 0
		.amdhsa_exception_int_div_zero 0
	.end_amdhsa_kernel
	.section	.text._ZN4vllm38concat_and_cache_mla_rope_fused_kernelIN3c104HalfES2_Lb0E14__hip_bfloat16S3_LNS_18Fp8KVCacheDataTypeE0EEEvPKlPT_S8_PKS7_PKT0_illlliPT3_S6_iiiiPKf,"axG",@progbits,_ZN4vllm38concat_and_cache_mla_rope_fused_kernelIN3c104HalfES2_Lb0E14__hip_bfloat16S3_LNS_18Fp8KVCacheDataTypeE0EEEvPKlPT_S8_PKS7_PKT0_illlliPT3_S6_iiiiPKf,comdat
.Lfunc_end45:
	.size	_ZN4vllm38concat_and_cache_mla_rope_fused_kernelIN3c104HalfES2_Lb0E14__hip_bfloat16S3_LNS_18Fp8KVCacheDataTypeE0EEEvPKlPT_S8_PKS7_PKT0_illlliPT3_S6_iiiiPKf, .Lfunc_end45-_ZN4vllm38concat_and_cache_mla_rope_fused_kernelIN3c104HalfES2_Lb0E14__hip_bfloat16S3_LNS_18Fp8KVCacheDataTypeE0EEEvPKlPT_S8_PKS7_PKT0_illlliPT3_S6_iiiiPKf
                                        ; -- End function
	.section	.AMDGPU.csdata,"",@progbits
; Kernel info:
; codeLenInByte = 2280
; NumSgprs: 45
; NumVgprs: 17
; ScratchSize: 0
; MemoryBound: 0
; FloatMode: 240
; IeeeMode: 1
; LDSByteSize: 0 bytes/workgroup (compile time only)
; SGPRBlocks: 5
; VGPRBlocks: 2
; NumSGPRsForWavesPerEU: 45
; NumVGPRsForWavesPerEU: 17
; Occupancy: 16
; WaveLimiterHint : 1
; COMPUTE_PGM_RSRC2:SCRATCH_EN: 0
; COMPUTE_PGM_RSRC2:USER_SGPR: 15
; COMPUTE_PGM_RSRC2:TRAP_HANDLER: 0
; COMPUTE_PGM_RSRC2:TGID_X_EN: 1
; COMPUTE_PGM_RSRC2:TGID_Y_EN: 0
; COMPUTE_PGM_RSRC2:TGID_Z_EN: 0
; COMPUTE_PGM_RSRC2:TIDIG_COMP_CNT: 0
	.section	.text._ZN4vllm38concat_and_cache_mla_rope_fused_kernelIN3c104HalfENS1_8BFloat16ELb1E14__hip_bfloat16S4_LNS_18Fp8KVCacheDataTypeE0EEEvPKlPT_S9_PKS8_PKT0_illlliPT3_S7_iiiiPKf,"axG",@progbits,_ZN4vllm38concat_and_cache_mla_rope_fused_kernelIN3c104HalfENS1_8BFloat16ELb1E14__hip_bfloat16S4_LNS_18Fp8KVCacheDataTypeE0EEEvPKlPT_S9_PKS8_PKT0_illlliPT3_S7_iiiiPKf,comdat
	.protected	_ZN4vllm38concat_and_cache_mla_rope_fused_kernelIN3c104HalfENS1_8BFloat16ELb1E14__hip_bfloat16S4_LNS_18Fp8KVCacheDataTypeE0EEEvPKlPT_S9_PKS8_PKT0_illlliPT3_S7_iiiiPKf ; -- Begin function _ZN4vllm38concat_and_cache_mla_rope_fused_kernelIN3c104HalfENS1_8BFloat16ELb1E14__hip_bfloat16S4_LNS_18Fp8KVCacheDataTypeE0EEEvPKlPT_S9_PKS8_PKT0_illlliPT3_S7_iiiiPKf
	.globl	_ZN4vllm38concat_and_cache_mla_rope_fused_kernelIN3c104HalfENS1_8BFloat16ELb1E14__hip_bfloat16S4_LNS_18Fp8KVCacheDataTypeE0EEEvPKlPT_S9_PKS8_PKT0_illlliPT3_S7_iiiiPKf
	.p2align	8
	.type	_ZN4vllm38concat_and_cache_mla_rope_fused_kernelIN3c104HalfENS1_8BFloat16ELb1E14__hip_bfloat16S4_LNS_18Fp8KVCacheDataTypeE0EEEvPKlPT_S9_PKS8_PKT0_illlliPT3_S7_iiiiPKf,@function
_ZN4vllm38concat_and_cache_mla_rope_fused_kernelIN3c104HalfENS1_8BFloat16ELb1E14__hip_bfloat16S4_LNS_18Fp8KVCacheDataTypeE0EEEvPKlPT_S9_PKS8_PKT0_illlliPT3_S7_iiiiPKf: ; @_ZN4vllm38concat_and_cache_mla_rope_fused_kernelIN3c104HalfENS1_8BFloat16ELb1E14__hip_bfloat16S4_LNS_18Fp8KVCacheDataTypeE0EEEvPKlPT_S9_PKS8_PKT0_illlliPT3_S7_iiiiPKf
; %bb.0:
	s_load_b64 s[6:7], s[0:1], 0x60
	s_mov_b32 s2, s15
	s_mov_b32 s3, 0
	s_delay_alu instid0(SALU_CYCLE_1)
	s_lshl_b64 s[4:5], s[2:3], 3
	s_waitcnt lgkmcnt(0)
	s_add_u32 s6, s6, s4
	s_addc_u32 s7, s7, s5
	s_load_b64 s[24:25], s[6:7], 0x0
	s_waitcnt lgkmcnt(0)
	v_cmp_lt_i64_e64 s3, s[24:25], 0
	s_delay_alu instid0(VALU_DEP_1)
	s_and_b32 vcc_lo, exec_lo, s3
	s_cbranch_vccnz .LBB46_13
; %bb.1:
	s_clause 0x2
	s_load_b32 s26, s[0:1], 0x28
	s_load_b64 s[6:7], s[0:1], 0x0
	s_load_b128 s[12:15], s[0:1], 0x10
	s_waitcnt lgkmcnt(0)
	s_ashr_i32 s3, s26, 31
	s_add_u32 s4, s6, s4
	s_addc_u32 s5, s7, s5
	s_load_b64 s[18:19], s[4:5], 0x0
	s_clause 0x3
	s_load_b64 s[20:21], s[0:1], 0x20
	s_load_b32 s27, s[0:1], 0x50
	s_load_b64 s[16:17], s[0:1], 0x58
	s_load_b256 s[4:11], s[0:1], 0x30
	s_waitcnt lgkmcnt(0)
	s_mul_i32 s3, s18, s3
	s_mul_hi_u32 s22, s18, s26
	s_mul_i32 s19, s19, s26
	s_add_i32 s3, s22, s3
	s_mul_i32 s18, s18, s26
	s_add_i32 s19, s3, s19
	s_delay_alu instid0(SALU_CYCLE_1) | instskip(NEXT) | instid1(SALU_CYCLE_1)
	s_lshl_b64 s[22:23], s[18:19], 1
	s_add_u32 s3, s20, s22
	s_addc_u32 s33, s21, s23
	s_lshr_b32 s18, s26, 31
	s_delay_alu instid0(SALU_CYCLE_1) | instskip(NEXT) | instid1(SALU_CYCLE_1)
	s_add_i32 s26, s26, s18
	s_ashr_i32 s18, s26, 1
	s_delay_alu instid0(SALU_CYCLE_1)
	s_mul_i32 s26, s18, s27
	s_mov_b32 s27, exec_lo
	v_cmpx_gt_i32_e64 s26, v0
	s_cbranch_execz .LBB46_4
; %bb.2:
	s_clause 0x1
	s_load_b64 s[28:29], s[0:1], 0x8
	s_load_b32 s31, s[0:1], 0x8c
	s_mul_i32 s5, s2, s5
	s_mul_hi_u32 s19, s2, s4
	s_mul_i32 s4, s2, s4
	s_add_i32 s5, s19, s5
	s_ashr_i32 s19, s18, 31
	s_lshl_b64 s[4:5], s[4:5], 1
	s_mov_b32 s34, 0
	s_waitcnt lgkmcnt(0)
	s_add_u32 s28, s28, s4
	s_addc_u32 s29, s29, s5
	s_abs_i32 s30, s18
	s_and_b32 s31, s31, 0xffff
	v_cvt_f32_u32_e32 v1, s30
	s_sub_i32 s4, 0, s30
	s_sub_i32 s35, 0, s18
	s_delay_alu instid0(VALU_DEP_1) | instskip(SKIP_2) | instid1(VALU_DEP_1)
	v_rcp_iflag_f32_e32 v1, v1
	s_waitcnt_depctr 0xfff
	v_mul_f32_e32 v1, 0x4f7ffffe, v1
	v_cvt_u32_f32_e32 v1, v1
	s_delay_alu instid0(VALU_DEP_1) | instskip(SKIP_1) | instid1(VALU_DEP_1)
	v_mul_lo_u32 v2, s4, v1
	s_lshl_b64 s[4:5], s[18:19], 1
	v_mul_hi_u32 v2, v1, v2
	s_delay_alu instid0(VALU_DEP_1)
	v_dual_mov_b32 v1, v0 :: v_dual_add_nc_u32 v2, v1, v2
.LBB46_3:                               ; =>This Inner Loop Header: Depth=1
	s_delay_alu instid0(VALU_DEP_1) | instskip(SKIP_1) | instid1(VALU_DEP_2)
	v_sub_nc_u32_e32 v3, 0, v1
	v_ashrrev_i32_e32 v4, 31, v1
	v_max_i32_e32 v3, v1, v3
	s_delay_alu instid0(VALU_DEP_2) | instskip(NEXT) | instid1(VALU_DEP_2)
	v_xor_b32_e32 v4, s19, v4
	v_mul_hi_u32 v5, v3, v2
	s_delay_alu instid0(VALU_DEP_1) | instskip(SKIP_1) | instid1(VALU_DEP_2)
	v_mul_lo_u32 v6, v5, s30
	v_add_nc_u32_e32 v7, 1, v5
	v_sub_nc_u32_e32 v3, v3, v6
	s_delay_alu instid0(VALU_DEP_1) | instskip(SKIP_1) | instid1(VALU_DEP_4)
	v_subrev_nc_u32_e32 v6, s30, v3
	v_cmp_le_u32_e32 vcc_lo, s30, v3
	v_cndmask_b32_e32 v5, v5, v7, vcc_lo
	s_delay_alu instid0(VALU_DEP_1) | instskip(NEXT) | instid1(VALU_DEP_1)
	v_dual_cndmask_b32 v3, v3, v6 :: v_dual_add_nc_u32 v6, 1, v5
	v_cmp_le_u32_e32 vcc_lo, s30, v3
	s_delay_alu instid0(VALU_DEP_2) | instskip(NEXT) | instid1(VALU_DEP_1)
	v_cndmask_b32_e32 v3, v5, v6, vcc_lo
	v_xor_b32_e32 v3, v3, v4
	s_delay_alu instid0(VALU_DEP_1) | instskip(NEXT) | instid1(VALU_DEP_1)
	v_sub_nc_u32_e32 v7, v3, v4
	v_mad_u64_u32 v[3:4], null, s35, v7, v[1:2]
	v_ashrrev_i32_e32 v8, 31, v7
	v_mul_lo_u32 v9, v7, s7
	v_mad_u64_u32 v[5:6], null, v7, s6, 0
	v_add_nc_u32_e32 v1, s31, v1
	s_delay_alu instid0(VALU_DEP_4) | instskip(SKIP_1) | instid1(VALU_DEP_1)
	v_mul_lo_u32 v7, v8, s6
	v_ashrrev_i32_e32 v4, 31, v3
	v_lshlrev_b64 v[3:4], 1, v[3:4]
	s_delay_alu instid0(VALU_DEP_3) | instskip(NEXT) | instid1(VALU_DEP_2)
	v_add3_u32 v6, v6, v9, v7
	v_add_co_u32 v7, vcc_lo, s3, v3
	s_delay_alu instid0(VALU_DEP_2) | instskip(NEXT) | instid1(VALU_DEP_4)
	v_lshlrev_b64 v[5:6], 1, v[5:6]
	v_add_co_ci_u32_e32 v8, vcc_lo, s33, v4, vcc_lo
	s_delay_alu instid0(VALU_DEP_3) | instskip(NEXT) | instid1(VALU_DEP_2)
	v_add_co_u32 v9, vcc_lo, v7, s4
	v_add_co_ci_u32_e32 v10, vcc_lo, s5, v8, vcc_lo
	s_delay_alu instid0(VALU_DEP_4)
	v_add_co_u32 v5, vcc_lo, s28, v5
	v_add_co_ci_u32_e32 v6, vcc_lo, s29, v6, vcc_lo
	s_clause 0x1
	global_load_u16 v7, v[7:8], off
	global_load_u16 v8, v[9:10], off
	v_add_co_u32 v3, vcc_lo, v5, v3
	v_add_co_ci_u32_e32 v4, vcc_lo, v6, v4, vcc_lo
	s_delay_alu instid0(VALU_DEP_2) | instskip(NEXT) | instid1(VALU_DEP_2)
	v_add_co_u32 v5, vcc_lo, v3, s4
	v_add_co_ci_u32_e32 v6, vcc_lo, s5, v4, vcc_lo
	s_clause 0x1
	global_load_u16 v9, v[3:4], off
	global_load_u16 v10, v[5:6], off
	v_cmp_le_i32_e32 vcc_lo, s26, v1
	s_or_b32 s34, vcc_lo, s34
	s_waitcnt vmcnt(3)
	v_lshlrev_b32_e32 v7, 16, v7
	s_waitcnt vmcnt(2)
	v_lshlrev_b32_e32 v8, 16, v8
	s_delay_alu instid0(VALU_DEP_2) | instskip(NEXT) | instid1(VALU_DEP_2)
	v_cvt_f16_f32_e32 v7, v7
	v_cvt_f16_f32_e32 v8, v8
	s_waitcnt vmcnt(0)
	s_delay_alu instid0(VALU_DEP_1) | instskip(SKIP_1) | instid1(VALU_DEP_2)
	v_mul_f16_e32 v11, v10, v8
	v_mul_f16_e32 v8, v9, v8
	v_fma_f16 v9, v9, v7, -v11
	s_delay_alu instid0(VALU_DEP_2)
	v_fmac_f16_e32 v8, v10, v7
	s_clause 0x1
	global_store_b16 v[3:4], v9, off
	global_store_b16 v[5:6], v8, off
	s_and_not1_b32 exec_lo, exec_lo, s34
	s_cbranch_execnz .LBB46_3
.LBB46_4:
	s_or_b32 exec_lo, exec_lo, s27
	s_load_b128 s[4:7], s[0:1], 0x68
	s_waitcnt lgkmcnt(0)
	s_ashr_i32 s29, s7, 31
	s_mov_b32 s28, s7
	s_delay_alu instid0(SALU_CYCLE_1) | instskip(SKIP_1) | instid1(SALU_CYCLE_1)
	s_or_b64 s[30:31], s[24:25], s[28:29]
	s_mov_b32 s30, 0
	s_cmp_lg_u64 s[30:31], 0
	s_cbranch_scc0 .LBB46_14
; %bb.5:
	s_add_u32 s34, s28, s29
	s_mov_b32 s26, s29
	s_mov_b32 s27, s29
	s_addc_u32 s35, s29, s29
	s_delay_alu instid0(SALU_CYCLE_1) | instskip(NEXT) | instid1(SALU_CYCLE_1)
	s_xor_b64 s[34:35], s[34:35], s[26:27]
	v_cvt_f32_u32_e32 v1, s34
	v_cvt_f32_u32_e32 v2, s35
	s_sub_u32 s31, 0, s34
	s_subb_u32 s36, 0, s35
	s_delay_alu instid0(VALU_DEP_1) | instskip(NEXT) | instid1(VALU_DEP_1)
	v_fmamk_f32 v1, v2, 0x4f800000, v1
	v_rcp_f32_e32 v1, v1
	s_waitcnt_depctr 0xfff
	v_mul_f32_e32 v1, 0x5f7ffffc, v1
	s_delay_alu instid0(VALU_DEP_1) | instskip(NEXT) | instid1(VALU_DEP_1)
	v_mul_f32_e32 v2, 0x2f800000, v1
	v_trunc_f32_e32 v2, v2
	s_delay_alu instid0(VALU_DEP_1) | instskip(SKIP_1) | instid1(VALU_DEP_2)
	v_fmamk_f32 v1, v2, 0xcf800000, v1
	v_cvt_u32_f32_e32 v2, v2
	v_cvt_u32_f32_e32 v1, v1
	s_delay_alu instid0(VALU_DEP_2) | instskip(NEXT) | instid1(VALU_DEP_2)
	v_readfirstlane_b32 s7, v2
	v_readfirstlane_b32 s19, v1
	s_delay_alu instid0(VALU_DEP_2) | instskip(NEXT) | instid1(VALU_DEP_1)
	s_mul_i32 s37, s31, s7
	s_mul_hi_u32 s39, s31, s19
	s_mul_i32 s38, s36, s19
	s_add_i32 s37, s39, s37
	s_mul_i32 s40, s31, s19
	s_add_i32 s37, s37, s38
	s_mul_hi_u32 s39, s19, s40
	s_mul_hi_u32 s41, s7, s40
	s_mul_i32 s38, s7, s40
	s_mul_hi_u32 s40, s19, s37
	s_mul_i32 s19, s19, s37
	s_mul_hi_u32 s42, s7, s37
	s_add_u32 s19, s39, s19
	s_addc_u32 s39, 0, s40
	s_add_u32 s19, s19, s38
	s_mul_i32 s37, s7, s37
	s_addc_u32 s19, s39, s41
	s_addc_u32 s38, s42, 0
	s_add_u32 s19, s19, s37
	s_addc_u32 s37, 0, s38
	v_add_co_u32 v1, s19, v1, s19
	s_delay_alu instid0(VALU_DEP_1) | instskip(SKIP_1) | instid1(VALU_DEP_1)
	s_cmp_lg_u32 s19, 0
	s_addc_u32 s7, s7, s37
	v_readfirstlane_b32 s19, v1
	s_mul_i32 s37, s31, s7
	s_delay_alu instid0(VALU_DEP_1)
	s_mul_hi_u32 s38, s31, s19
	s_mul_i32 s36, s36, s19
	s_add_i32 s37, s38, s37
	s_mul_i32 s31, s31, s19
	s_add_i32 s37, s37, s36
	s_mul_hi_u32 s38, s7, s31
	s_mul_i32 s39, s7, s31
	s_mul_hi_u32 s31, s19, s31
	s_mul_hi_u32 s40, s19, s37
	s_mul_i32 s19, s19, s37
	s_mul_hi_u32 s36, s7, s37
	s_add_u32 s19, s31, s19
	s_addc_u32 s31, 0, s40
	s_add_u32 s19, s19, s39
	s_mul_i32 s37, s7, s37
	s_addc_u32 s19, s31, s38
	s_addc_u32 s31, s36, 0
	s_add_u32 s19, s19, s37
	s_addc_u32 s31, 0, s31
	v_add_co_u32 v1, s19, v1, s19
	s_delay_alu instid0(VALU_DEP_1) | instskip(SKIP_2) | instid1(VALU_DEP_1)
	s_cmp_lg_u32 s19, 0
	s_addc_u32 s7, s7, s31
	s_ashr_i32 s36, s25, 31
	v_readfirstlane_b32 s19, v1
	s_add_u32 s38, s24, s36
	s_mov_b32 s37, s36
	s_addc_u32 s39, s25, s36
	s_delay_alu instid0(SALU_CYCLE_1) | instskip(NEXT) | instid1(SALU_CYCLE_1)
	s_xor_b64 s[38:39], s[38:39], s[36:37]
	s_mul_i32 s40, s38, s7
	s_mul_hi_u32 s41, s38, s19
	s_mul_hi_u32 s31, s38, s7
	;; [unrolled: 1-line block ×3, first 2 shown]
	s_mul_i32 s19, s39, s19
	s_add_u32 s40, s41, s40
	s_addc_u32 s31, 0, s31
	s_mul_hi_u32 s42, s39, s7
	s_add_u32 s19, s40, s19
	s_mul_i32 s7, s39, s7
	s_addc_u32 s19, s31, s43
	s_addc_u32 s31, s42, 0
	s_add_u32 s7, s19, s7
	s_addc_u32 s19, 0, s31
	s_mul_i32 s42, s34, s7
	s_mul_hi_u32 s31, s34, s7
	s_mul_i32 s41, s34, s19
	v_sub_co_u32 v1, s38, s38, s42
	s_mul_i32 s40, s35, s7
	s_add_i32 s31, s31, s41
	s_delay_alu instid0(SALU_CYCLE_1) | instskip(NEXT) | instid1(VALU_DEP_1)
	s_add_i32 s31, s31, s40
	v_sub_co_u32 v2, s41, v1, s34
	s_sub_i32 s40, s39, s31
	s_cmp_lg_u32 s38, 0
	s_subb_u32 s40, s40, s35
	s_cmp_lg_u32 s41, 0
	v_readfirstlane_b32 s41, v2
	s_subb_u32 s40, s40, 0
	s_delay_alu instid0(SALU_CYCLE_1) | instskip(SKIP_1) | instid1(VALU_DEP_1)
	s_cmp_ge_u32 s40, s35
	s_cselect_b32 s42, -1, 0
	s_cmp_ge_u32 s41, s34
	s_cselect_b32 s41, -1, 0
	s_cmp_eq_u32 s40, s35
	s_cselect_b32 s40, s41, s42
	s_add_u32 s41, s7, 1
	s_addc_u32 s42, s19, 0
	s_add_u32 s43, s7, 2
	s_addc_u32 s44, s19, 0
	s_cmp_lg_u32 s40, 0
	s_cselect_b32 s40, s43, s41
	s_cselect_b32 s41, s44, s42
	s_cmp_lg_u32 s38, 0
	v_readfirstlane_b32 s38, v1
	s_subb_u32 s31, s39, s31
	s_delay_alu instid0(SALU_CYCLE_1) | instskip(SKIP_1) | instid1(VALU_DEP_1)
	s_cmp_ge_u32 s31, s35
	s_cselect_b32 s39, -1, 0
	s_cmp_ge_u32 s38, s34
	s_cselect_b32 s34, -1, 0
	s_cmp_eq_u32 s31, s35
	s_cselect_b32 s31, s34, s39
	s_delay_alu instid0(SALU_CYCLE_1) | instskip(SKIP_3) | instid1(SALU_CYCLE_1)
	s_cmp_lg_u32 s31, 0
	s_cselect_b32 s35, s41, s19
	s_cselect_b32 s34, s40, s7
	s_xor_b64 s[26:27], s[36:37], s[26:27]
	s_xor_b64 s[34:35], s[34:35], s[26:27]
	s_delay_alu instid0(SALU_CYCLE_1)
	s_sub_u32 s26, s34, s26
	s_subb_u32 s27, s35, s27
	s_and_not1_b32 vcc_lo, exec_lo, s30
	s_cbranch_vccnz .LBB46_7
.LBB46_6:
	v_cvt_f32_u32_e32 v1, s28
	s_sub_i32 s19, 0, s28
	s_delay_alu instid0(VALU_DEP_1) | instskip(SKIP_2) | instid1(VALU_DEP_1)
	v_rcp_iflag_f32_e32 v1, v1
	s_waitcnt_depctr 0xfff
	v_mul_f32_e32 v1, 0x4f7ffffe, v1
	v_cvt_u32_f32_e32 v1, v1
	s_delay_alu instid0(VALU_DEP_1) | instskip(NEXT) | instid1(VALU_DEP_1)
	v_readfirstlane_b32 s7, v1
	s_mul_i32 s19, s19, s7
	s_delay_alu instid0(SALU_CYCLE_1) | instskip(NEXT) | instid1(SALU_CYCLE_1)
	s_mul_hi_u32 s19, s7, s19
	s_add_i32 s7, s7, s19
	s_delay_alu instid0(SALU_CYCLE_1) | instskip(NEXT) | instid1(SALU_CYCLE_1)
	s_mul_hi_u32 s7, s24, s7
	s_mul_i32 s19, s7, s28
	s_add_i32 s26, s7, 1
	s_sub_i32 s19, s24, s19
	s_delay_alu instid0(SALU_CYCLE_1)
	s_sub_i32 s27, s19, s28
	s_cmp_ge_u32 s19, s28
	s_cselect_b32 s7, s26, s7
	s_cselect_b32 s19, s27, s19
	s_add_i32 s26, s7, 1
	s_cmp_ge_u32 s19, s28
	s_mov_b32 s27, 0
	s_cselect_b32 s26, s26, s7
.LBB46_7:
	s_delay_alu instid0(SALU_CYCLE_1)
	s_mul_i32 s7, s26, s29
	s_mul_hi_u32 s19, s26, s28
	s_mul_hi_u32 s34, s26, s4
	s_add_i32 s7, s19, s7
	s_mul_i32 s19, s27, s28
	s_mul_i32 s28, s26, s28
	s_add_i32 s7, s7, s19
	s_sub_u32 s30, s24, s28
	s_subb_u32 s31, s25, s7
	s_mul_i32 s35, s27, s4
	s_mul_i32 s28, s26, s4
	s_mul_hi_u32 s27, s30, s5
	s_mul_i32 s31, s31, s5
	s_mul_i32 s24, s30, s5
	s_mov_b32 s36, exec_lo
	v_cmpx_gt_i32_e64 s18, v0
	s_cbranch_execz .LBB46_10
; %bb.8:
	s_mul_i32 s7, s2, s9
	s_mul_hi_u32 s9, s2, s8
	s_mul_i32 s8, s2, s8
	s_add_i32 s9, s9, s7
	s_ashr_i32 s19, s18, 31
	s_lshl_b64 s[38:39], s[8:9], 1
	s_load_b32 s37, s[0:1], 0x8c
	s_add_u32 s8, s12, s38
	s_addc_u32 s9, s13, s39
	s_ashr_i32 s7, s4, 31
	s_ashr_i32 s25, s5, 31
	s_mul_i32 s7, s26, s7
	s_mul_i32 s25, s30, s25
	s_add_i32 s7, s34, s7
	s_add_i32 s25, s27, s25
	;; [unrolled: 1-line block ×4, first 2 shown]
	s_lshl_b64 s[40:41], s[28:29], 1
	s_lshl_b64 s[42:43], s[24:25], 1
	v_dual_mov_b32 v2, v0 :: v_dual_lshlrev_b32 v1, 1, v0
	s_add_u32 s44, s40, s42
	s_addc_u32 s45, s41, s43
	s_add_u32 s25, s44, s16
	s_addc_u32 s29, s45, s17
	s_ashr_i32 s7, s6, 31
	s_delay_alu instid0(SALU_CYCLE_1) | instskip(NEXT) | instid1(SALU_CYCLE_1)
	s_lshl_b64 s[40:41], s[6:7], 1
	s_add_u32 s7, s25, s40
	s_addc_u32 s25, s29, s41
	s_waitcnt lgkmcnt(0)
	s_and_b32 s29, s37, 0xffff
	s_lshl_b64 s[42:43], s[18:19], 1
	s_lshl_b32 s19, s29, 1
	s_add_u32 s22, s22, s42
	s_addc_u32 s23, s23, s43
	s_add_u32 s20, s20, s22
	s_addc_u32 s21, s21, s23
	;; [unrolled: 2-line block ×6, first 2 shown]
	s_add_u32 s22, s16, s22
	s_mov_b32 s37, 0
	s_addc_u32 s23, s17, s23
.LBB46_9:                               ; =>This Inner Loop Header: Depth=1
	v_add_co_u32 v3, s38, s3, v1
	s_delay_alu instid0(VALU_DEP_1) | instskip(SKIP_1) | instid1(VALU_DEP_1)
	v_add_co_ci_u32_e64 v4, null, s33, 0, s38
	v_add_co_u32 v5, s38, s20, v1
	v_add_co_ci_u32_e64 v6, null, s21, 0, s38
	v_add_co_u32 v7, s38, s8, v1
	s_delay_alu instid0(VALU_DEP_1) | instskip(SKIP_1) | instid1(VALU_DEP_1)
	v_add_co_ci_u32_e64 v8, null, s9, 0, s38
	v_add_co_u32 v9, s38, s12, v1
	v_add_co_ci_u32_e64 v10, null, s13, 0, s38
	global_load_u16 v11, v[5:6], off
	global_load_u16 v12, v[3:4], off
	;; [unrolled: 1-line block ×4, first 2 shown]
	s_add_u32 s3, s3, s19
	s_addc_u32 s33, s33, 0
	v_add_nc_u32_e32 v2, s29, v2
	s_add_u32 s20, s20, s19
	s_addc_u32 s21, s21, 0
	s_add_u32 s12, s12, s19
	v_add_co_u32 v3, s38, s7, v1
	s_addc_u32 s13, s13, 0
	s_add_u32 s8, s8, s19
	v_add_co_ci_u32_e64 v4, null, s25, 0, s38
	v_add_co_u32 v5, s38, s22, v1
	v_cmp_le_i32_e32 vcc_lo, s18, v2
	s_addc_u32 s9, s9, 0
	s_add_u32 s22, s22, s19
	v_add_co_ci_u32_e64 v6, null, s23, 0, s38
	s_addc_u32 s23, s23, 0
	s_add_u32 s7, s7, s19
	s_addc_u32 s25, s25, 0
	s_or_b32 s37, vcc_lo, s37
	s_waitcnt vmcnt(3)
	v_lshlrev_b32_e32 v11, 16, v11
	s_waitcnt vmcnt(2)
	v_lshlrev_b32_e32 v12, 16, v12
	s_delay_alu instid0(VALU_DEP_2) | instskip(NEXT) | instid1(VALU_DEP_2)
	v_cvt_f16_f32_e32 v11, v11
	v_cvt_f16_f32_e32 v12, v12
	s_waitcnt vmcnt(1)
	s_delay_alu instid0(VALU_DEP_2) | instskip(SKIP_2) | instid1(VALU_DEP_2)
	v_mul_f16_e32 v15, v13, v11
	s_waitcnt vmcnt(0)
	v_mul_f16_e32 v11, v14, v11
	v_fma_f16 v14, v14, v12, -v15
	s_delay_alu instid0(VALU_DEP_2)
	v_fmac_f16_e32 v11, v13, v12
	global_store_b16 v[7:8], v14, off
	global_store_b16 v[9:10], v11, off
	;; [unrolled: 1-line block ×4, first 2 shown]
	s_and_not1_b32 exec_lo, exec_lo, s37
	s_cbranch_execnz .LBB46_9
.LBB46_10:
	s_or_b32 exec_lo, exec_lo, s36
	s_delay_alu instid0(SALU_CYCLE_1)
	s_mov_b32 s3, exec_lo
	v_cmpx_gt_i32_e64 s6, v0
	s_cbranch_execz .LBB46_13
; %bb.11:
	s_mul_i32 s3, s2, s11
	s_mul_hi_u32 s7, s2, s10
	s_mul_i32 s2, s2, s10
	s_add_i32 s3, s7, s3
	s_load_b32 s7, s[0:1], 0x8c
	s_lshl_b64 s[2:3], s[2:3], 1
	s_delay_alu instid0(SALU_CYCLE_1) | instskip(SKIP_2) | instid1(SALU_CYCLE_1)
	s_add_u32 s2, s14, s2
	s_addc_u32 s3, s15, s3
	s_ashr_i32 s4, s4, 31
	s_mul_i32 s4, s26, s4
	s_delay_alu instid0(SALU_CYCLE_1) | instskip(NEXT) | instid1(SALU_CYCLE_1)
	s_add_i32 s0, s34, s4
	s_add_i32 s29, s0, s35
	s_delay_alu instid0(SALU_CYCLE_1) | instskip(NEXT) | instid1(SALU_CYCLE_1)
	s_lshl_b64 s[0:1], s[28:29], 1
	s_add_u32 s0, s16, s0
	s_addc_u32 s8, s17, s1
	s_ashr_i32 s1, s5, 31
	s_delay_alu instid0(SALU_CYCLE_1) | instskip(NEXT) | instid1(SALU_CYCLE_1)
	s_mul_i32 s30, s30, s1
	s_add_i32 s1, s27, s30
	s_delay_alu instid0(SALU_CYCLE_1) | instskip(NEXT) | instid1(SALU_CYCLE_1)
	s_add_i32 s25, s1, s31
	s_lshl_b64 s[4:5], s[24:25], 1
	s_delay_alu instid0(SALU_CYCLE_1)
	s_add_u32 s1, s0, s4
	s_addc_u32 s4, s8, s5
	s_waitcnt lgkmcnt(0)
	s_and_b32 s5, s7, 0xffff
	s_mov_b32 s7, 0
	.p2align	6
.LBB46_12:                              ; =>This Inner Loop Header: Depth=1
	v_ashrrev_i32_e32 v1, 31, v0
	s_delay_alu instid0(VALU_DEP_1) | instskip(SKIP_1) | instid1(VALU_DEP_2)
	v_lshlrev_b64 v[1:2], 1, v[0:1]
	v_add_nc_u32_e32 v0, s5, v0
	v_add_co_u32 v3, vcc_lo, s2, v1
	s_delay_alu instid0(VALU_DEP_3) | instskip(NEXT) | instid1(VALU_DEP_3)
	v_add_co_ci_u32_e32 v4, vcc_lo, s3, v2, vcc_lo
	v_cmp_le_i32_e32 vcc_lo, s6, v0
	v_add_co_u32 v1, s0, s1, v1
	global_load_u16 v3, v[3:4], off
	v_add_co_ci_u32_e64 v2, s0, s4, v2, s0
	s_or_b32 s7, vcc_lo, s7
	s_waitcnt vmcnt(0)
	global_store_b16 v[1:2], v3, off
	s_and_not1_b32 exec_lo, exec_lo, s7
	s_cbranch_execnz .LBB46_12
.LBB46_13:
	s_nop 0
	s_sendmsg sendmsg(MSG_DEALLOC_VGPRS)
	s_endpgm
.LBB46_14:
                                        ; implicit-def: $sgpr26_sgpr27
	s_branch .LBB46_6
	.section	.rodata,"a",@progbits
	.p2align	6, 0x0
	.amdhsa_kernel _ZN4vllm38concat_and_cache_mla_rope_fused_kernelIN3c104HalfENS1_8BFloat16ELb1E14__hip_bfloat16S4_LNS_18Fp8KVCacheDataTypeE0EEEvPKlPT_S9_PKS8_PKT0_illlliPT3_S7_iiiiPKf
		.amdhsa_group_segment_fixed_size 0
		.amdhsa_private_segment_fixed_size 0
		.amdhsa_kernarg_size 384
		.amdhsa_user_sgpr_count 15
		.amdhsa_user_sgpr_dispatch_ptr 0
		.amdhsa_user_sgpr_queue_ptr 0
		.amdhsa_user_sgpr_kernarg_segment_ptr 1
		.amdhsa_user_sgpr_dispatch_id 0
		.amdhsa_user_sgpr_private_segment_size 0
		.amdhsa_wavefront_size32 1
		.amdhsa_uses_dynamic_stack 0
		.amdhsa_enable_private_segment 0
		.amdhsa_system_sgpr_workgroup_id_x 1
		.amdhsa_system_sgpr_workgroup_id_y 0
		.amdhsa_system_sgpr_workgroup_id_z 0
		.amdhsa_system_sgpr_workgroup_info 0
		.amdhsa_system_vgpr_workitem_id 0
		.amdhsa_next_free_vgpr 16
		.amdhsa_next_free_sgpr 46
		.amdhsa_reserve_vcc 1
		.amdhsa_float_round_mode_32 0
		.amdhsa_float_round_mode_16_64 0
		.amdhsa_float_denorm_mode_32 3
		.amdhsa_float_denorm_mode_16_64 3
		.amdhsa_dx10_clamp 1
		.amdhsa_ieee_mode 1
		.amdhsa_fp16_overflow 0
		.amdhsa_workgroup_processor_mode 1
		.amdhsa_memory_ordered 1
		.amdhsa_forward_progress 0
		.amdhsa_shared_vgpr_count 0
		.amdhsa_exception_fp_ieee_invalid_op 0
		.amdhsa_exception_fp_denorm_src 0
		.amdhsa_exception_fp_ieee_div_zero 0
		.amdhsa_exception_fp_ieee_overflow 0
		.amdhsa_exception_fp_ieee_underflow 0
		.amdhsa_exception_fp_ieee_inexact 0
		.amdhsa_exception_int_div_zero 0
	.end_amdhsa_kernel
	.section	.text._ZN4vllm38concat_and_cache_mla_rope_fused_kernelIN3c104HalfENS1_8BFloat16ELb1E14__hip_bfloat16S4_LNS_18Fp8KVCacheDataTypeE0EEEvPKlPT_S9_PKS8_PKT0_illlliPT3_S7_iiiiPKf,"axG",@progbits,_ZN4vllm38concat_and_cache_mla_rope_fused_kernelIN3c104HalfENS1_8BFloat16ELb1E14__hip_bfloat16S4_LNS_18Fp8KVCacheDataTypeE0EEEvPKlPT_S9_PKS8_PKT0_illlliPT3_S7_iiiiPKf,comdat
.Lfunc_end46:
	.size	_ZN4vllm38concat_and_cache_mla_rope_fused_kernelIN3c104HalfENS1_8BFloat16ELb1E14__hip_bfloat16S4_LNS_18Fp8KVCacheDataTypeE0EEEvPKlPT_S9_PKS8_PKT0_illlliPT3_S7_iiiiPKf, .Lfunc_end46-_ZN4vllm38concat_and_cache_mla_rope_fused_kernelIN3c104HalfENS1_8BFloat16ELb1E14__hip_bfloat16S4_LNS_18Fp8KVCacheDataTypeE0EEEvPKlPT_S9_PKS8_PKT0_illlliPT3_S7_iiiiPKf
                                        ; -- End function
	.section	.AMDGPU.csdata,"",@progbits
; Kernel info:
; codeLenInByte = 2392
; NumSgprs: 48
; NumVgprs: 16
; ScratchSize: 0
; MemoryBound: 0
; FloatMode: 240
; IeeeMode: 1
; LDSByteSize: 0 bytes/workgroup (compile time only)
; SGPRBlocks: 5
; VGPRBlocks: 1
; NumSGPRsForWavesPerEU: 48
; NumVGPRsForWavesPerEU: 16
; Occupancy: 16
; WaveLimiterHint : 1
; COMPUTE_PGM_RSRC2:SCRATCH_EN: 0
; COMPUTE_PGM_RSRC2:USER_SGPR: 15
; COMPUTE_PGM_RSRC2:TRAP_HANDLER: 0
; COMPUTE_PGM_RSRC2:TGID_X_EN: 1
; COMPUTE_PGM_RSRC2:TGID_Y_EN: 0
; COMPUTE_PGM_RSRC2:TGID_Z_EN: 0
; COMPUTE_PGM_RSRC2:TIDIG_COMP_CNT: 0
	.section	.text._ZN4vllm38concat_and_cache_mla_rope_fused_kernelIN3c104HalfENS1_8BFloat16ELb0E14__hip_bfloat16S4_LNS_18Fp8KVCacheDataTypeE0EEEvPKlPT_S9_PKS8_PKT0_illlliPT3_S7_iiiiPKf,"axG",@progbits,_ZN4vllm38concat_and_cache_mla_rope_fused_kernelIN3c104HalfENS1_8BFloat16ELb0E14__hip_bfloat16S4_LNS_18Fp8KVCacheDataTypeE0EEEvPKlPT_S9_PKS8_PKT0_illlliPT3_S7_iiiiPKf,comdat
	.protected	_ZN4vllm38concat_and_cache_mla_rope_fused_kernelIN3c104HalfENS1_8BFloat16ELb0E14__hip_bfloat16S4_LNS_18Fp8KVCacheDataTypeE0EEEvPKlPT_S9_PKS8_PKT0_illlliPT3_S7_iiiiPKf ; -- Begin function _ZN4vllm38concat_and_cache_mla_rope_fused_kernelIN3c104HalfENS1_8BFloat16ELb0E14__hip_bfloat16S4_LNS_18Fp8KVCacheDataTypeE0EEEvPKlPT_S9_PKS8_PKT0_illlliPT3_S7_iiiiPKf
	.globl	_ZN4vllm38concat_and_cache_mla_rope_fused_kernelIN3c104HalfENS1_8BFloat16ELb0E14__hip_bfloat16S4_LNS_18Fp8KVCacheDataTypeE0EEEvPKlPT_S9_PKS8_PKT0_illlliPT3_S7_iiiiPKf
	.p2align	8
	.type	_ZN4vllm38concat_and_cache_mla_rope_fused_kernelIN3c104HalfENS1_8BFloat16ELb0E14__hip_bfloat16S4_LNS_18Fp8KVCacheDataTypeE0EEEvPKlPT_S9_PKS8_PKT0_illlliPT3_S7_iiiiPKf,@function
_ZN4vllm38concat_and_cache_mla_rope_fused_kernelIN3c104HalfENS1_8BFloat16ELb0E14__hip_bfloat16S4_LNS_18Fp8KVCacheDataTypeE0EEEvPKlPT_S9_PKS8_PKT0_illlliPT3_S7_iiiiPKf: ; @_ZN4vllm38concat_and_cache_mla_rope_fused_kernelIN3c104HalfENS1_8BFloat16ELb0E14__hip_bfloat16S4_LNS_18Fp8KVCacheDataTypeE0EEEvPKlPT_S9_PKS8_PKT0_illlliPT3_S7_iiiiPKf
; %bb.0:
	s_load_b64 s[6:7], s[0:1], 0x60
	s_mov_b32 s2, s15
	s_mov_b32 s3, 0
	s_delay_alu instid0(SALU_CYCLE_1)
	s_lshl_b64 s[4:5], s[2:3], 3
	s_waitcnt lgkmcnt(0)
	s_add_u32 s6, s6, s4
	s_addc_u32 s7, s7, s5
	s_load_b64 s[22:23], s[6:7], 0x0
	s_waitcnt lgkmcnt(0)
	v_cmp_lt_i64_e64 s3, s[22:23], 0
	s_delay_alu instid0(VALU_DEP_1)
	s_and_b32 vcc_lo, exec_lo, s3
	s_cbranch_vccnz .LBB47_13
; %bb.1:
	s_clause 0x3
	s_load_b32 s19, s[0:1], 0x28
	s_load_b64 s[6:7], s[0:1], 0x0
	s_load_b128 s[12:15], s[0:1], 0x10
	s_load_b32 s3, s[0:1], 0x50
	v_lshlrev_b32_e32 v3, 1, v0
	s_waitcnt lgkmcnt(0)
	s_ashr_i32 s26, s19, 31
	s_add_u32 s4, s6, s4
	s_addc_u32 s5, s7, s5
	s_lshr_b32 s18, s19, 31
	s_load_b64 s[24:25], s[4:5], 0x0
	s_clause 0x2
	s_load_b64 s[20:21], s[0:1], 0x20
	s_load_b64 s[16:17], s[0:1], 0x58
	s_load_b256 s[4:11], s[0:1], 0x30
	s_add_i32 s18, s19, s18
	s_delay_alu instid0(SALU_CYCLE_1) | instskip(NEXT) | instid1(SALU_CYCLE_1)
	s_ashr_i32 s18, s18, 1
	s_mul_i32 s3, s18, s3
	s_waitcnt lgkmcnt(0)
	s_mul_i32 s26, s24, s26
	s_mul_hi_u32 s27, s24, s19
	s_mul_i32 s25, s25, s19
	s_add_i32 s26, s27, s26
	s_mul_i32 s24, s24, s19
	s_add_i32 s25, s26, s25
	s_mov_b32 s26, exec_lo
	v_cmpx_gt_i32_e64 s3, v0
	s_cbranch_execz .LBB47_4
; %bb.2:
	s_clause 0x1
	s_load_b64 s[30:31], s[0:1], 0x8
	s_load_b32 s34, s[0:1], 0x8c
	s_lshl_b64 s[28:29], s[24:25], 1
	s_mul_i32 s5, s2, s5
	s_mul_hi_u32 s19, s2, s4
	s_add_u32 s27, s20, s28
	s_mul_i32 s4, s2, s4
	s_addc_u32 s28, s21, s29
	s_add_i32 s5, s19, s5
	s_ashr_i32 s19, s18, 31
	s_lshl_b64 s[4:5], s[4:5], 1
	s_mov_b32 s33, 0
	s_waitcnt lgkmcnt(0)
	s_add_u32 s29, s30, s4
	s_addc_u32 s30, s31, s5
	s_abs_i32 s31, s18
	s_and_b32 s34, s34, 0xffff
	v_cvt_f32_u32_e32 v1, s31
	s_sub_i32 s4, 0, s31
	s_sub_i32 s35, 0, s18
	s_lshl_b32 s37, s34, 1
	s_delay_alu instid0(VALU_DEP_1) | instskip(SKIP_2) | instid1(VALU_DEP_1)
	v_rcp_iflag_f32_e32 v1, v1
	s_waitcnt_depctr 0xfff
	v_mul_f32_e32 v1, 0x4f7ffffe, v1
	v_cvt_u32_f32_e32 v2, v1
	s_delay_alu instid0(VALU_DEP_1) | instskip(SKIP_1) | instid1(SALU_CYCLE_1)
	v_mul_lo_u32 v1, s4, v2
	s_lshl_b32 s4, s18, 1
	s_sub_i32 s36, 0, s4
	s_lshl_b64 s[4:5], s[18:19], 1
	s_delay_alu instid0(VALU_DEP_1) | instskip(NEXT) | instid1(VALU_DEP_1)
	v_mul_hi_u32 v4, v2, v1
	v_dual_mov_b32 v1, v3 :: v_dual_add_nc_u32 v4, v2, v4
	v_mov_b32_e32 v2, v0
.LBB47_3:                               ; =>This Inner Loop Header: Depth=1
	s_delay_alu instid0(VALU_DEP_1) | instskip(SKIP_1) | instid1(VALU_DEP_2)
	v_sub_nc_u32_e32 v5, 0, v2
	v_ashrrev_i32_e32 v6, 31, v2
	v_max_i32_e32 v5, v2, v5
	s_delay_alu instid0(VALU_DEP_2) | instskip(NEXT) | instid1(VALU_DEP_2)
	v_xor_b32_e32 v6, s19, v6
	v_mul_hi_u32 v7, v5, v4
	s_delay_alu instid0(VALU_DEP_1) | instskip(SKIP_1) | instid1(VALU_DEP_2)
	v_mul_lo_u32 v8, v7, s31
	v_add_nc_u32_e32 v9, 1, v7
	v_sub_nc_u32_e32 v5, v5, v8
	s_delay_alu instid0(VALU_DEP_1) | instskip(SKIP_1) | instid1(VALU_DEP_4)
	v_subrev_nc_u32_e32 v8, s31, v5
	v_cmp_le_u32_e32 vcc_lo, s31, v5
	v_cndmask_b32_e32 v7, v7, v9, vcc_lo
	s_delay_alu instid0(VALU_DEP_1) | instskip(NEXT) | instid1(VALU_DEP_1)
	v_dual_cndmask_b32 v5, v5, v8 :: v_dual_add_nc_u32 v8, 1, v7
	v_cmp_le_u32_e32 vcc_lo, s31, v5
	s_delay_alu instid0(VALU_DEP_2) | instskip(NEXT) | instid1(VALU_DEP_1)
	v_cndmask_b32_e32 v5, v7, v8, vcc_lo
	v_xor_b32_e32 v5, v5, v6
	s_delay_alu instid0(VALU_DEP_1) | instskip(NEXT) | instid1(VALU_DEP_1)
	v_sub_nc_u32_e32 v11, v5, v6
	v_mad_u64_u32 v[5:6], null, s35, v11, v[2:3]
	v_ashrrev_i32_e32 v6, 31, v11
	v_mul_lo_u32 v12, v11, s7
	v_mad_u64_u32 v[7:8], null, v11, s6, 0
	v_mad_u64_u32 v[9:10], null, s36, v11, v[1:2]
	v_add_nc_u32_e32 v2, s34, v2
	v_mul_lo_u32 v11, v6, s6
	v_ashrrev_i32_e32 v6, 31, v5
	v_add_nc_u32_e32 v1, s37, v1
	v_ashrrev_i32_e32 v10, 31, v9
	s_delay_alu instid0(VALU_DEP_3) | instskip(SKIP_1) | instid1(VALU_DEP_3)
	v_lshlrev_b64 v[5:6], 1, v[5:6]
	v_add3_u32 v8, v8, v12, v11
	v_lshlrev_b64 v[9:10], 1, v[9:10]
	s_delay_alu instid0(VALU_DEP_3) | instskip(NEXT) | instid1(VALU_DEP_3)
	v_add_co_u32 v5, vcc_lo, s27, v5
	v_lshlrev_b64 v[7:8], 1, v[7:8]
	v_add_co_ci_u32_e32 v6, vcc_lo, s28, v6, vcc_lo
	s_delay_alu instid0(VALU_DEP_3) | instskip(NEXT) | instid1(VALU_DEP_2)
	v_add_co_u32 v11, vcc_lo, v5, s4
	v_add_co_ci_u32_e32 v12, vcc_lo, s5, v6, vcc_lo
	s_delay_alu instid0(VALU_DEP_4)
	v_add_co_u32 v7, vcc_lo, s29, v7
	v_add_co_ci_u32_e32 v8, vcc_lo, s30, v8, vcc_lo
	s_clause 0x1
	global_load_u16 v13, v[5:6], off
	global_load_u16 v11, v[11:12], off
	v_add_co_u32 v5, vcc_lo, v7, v9
	v_add_co_ci_u32_e32 v6, vcc_lo, v8, v10, vcc_lo
	v_cmp_le_i32_e32 vcc_lo, s3, v2
	global_load_b32 v7, v[5:6], off
	s_or_b32 s33, vcc_lo, s33
	s_waitcnt vmcnt(2)
	v_lshlrev_b32_e32 v9, 16, v13
	s_waitcnt vmcnt(1)
	v_lshlrev_b32_e32 v8, 16, v11
	s_delay_alu instid0(VALU_DEP_2) | instskip(NEXT) | instid1(VALU_DEP_2)
	v_cvt_f16_f32_e32 v9, v9
	v_cvt_f16_f32_e32 v8, v8
	s_waitcnt vmcnt(0)
	v_lshrrev_b32_e32 v10, 16, v7
	s_delay_alu instid0(VALU_DEP_1) | instskip(SKIP_1) | instid1(VALU_DEP_2)
	v_mul_f16_e32 v11, v10, v8
	v_mul_f16_e32 v8, v7, v8
	v_fma_f16 v7, v7, v9, -v11
	s_delay_alu instid0(VALU_DEP_2) | instskip(NEXT) | instid1(VALU_DEP_1)
	v_fmac_f16_e32 v8, v10, v9
	v_pack_b32_f16 v7, v7, v8
	global_store_b32 v[5:6], v7, off
	s_and_not1_b32 exec_lo, exec_lo, s33
	s_cbranch_execnz .LBB47_3
.LBB47_4:
	s_or_b32 exec_lo, exec_lo, s26
	s_load_b128 s[4:7], s[0:1], 0x68
	s_waitcnt lgkmcnt(0)
	s_ashr_i32 s27, s7, 31
	s_mov_b32 s26, s7
	s_delay_alu instid0(SALU_CYCLE_1) | instskip(SKIP_1) | instid1(SALU_CYCLE_1)
	s_or_b64 s[30:31], s[22:23], s[26:27]
	s_mov_b32 s30, 0
	s_cmp_lg_u64 s[30:31], 0
	s_cbranch_scc0 .LBB47_14
; %bb.5:
	s_add_u32 s34, s26, s27
	s_mov_b32 s28, s27
	s_mov_b32 s29, s27
	s_addc_u32 s35, s27, s27
	s_delay_alu instid0(SALU_CYCLE_1) | instskip(NEXT) | instid1(SALU_CYCLE_1)
	s_xor_b64 s[34:35], s[34:35], s[28:29]
	v_cvt_f32_u32_e32 v1, s34
	v_cvt_f32_u32_e32 v2, s35
	s_sub_u32 s19, 0, s34
	s_subb_u32 s31, 0, s35
	s_delay_alu instid0(VALU_DEP_1) | instskip(NEXT) | instid1(VALU_DEP_1)
	v_fmamk_f32 v1, v2, 0x4f800000, v1
	v_rcp_f32_e32 v1, v1
	s_waitcnt_depctr 0xfff
	v_mul_f32_e32 v1, 0x5f7ffffc, v1
	s_delay_alu instid0(VALU_DEP_1) | instskip(NEXT) | instid1(VALU_DEP_1)
	v_mul_f32_e32 v2, 0x2f800000, v1
	v_trunc_f32_e32 v2, v2
	s_delay_alu instid0(VALU_DEP_1) | instskip(SKIP_1) | instid1(VALU_DEP_2)
	v_fmamk_f32 v1, v2, 0xcf800000, v1
	v_cvt_u32_f32_e32 v2, v2
	v_cvt_u32_f32_e32 v1, v1
	s_delay_alu instid0(VALU_DEP_2) | instskip(NEXT) | instid1(VALU_DEP_2)
	v_readfirstlane_b32 s3, v2
	v_readfirstlane_b32 s7, v1
	s_delay_alu instid0(VALU_DEP_2) | instskip(NEXT) | instid1(VALU_DEP_1)
	s_mul_i32 s33, s19, s3
	s_mul_hi_u32 s37, s19, s7
	s_mul_i32 s36, s31, s7
	s_add_i32 s33, s37, s33
	s_mul_i32 s38, s19, s7
	s_add_i32 s33, s33, s36
	s_mul_hi_u32 s37, s7, s38
	s_mul_hi_u32 s39, s3, s38
	s_mul_i32 s36, s3, s38
	s_mul_hi_u32 s38, s7, s33
	s_mul_i32 s7, s7, s33
	s_mul_hi_u32 s40, s3, s33
	s_add_u32 s7, s37, s7
	s_addc_u32 s37, 0, s38
	s_add_u32 s7, s7, s36
	s_mul_i32 s33, s3, s33
	s_addc_u32 s7, s37, s39
	s_addc_u32 s36, s40, 0
	s_add_u32 s7, s7, s33
	s_addc_u32 s33, 0, s36
	v_add_co_u32 v1, s7, v1, s7
	s_delay_alu instid0(VALU_DEP_1) | instskip(SKIP_1) | instid1(VALU_DEP_1)
	s_cmp_lg_u32 s7, 0
	s_addc_u32 s3, s3, s33
	v_readfirstlane_b32 s7, v1
	s_mul_i32 s33, s19, s3
	s_delay_alu instid0(VALU_DEP_1)
	s_mul_hi_u32 s36, s19, s7
	s_mul_i32 s31, s31, s7
	s_add_i32 s33, s36, s33
	s_mul_i32 s19, s19, s7
	s_add_i32 s33, s33, s31
	s_mul_hi_u32 s36, s3, s19
	s_mul_i32 s37, s3, s19
	s_mul_hi_u32 s19, s7, s19
	s_mul_hi_u32 s38, s7, s33
	s_mul_i32 s7, s7, s33
	s_mul_hi_u32 s31, s3, s33
	s_add_u32 s7, s19, s7
	s_addc_u32 s19, 0, s38
	s_add_u32 s7, s7, s37
	s_mul_i32 s33, s3, s33
	s_addc_u32 s7, s19, s36
	s_addc_u32 s19, s31, 0
	s_add_u32 s7, s7, s33
	s_addc_u32 s19, 0, s19
	v_add_co_u32 v1, s7, v1, s7
	s_delay_alu instid0(VALU_DEP_1) | instskip(SKIP_2) | instid1(VALU_DEP_1)
	s_cmp_lg_u32 s7, 0
	s_addc_u32 s3, s3, s19
	s_ashr_i32 s36, s23, 31
	v_readfirstlane_b32 s7, v1
	s_add_u32 s38, s22, s36
	s_mov_b32 s37, s36
	s_addc_u32 s39, s23, s36
	s_delay_alu instid0(SALU_CYCLE_1) | instskip(NEXT) | instid1(SALU_CYCLE_1)
	s_xor_b64 s[38:39], s[38:39], s[36:37]
	s_mul_i32 s31, s38, s3
	s_mul_hi_u32 s33, s38, s7
	s_mul_hi_u32 s19, s38, s3
	;; [unrolled: 1-line block ×3, first 2 shown]
	s_mul_i32 s7, s39, s7
	s_add_u32 s31, s33, s31
	s_addc_u32 s19, 0, s19
	s_mul_hi_u32 s40, s39, s3
	s_add_u32 s7, s31, s7
	s_mul_i32 s3, s39, s3
	s_addc_u32 s7, s19, s41
	s_addc_u32 s19, s40, 0
	s_add_u32 s3, s7, s3
	s_addc_u32 s7, 0, s19
	s_mul_hi_u32 s19, s34, s3
	s_mul_i32 s33, s34, s7
	s_mul_i32 s40, s34, s3
	s_add_i32 s19, s19, s33
	v_sub_co_u32 v1, s33, s38, s40
	s_mul_i32 s31, s35, s3
	s_delay_alu instid0(SALU_CYCLE_1) | instskip(NEXT) | instid1(VALU_DEP_1)
	s_add_i32 s19, s19, s31
	v_sub_co_u32 v2, s38, v1, s34
	s_sub_i32 s31, s39, s19
	s_cmp_lg_u32 s33, 0
	s_subb_u32 s31, s31, s35
	s_cmp_lg_u32 s38, 0
	v_readfirstlane_b32 s38, v2
	s_subb_u32 s31, s31, 0
	s_delay_alu instid0(SALU_CYCLE_1) | instskip(SKIP_1) | instid1(VALU_DEP_1)
	s_cmp_ge_u32 s31, s35
	s_cselect_b32 s40, -1, 0
	s_cmp_ge_u32 s38, s34
	s_cselect_b32 s38, -1, 0
	s_cmp_eq_u32 s31, s35
	s_cselect_b32 s31, s38, s40
	s_add_u32 s38, s3, 1
	s_addc_u32 s40, s7, 0
	s_add_u32 s41, s3, 2
	s_addc_u32 s42, s7, 0
	s_cmp_lg_u32 s31, 0
	s_cselect_b32 s31, s41, s38
	s_cselect_b32 s38, s42, s40
	s_cmp_lg_u32 s33, 0
	v_readfirstlane_b32 s33, v1
	s_subb_u32 s19, s39, s19
	s_delay_alu instid0(SALU_CYCLE_1) | instskip(SKIP_1) | instid1(VALU_DEP_1)
	s_cmp_ge_u32 s19, s35
	s_cselect_b32 s39, -1, 0
	s_cmp_ge_u32 s33, s34
	s_cselect_b32 s33, -1, 0
	s_cmp_eq_u32 s19, s35
	s_cselect_b32 s19, s33, s39
	s_delay_alu instid0(SALU_CYCLE_1) | instskip(SKIP_3) | instid1(SALU_CYCLE_1)
	s_cmp_lg_u32 s19, 0
	s_cselect_b32 s35, s38, s7
	s_cselect_b32 s34, s31, s3
	s_xor_b64 s[28:29], s[36:37], s[28:29]
	s_xor_b64 s[34:35], s[34:35], s[28:29]
	s_delay_alu instid0(SALU_CYCLE_1)
	s_sub_u32 s28, s34, s28
	s_subb_u32 s29, s35, s29
	s_and_not1_b32 vcc_lo, exec_lo, s30
	s_cbranch_vccnz .LBB47_7
.LBB47_6:
	v_cvt_f32_u32_e32 v1, s26
	s_sub_i32 s7, 0, s26
	s_mov_b32 s29, 0
	s_delay_alu instid0(VALU_DEP_1) | instskip(SKIP_2) | instid1(VALU_DEP_1)
	v_rcp_iflag_f32_e32 v1, v1
	s_waitcnt_depctr 0xfff
	v_mul_f32_e32 v1, 0x4f7ffffe, v1
	v_cvt_u32_f32_e32 v1, v1
	s_delay_alu instid0(VALU_DEP_1) | instskip(NEXT) | instid1(VALU_DEP_1)
	v_readfirstlane_b32 s3, v1
	s_mul_i32 s7, s7, s3
	s_delay_alu instid0(SALU_CYCLE_1) | instskip(NEXT) | instid1(SALU_CYCLE_1)
	s_mul_hi_u32 s7, s3, s7
	s_add_i32 s3, s3, s7
	s_delay_alu instid0(SALU_CYCLE_1) | instskip(NEXT) | instid1(SALU_CYCLE_1)
	s_mul_hi_u32 s3, s22, s3
	s_mul_i32 s7, s3, s26
	s_add_i32 s19, s3, 1
	s_sub_i32 s7, s22, s7
	s_delay_alu instid0(SALU_CYCLE_1)
	s_sub_i32 s28, s7, s26
	s_cmp_ge_u32 s7, s26
	s_cselect_b32 s3, s19, s3
	s_cselect_b32 s7, s28, s7
	s_add_i32 s19, s3, 1
	s_cmp_ge_u32 s7, s26
	s_cselect_b32 s28, s19, s3
.LBB47_7:
	s_delay_alu instid0(SALU_CYCLE_1)
	s_mul_i32 s3, s28, s27
	s_mul_hi_u32 s7, s28, s26
	s_mul_i32 s19, s28, s26
	s_add_i32 s3, s7, s3
	s_mul_i32 s7, s29, s26
	s_mul_hi_u32 s31, s28, s4
	s_add_i32 s7, s3, s7
	s_sub_u32 s3, s22, s19
	s_subb_u32 s30, s23, s7
	s_mul_i32 s33, s29, s4
	s_mul_i32 s26, s28, s4
	s_mul_hi_u32 s29, s3, s5
	s_mul_i32 s30, s30, s5
	s_mul_i32 s22, s3, s5
	s_mov_b32 s34, exec_lo
	v_cmpx_gt_i32_e64 s18, v0
	s_cbranch_execz .LBB47_10
; %bb.8:
	s_load_b32 s23, s[0:1], 0x8c
	s_ashr_i32 s27, s4, 31
	s_ashr_i32 s35, s5, 31
	s_lshl_b64 s[36:37], s[24:25], 1
	s_ashr_i32 s19, s18, 31
	s_ashr_i32 s7, s6, 31
	s_mul_i32 s25, s9, s2
	s_mul_hi_u32 s39, s8, s2
	s_mul_i32 s38, s8, s2
	s_mul_i32 s8, s28, s27
	;; [unrolled: 1-line block ×3, first 2 shown]
	v_lshlrev_b32_e32 v5, 2, v0
	v_mov_b32_e32 v7, v0
	s_waitcnt lgkmcnt(0)
	s_and_b32 s24, s23, 0xffff
	s_add_u32 s35, s20, s36
	s_addc_u32 s21, s21, s37
	s_add_i32 s8, s31, s8
	s_add_i32 s9, s29, s9
	;; [unrolled: 1-line block ×4, first 2 shown]
	s_lshl_b64 s[36:37], s[26:27], 1
	s_lshl_b64 s[40:41], s[22:23], 1
	s_lshl_b32 s20, s24, 1
	s_lshl_b64 s[8:9], s[18:19], 1
	s_add_u32 s19, s36, s40
	s_addc_u32 s23, s37, s41
	s_lshl_b64 s[36:37], s[6:7], 1
	v_add_co_u32 v1, s7, s35, v3
	s_delay_alu instid0(VALU_DEP_1)
	v_add_co_ci_u32_e64 v2, null, s21, 0, s7
	s_add_u32 s7, s16, s36
	s_addc_u32 s21, s17, s37
	s_add_u32 s7, s7, s19
	s_addc_u32 s19, s21, s23
	s_add_i32 s39, s39, s25
	v_add_co_u32 v3, s7, s7, v5
	s_lshl_b64 s[36:37], s[38:39], 1
	v_add_co_ci_u32_e64 v4, null, s19, 0, s7
	s_lshl_b32 s7, s24, 2
	s_add_u32 s12, s12, s36
	v_add_co_u32 v3, vcc_lo, v3, 2
	s_addc_u32 s13, s13, s37
	v_add_co_u32 v5, s12, s12, v5
	v_add_co_ci_u32_e32 v4, vcc_lo, 0, v4, vcc_lo
	v_add_co_ci_u32_e64 v6, null, s13, 0, s12
	s_mov_b32 s19, 0
	s_mov_b64 s[12:13], 0
	s_set_inst_prefetch_distance 0x1
	.p2align	6
.LBB47_9:                               ; =>This Inner Loop Header: Depth=1
	v_add_co_u32 v8, vcc_lo, v1, s8
	v_add_co_ci_u32_e32 v9, vcc_lo, s9, v2, vcc_lo
	v_add_co_u32 v10, vcc_lo, v5, s12
	v_add_co_ci_u32_e32 v11, vcc_lo, s13, v6, vcc_lo
	s_clause 0x1
	global_load_u16 v12, v[8:9], off
	global_load_u16 v13, v[1:2], off
	global_load_b32 v14, v[10:11], off
	v_add_co_u32 v8, vcc_lo, v3, s12
	v_add_nc_u32_e32 v7, s24, v7
	v_add_co_ci_u32_e32 v9, vcc_lo, s13, v4, vcc_lo
	v_add_co_u32 v1, vcc_lo, v1, s20
	v_add_co_ci_u32_e32 v2, vcc_lo, 0, v2, vcc_lo
	s_delay_alu instid0(VALU_DEP_4)
	v_cmp_le_i32_e32 vcc_lo, s18, v7
	s_add_u32 s12, s12, s7
	s_addc_u32 s13, s13, 0
	s_or_b32 s19, vcc_lo, s19
	s_waitcnt vmcnt(2)
	v_lshlrev_b32_e32 v12, 16, v12
	s_waitcnt vmcnt(1)
	v_lshlrev_b32_e32 v13, 16, v13
	s_waitcnt vmcnt(0)
	v_lshrrev_b32_e32 v15, 16, v14
	v_cvt_f16_f32_e32 v12, v12
	s_delay_alu instid0(VALU_DEP_3) | instskip(NEXT) | instid1(VALU_DEP_2)
	v_cvt_f16_f32_e32 v13, v13
	v_mul_f16_e32 v16, v15, v12
	v_mul_f16_e32 v12, v14, v12
	s_delay_alu instid0(VALU_DEP_2) | instskip(NEXT) | instid1(VALU_DEP_2)
	v_fma_f16 v14, v14, v13, -v16
	v_fmac_f16_e32 v12, v15, v13
	s_delay_alu instid0(VALU_DEP_1)
	v_pack_b32_f16 v12, v14, v12
	global_store_b32 v[10:11], v12, off
	global_store_b32 v[8:9], v12, off offset:-2
	s_and_not1_b32 exec_lo, exec_lo, s19
	s_cbranch_execnz .LBB47_9
.LBB47_10:
	s_set_inst_prefetch_distance 0x2
	s_or_b32 exec_lo, exec_lo, s34
	s_delay_alu instid0(SALU_CYCLE_1)
	s_mov_b32 s7, exec_lo
	v_cmpx_gt_i32_e64 s6, v0
	s_cbranch_execz .LBB47_13
; %bb.11:
	s_mul_i32 s7, s2, s11
	s_mul_hi_u32 s9, s2, s10
	s_mul_i32 s8, s2, s10
	s_add_i32 s9, s9, s7
	s_delay_alu instid0(SALU_CYCLE_1) | instskip(NEXT) | instid1(SALU_CYCLE_1)
	s_lshl_b64 s[8:9], s[8:9], 1
	s_add_u32 s2, s14, s8
	s_addc_u32 s7, s15, s9
	s_ashr_i32 s4, s4, 31
	s_load_b32 s8, s[0:1], 0x8c
	s_mul_i32 s4, s28, s4
	s_delay_alu instid0(SALU_CYCLE_1) | instskip(NEXT) | instid1(SALU_CYCLE_1)
	s_add_i32 s0, s31, s4
	s_add_i32 s27, s0, s33
	s_delay_alu instid0(SALU_CYCLE_1) | instskip(NEXT) | instid1(SALU_CYCLE_1)
	s_lshl_b64 s[0:1], s[26:27], 1
	s_add_u32 s0, s16, s0
	s_addc_u32 s9, s17, s1
	s_ashr_i32 s1, s5, 31
	s_delay_alu instid0(SALU_CYCLE_1) | instskip(NEXT) | instid1(SALU_CYCLE_1)
	s_mul_i32 s3, s3, s1
	s_add_i32 s1, s29, s3
	s_delay_alu instid0(SALU_CYCLE_1) | instskip(NEXT) | instid1(SALU_CYCLE_1)
	s_add_i32 s23, s1, s30
	s_lshl_b64 s[4:5], s[22:23], 1
	s_delay_alu instid0(SALU_CYCLE_1)
	s_add_u32 s1, s0, s4
	s_addc_u32 s3, s9, s5
	s_waitcnt lgkmcnt(0)
	s_and_b32 s4, s8, 0xffff
	s_mov_b32 s5, 0
	.p2align	6
.LBB47_12:                              ; =>This Inner Loop Header: Depth=1
	v_ashrrev_i32_e32 v1, 31, v0
	s_delay_alu instid0(VALU_DEP_1) | instskip(SKIP_1) | instid1(VALU_DEP_2)
	v_lshlrev_b64 v[1:2], 1, v[0:1]
	v_add_nc_u32_e32 v0, s4, v0
	v_add_co_u32 v3, vcc_lo, s2, v1
	s_delay_alu instid0(VALU_DEP_3) | instskip(NEXT) | instid1(VALU_DEP_3)
	v_add_co_ci_u32_e32 v4, vcc_lo, s7, v2, vcc_lo
	v_cmp_le_i32_e32 vcc_lo, s6, v0
	v_add_co_u32 v1, s0, s1, v1
	global_load_u16 v3, v[3:4], off
	v_add_co_ci_u32_e64 v2, s0, s3, v2, s0
	s_or_b32 s5, vcc_lo, s5
	s_waitcnt vmcnt(0)
	global_store_b16 v[1:2], v3, off
	s_and_not1_b32 exec_lo, exec_lo, s5
	s_cbranch_execnz .LBB47_12
.LBB47_13:
	s_nop 0
	s_sendmsg sendmsg(MSG_DEALLOC_VGPRS)
	s_endpgm
.LBB47_14:
                                        ; implicit-def: $sgpr28_sgpr29
	s_branch .LBB47_6
	.section	.rodata,"a",@progbits
	.p2align	6, 0x0
	.amdhsa_kernel _ZN4vllm38concat_and_cache_mla_rope_fused_kernelIN3c104HalfENS1_8BFloat16ELb0E14__hip_bfloat16S4_LNS_18Fp8KVCacheDataTypeE0EEEvPKlPT_S9_PKS8_PKT0_illlliPT3_S7_iiiiPKf
		.amdhsa_group_segment_fixed_size 0
		.amdhsa_private_segment_fixed_size 0
		.amdhsa_kernarg_size 384
		.amdhsa_user_sgpr_count 15
		.amdhsa_user_sgpr_dispatch_ptr 0
		.amdhsa_user_sgpr_queue_ptr 0
		.amdhsa_user_sgpr_kernarg_segment_ptr 1
		.amdhsa_user_sgpr_dispatch_id 0
		.amdhsa_user_sgpr_private_segment_size 0
		.amdhsa_wavefront_size32 1
		.amdhsa_uses_dynamic_stack 0
		.amdhsa_enable_private_segment 0
		.amdhsa_system_sgpr_workgroup_id_x 1
		.amdhsa_system_sgpr_workgroup_id_y 0
		.amdhsa_system_sgpr_workgroup_id_z 0
		.amdhsa_system_sgpr_workgroup_info 0
		.amdhsa_system_vgpr_workitem_id 0
		.amdhsa_next_free_vgpr 17
		.amdhsa_next_free_sgpr 43
		.amdhsa_reserve_vcc 1
		.amdhsa_float_round_mode_32 0
		.amdhsa_float_round_mode_16_64 0
		.amdhsa_float_denorm_mode_32 3
		.amdhsa_float_denorm_mode_16_64 3
		.amdhsa_dx10_clamp 1
		.amdhsa_ieee_mode 1
		.amdhsa_fp16_overflow 0
		.amdhsa_workgroup_processor_mode 1
		.amdhsa_memory_ordered 1
		.amdhsa_forward_progress 0
		.amdhsa_shared_vgpr_count 0
		.amdhsa_exception_fp_ieee_invalid_op 0
		.amdhsa_exception_fp_denorm_src 0
		.amdhsa_exception_fp_ieee_div_zero 0
		.amdhsa_exception_fp_ieee_overflow 0
		.amdhsa_exception_fp_ieee_underflow 0
		.amdhsa_exception_fp_ieee_inexact 0
		.amdhsa_exception_int_div_zero 0
	.end_amdhsa_kernel
	.section	.text._ZN4vllm38concat_and_cache_mla_rope_fused_kernelIN3c104HalfENS1_8BFloat16ELb0E14__hip_bfloat16S4_LNS_18Fp8KVCacheDataTypeE0EEEvPKlPT_S9_PKS8_PKT0_illlliPT3_S7_iiiiPKf,"axG",@progbits,_ZN4vllm38concat_and_cache_mla_rope_fused_kernelIN3c104HalfENS1_8BFloat16ELb0E14__hip_bfloat16S4_LNS_18Fp8KVCacheDataTypeE0EEEvPKlPT_S9_PKS8_PKT0_illlliPT3_S7_iiiiPKf,comdat
.Lfunc_end47:
	.size	_ZN4vllm38concat_and_cache_mla_rope_fused_kernelIN3c104HalfENS1_8BFloat16ELb0E14__hip_bfloat16S4_LNS_18Fp8KVCacheDataTypeE0EEEvPKlPT_S9_PKS8_PKT0_illlliPT3_S7_iiiiPKf, .Lfunc_end47-_ZN4vllm38concat_and_cache_mla_rope_fused_kernelIN3c104HalfENS1_8BFloat16ELb0E14__hip_bfloat16S4_LNS_18Fp8KVCacheDataTypeE0EEEvPKlPT_S9_PKS8_PKT0_illlliPT3_S7_iiiiPKf
                                        ; -- End function
	.section	.AMDGPU.csdata,"",@progbits
; Kernel info:
; codeLenInByte = 2324
; NumSgprs: 45
; NumVgprs: 17
; ScratchSize: 0
; MemoryBound: 0
; FloatMode: 240
; IeeeMode: 1
; LDSByteSize: 0 bytes/workgroup (compile time only)
; SGPRBlocks: 5
; VGPRBlocks: 2
; NumSGPRsForWavesPerEU: 45
; NumVGPRsForWavesPerEU: 17
; Occupancy: 16
; WaveLimiterHint : 1
; COMPUTE_PGM_RSRC2:SCRATCH_EN: 0
; COMPUTE_PGM_RSRC2:USER_SGPR: 15
; COMPUTE_PGM_RSRC2:TRAP_HANDLER: 0
; COMPUTE_PGM_RSRC2:TGID_X_EN: 1
; COMPUTE_PGM_RSRC2:TGID_Y_EN: 0
; COMPUTE_PGM_RSRC2:TGID_Z_EN: 0
; COMPUTE_PGM_RSRC2:TIDIG_COMP_CNT: 0
	.section	.text._ZN4vllm38concat_and_cache_mla_rope_fused_kernelIN3c108BFloat16EfLb1E14__hip_bfloat16S3_LNS_18Fp8KVCacheDataTypeE0EEEvPKlPT_S8_PKS7_PKT0_illlliPT3_S6_iiiiPKf,"axG",@progbits,_ZN4vllm38concat_and_cache_mla_rope_fused_kernelIN3c108BFloat16EfLb1E14__hip_bfloat16S3_LNS_18Fp8KVCacheDataTypeE0EEEvPKlPT_S8_PKS7_PKT0_illlliPT3_S6_iiiiPKf,comdat
	.protected	_ZN4vllm38concat_and_cache_mla_rope_fused_kernelIN3c108BFloat16EfLb1E14__hip_bfloat16S3_LNS_18Fp8KVCacheDataTypeE0EEEvPKlPT_S8_PKS7_PKT0_illlliPT3_S6_iiiiPKf ; -- Begin function _ZN4vllm38concat_and_cache_mla_rope_fused_kernelIN3c108BFloat16EfLb1E14__hip_bfloat16S3_LNS_18Fp8KVCacheDataTypeE0EEEvPKlPT_S8_PKS7_PKT0_illlliPT3_S6_iiiiPKf
	.globl	_ZN4vllm38concat_and_cache_mla_rope_fused_kernelIN3c108BFloat16EfLb1E14__hip_bfloat16S3_LNS_18Fp8KVCacheDataTypeE0EEEvPKlPT_S8_PKS7_PKT0_illlliPT3_S6_iiiiPKf
	.p2align	8
	.type	_ZN4vllm38concat_and_cache_mla_rope_fused_kernelIN3c108BFloat16EfLb1E14__hip_bfloat16S3_LNS_18Fp8KVCacheDataTypeE0EEEvPKlPT_S8_PKS7_PKT0_illlliPT3_S6_iiiiPKf,@function
_ZN4vllm38concat_and_cache_mla_rope_fused_kernelIN3c108BFloat16EfLb1E14__hip_bfloat16S3_LNS_18Fp8KVCacheDataTypeE0EEEvPKlPT_S8_PKS7_PKT0_illlliPT3_S6_iiiiPKf: ; @_ZN4vllm38concat_and_cache_mla_rope_fused_kernelIN3c108BFloat16EfLb1E14__hip_bfloat16S3_LNS_18Fp8KVCacheDataTypeE0EEEvPKlPT_S8_PKS7_PKT0_illlliPT3_S6_iiiiPKf
; %bb.0:
	s_load_b64 s[4:5], s[0:1], 0x60
	s_mov_b32 s16, s15
	s_mov_b32 s17, 0
	s_delay_alu instid0(SALU_CYCLE_1)
	s_lshl_b64 s[2:3], s[16:17], 3
	s_waitcnt lgkmcnt(0)
	s_add_u32 s4, s4, s2
	s_addc_u32 s5, s5, s3
	s_load_b64 s[26:27], s[4:5], 0x0
	s_waitcnt lgkmcnt(0)
	v_cmp_lt_i64_e64 s4, s[26:27], 0
	s_delay_alu instid0(VALU_DEP_1)
	s_and_b32 vcc_lo, exec_lo, s4
	s_cbranch_vccnz .LBB48_13
; %bb.1:
	s_clause 0x3
	s_load_b32 s21, s[0:1], 0x28
	s_load_b64 s[4:5], s[0:1], 0x0
	s_load_b128 s[12:15], s[0:1], 0x10
	s_load_b32 s17, s[0:1], 0x50
	s_mov_b32 s30, exec_lo
	s_waitcnt lgkmcnt(0)
	s_ashr_i32 s24, s21, 31
	s_add_u32 s2, s4, s2
	s_addc_u32 s3, s5, s3
	s_lshr_b32 s20, s21, 31
	s_load_b64 s[2:3], s[2:3], 0x0
	s_clause 0x2
	s_load_b64 s[22:23], s[0:1], 0x20
	s_load_b64 s[18:19], s[0:1], 0x58
	s_load_b256 s[4:11], s[0:1], 0x30
	s_add_i32 s20, s21, s20
	s_delay_alu instid0(SALU_CYCLE_1) | instskip(NEXT) | instid1(SALU_CYCLE_1)
	s_ashr_i32 s20, s20, 1
	s_mul_i32 s17, s20, s17
	s_waitcnt lgkmcnt(0)
	s_mul_i32 s24, s2, s24
	s_mul_hi_u32 s25, s2, s21
	s_mul_i32 s3, s3, s21
	s_add_i32 s24, s25, s24
	s_delay_alu instid0(SALU_CYCLE_1)
	s_add_i32 s25, s24, s3
	s_mul_i32 s24, s2, s21
	v_cmpx_gt_i32_e64 s17, v0
	s_cbranch_execz .LBB48_4
; %bb.2:
	s_load_b64 s[2:3], s[0:1], 0x8
	s_lshl_b64 s[28:29], s[24:25], 2
	s_mul_i32 s5, s16, s5
	s_mul_hi_u32 s21, s16, s4
	s_add_u32 s31, s22, s28
	s_load_b32 s28, s[0:1], 0x8c
	s_mul_i32 s4, s16, s4
	s_addc_u32 s33, s23, s29
	s_add_i32 s5, s21, s5
	s_ashr_i32 s21, s20, 31
	s_lshl_b64 s[4:5], s[4:5], 1
	s_mov_b32 s37, 0
	s_waitcnt lgkmcnt(0)
	s_add_u32 s34, s2, s4
	s_addc_u32 s35, s3, s5
	s_abs_i32 s36, s20
	s_sub_i32 s39, 0, s20
	v_cvt_f32_u32_e32 v1, s36
	s_sub_i32 s2, 0, s36
	s_and_b32 s38, s28, 0xffff
	s_lshl_b64 s[4:5], s[20:21], 2
	s_lshl_b64 s[28:29], s[20:21], 1
	v_rcp_iflag_f32_e32 v1, v1
	s_waitcnt_depctr 0xfff
	v_mul_f32_e32 v1, 0x4f7ffffe, v1
	s_delay_alu instid0(VALU_DEP_1) | instskip(NEXT) | instid1(VALU_DEP_1)
	v_cvt_u32_f32_e32 v1, v1
	v_mul_lo_u32 v2, s2, v1
	s_delay_alu instid0(VALU_DEP_1) | instskip(NEXT) | instid1(VALU_DEP_1)
	v_mul_hi_u32 v2, v1, v2
	v_dual_mov_b32 v1, v0 :: v_dual_add_nc_u32 v2, v1, v2
.LBB48_3:                               ; =>This Inner Loop Header: Depth=1
	s_delay_alu instid0(VALU_DEP_1) | instskip(SKIP_1) | instid1(VALU_DEP_2)
	v_sub_nc_u32_e32 v3, 0, v1
	v_ashrrev_i32_e32 v4, 31, v1
	v_max_i32_e32 v3, v1, v3
	s_delay_alu instid0(VALU_DEP_2) | instskip(NEXT) | instid1(VALU_DEP_2)
	v_xor_b32_e32 v4, s21, v4
	v_mul_hi_u32 v5, v3, v2
	s_delay_alu instid0(VALU_DEP_1) | instskip(SKIP_1) | instid1(VALU_DEP_2)
	v_mul_lo_u32 v6, v5, s36
	v_add_nc_u32_e32 v7, 1, v5
	v_sub_nc_u32_e32 v3, v3, v6
	s_delay_alu instid0(VALU_DEP_1) | instskip(SKIP_1) | instid1(VALU_DEP_4)
	v_subrev_nc_u32_e32 v6, s36, v3
	v_cmp_le_u32_e32 vcc_lo, s36, v3
	v_cndmask_b32_e32 v5, v5, v7, vcc_lo
	s_delay_alu instid0(VALU_DEP_1) | instskip(NEXT) | instid1(VALU_DEP_1)
	v_dual_cndmask_b32 v3, v3, v6 :: v_dual_add_nc_u32 v6, 1, v5
	v_cmp_le_u32_e32 vcc_lo, s36, v3
	s_delay_alu instid0(VALU_DEP_2) | instskip(NEXT) | instid1(VALU_DEP_1)
	v_cndmask_b32_e32 v3, v5, v6, vcc_lo
	v_xor_b32_e32 v3, v3, v4
	s_delay_alu instid0(VALU_DEP_1) | instskip(NEXT) | instid1(VALU_DEP_1)
	v_sub_nc_u32_e32 v7, v3, v4
	v_ashrrev_i32_e32 v8, 31, v7
	v_mad_u64_u32 v[3:4], null, s39, v7, v[1:2]
	v_mul_lo_u32 v9, v7, s7
	v_mad_u64_u32 v[5:6], null, v7, s6, 0
	s_delay_alu instid0(VALU_DEP_4) | instskip(SKIP_2) | instid1(VALU_DEP_3)
	v_mul_lo_u32 v7, v8, s6
	v_add_nc_u32_e32 v1, s38, v1
	v_ashrrev_i32_e32 v4, 31, v3
	v_add3_u32 v6, v6, v9, v7
	s_delay_alu instid0(VALU_DEP_2) | instskip(SKIP_1) | instid1(VALU_DEP_3)
	v_lshlrev_b64 v[7:8], 2, v[3:4]
	v_lshlrev_b64 v[3:4], 1, v[3:4]
	;; [unrolled: 1-line block ×3, first 2 shown]
	s_delay_alu instid0(VALU_DEP_3) | instskip(NEXT) | instid1(VALU_DEP_4)
	v_add_co_u32 v7, vcc_lo, s31, v7
	v_add_co_ci_u32_e32 v8, vcc_lo, s33, v8, vcc_lo
	global_load_b32 v9, v[7:8], off
	v_add_co_u32 v7, vcc_lo, v7, s4
	v_add_co_ci_u32_e32 v8, vcc_lo, s5, v8, vcc_lo
	v_add_co_u32 v5, vcc_lo, s34, v5
	v_add_co_ci_u32_e32 v6, vcc_lo, s35, v6, vcc_lo
	global_load_b32 v7, v[7:8], off
	v_add_co_u32 v3, vcc_lo, v5, v3
	v_add_co_ci_u32_e32 v4, vcc_lo, v6, v4, vcc_lo
	s_delay_alu instid0(VALU_DEP_2) | instskip(NEXT) | instid1(VALU_DEP_2)
	v_add_co_u32 v5, vcc_lo, v3, s28
	v_add_co_ci_u32_e32 v6, vcc_lo, s29, v4, vcc_lo
	s_clause 0x1
	global_load_u16 v8, v[3:4], off
	global_load_u16 v10, v[5:6], off
	s_waitcnt vmcnt(3)
	v_bfe_u32 v11, v9, 16, 1
	v_cmp_o_f32_e32 vcc_lo, v9, v9
	s_delay_alu instid0(VALU_DEP_2) | instskip(SKIP_2) | instid1(VALU_DEP_2)
	v_add3_u32 v11, v9, v11, 0x7fff
	s_waitcnt vmcnt(2)
	v_bfe_u32 v12, v7, 16, 1
	v_and_b32_e32 v11, 0xffff0000, v11
	s_delay_alu instid0(VALU_DEP_2) | instskip(NEXT) | instid1(VALU_DEP_2)
	v_add3_u32 v12, v7, v12, 0x7fff
	v_cndmask_b32_e32 v9, 0x7fc00000, v11, vcc_lo
	v_cmp_o_f32_e32 vcc_lo, v7, v7
	s_delay_alu instid0(VALU_DEP_3) | instskip(SKIP_3) | instid1(VALU_DEP_2)
	v_and_b32_e32 v11, 0xffff0000, v12
	s_waitcnt vmcnt(1)
	v_lshlrev_b32_e32 v8, 16, v8
	s_waitcnt vmcnt(0)
	v_dual_cndmask_b32 v11, 0x7fc00000, v11 :: v_dual_lshlrev_b32 v10, 16, v10
	s_delay_alu instid0(VALU_DEP_2) | instskip(NEXT) | instid1(VALU_DEP_2)
	v_mul_f32_e32 v7, v9, v8
	v_mul_f32_e32 v8, v11, v8
	s_delay_alu instid0(VALU_DEP_2) | instskip(SKIP_1) | instid1(VALU_DEP_3)
	v_bfe_u32 v12, v7, 16, 1
	v_cmp_o_f32_e64 s2, v7, v7
	v_bfe_u32 v14, v8, 16, 1
	s_delay_alu instid0(VALU_DEP_3) | instskip(SKIP_2) | instid1(VALU_DEP_4)
	v_add3_u32 v12, v7, v12, 0x7fff
	v_mul_f32_e32 v9, v9, v10
	v_mul_f32_e32 v10, v11, v10
	v_add3_u32 v14, v8, v14, 0x7fff
	s_delay_alu instid0(VALU_DEP_4) | instskip(NEXT) | instid1(VALU_DEP_4)
	v_and_b32_e32 v12, 0xffff0000, v12
	v_bfe_u32 v11, v9, 16, 1
	s_delay_alu instid0(VALU_DEP_4) | instskip(SKIP_1) | instid1(VALU_DEP_3)
	v_bfe_u32 v13, v10, 16, 1
	v_cmp_o_f32_e32 vcc_lo, v9, v9
	v_add3_u32 v11, v9, v11, 0x7fff
	s_delay_alu instid0(VALU_DEP_3) | instskip(SKIP_4) | instid1(VALU_DEP_1)
	v_add3_u32 v13, v10, v13, 0x7fff
	v_cndmask_b32_e64 v9, 0x7fc00000, v12, s2
	v_and_b32_e32 v12, 0xffff0000, v14
	v_cmp_o_f32_e64 s2, v10, v10
	v_and_b32_e32 v11, 0xffff0000, v11
	v_cndmask_b32_e32 v11, 0x7fc00000, v11, vcc_lo
	v_cmp_o_f32_e32 vcc_lo, v8, v8
	v_cndmask_b32_e32 v8, 0x7fc00000, v12, vcc_lo
	v_and_b32_e32 v7, 0xffff0000, v13
	v_cmp_le_i32_e32 vcc_lo, s17, v1
	s_delay_alu instid0(VALU_DEP_3) | instskip(NEXT) | instid1(VALU_DEP_3)
	v_add_f32_e32 v8, v11, v8
	v_cndmask_b32_e64 v7, 0x7fc00000, v7, s2
	s_or_b32 s37, vcc_lo, s37
	s_delay_alu instid0(VALU_DEP_2) | instskip(NEXT) | instid1(VALU_DEP_2)
	v_bfe_u32 v10, v8, 16, 1
	v_sub_f32_e32 v7, v9, v7
	v_cmp_o_f32_e64 s2, v8, v8
	s_delay_alu instid0(VALU_DEP_3) | instskip(NEXT) | instid1(VALU_DEP_3)
	v_add3_u32 v10, v8, v10, 0x7fff
	v_bfe_u32 v9, v7, 16, 1
	v_cmp_o_f32_e64 s3, v7, v7
	s_delay_alu instid0(VALU_DEP_3) | instskip(NEXT) | instid1(VALU_DEP_3)
	v_lshrrev_b32_e32 v10, 16, v10
	v_add3_u32 v9, v7, v9, 0x7fff
	s_delay_alu instid0(VALU_DEP_2) | instskip(NEXT) | instid1(VALU_DEP_2)
	v_cndmask_b32_e64 v8, 0x7fc0, v10, s2
	v_lshrrev_b32_e32 v9, 16, v9
	s_delay_alu instid0(VALU_DEP_1)
	v_cndmask_b32_e64 v7, 0x7fc0, v9, s3
	s_clause 0x1
	global_store_b16 v[3:4], v7, off
	global_store_b16 v[5:6], v8, off
	s_and_not1_b32 exec_lo, exec_lo, s37
	s_cbranch_execnz .LBB48_3
.LBB48_4:
	s_or_b32 exec_lo, exec_lo, s30
	s_load_b128 s[4:7], s[0:1], 0x68
	s_waitcnt lgkmcnt(0)
	s_ashr_i32 s3, s7, 31
	s_mov_b32 s2, s7
	s_delay_alu instid0(SALU_CYCLE_1) | instskip(SKIP_1) | instid1(SALU_CYCLE_1)
	s_or_b64 s[30:31], s[26:27], s[2:3]
	s_mov_b32 s30, 0
	s_cmp_lg_u64 s[30:31], 0
	s_cbranch_scc0 .LBB48_14
; %bb.5:
	s_add_u32 s34, s2, s3
	s_mov_b32 s28, s3
	s_mov_b32 s29, s3
	s_addc_u32 s35, s3, s3
	s_delay_alu instid0(SALU_CYCLE_1) | instskip(NEXT) | instid1(SALU_CYCLE_1)
	s_xor_b64 s[34:35], s[34:35], s[28:29]
	v_cvt_f32_u32_e32 v1, s34
	v_cvt_f32_u32_e32 v2, s35
	s_sub_u32 s21, 0, s34
	s_subb_u32 s31, 0, s35
	s_delay_alu instid0(VALU_DEP_1) | instskip(NEXT) | instid1(VALU_DEP_1)
	v_fmamk_f32 v1, v2, 0x4f800000, v1
	v_rcp_f32_e32 v1, v1
	s_waitcnt_depctr 0xfff
	v_mul_f32_e32 v1, 0x5f7ffffc, v1
	s_delay_alu instid0(VALU_DEP_1) | instskip(NEXT) | instid1(VALU_DEP_1)
	v_mul_f32_e32 v2, 0x2f800000, v1
	v_trunc_f32_e32 v2, v2
	s_delay_alu instid0(VALU_DEP_1) | instskip(SKIP_1) | instid1(VALU_DEP_2)
	v_fmamk_f32 v1, v2, 0xcf800000, v1
	v_cvt_u32_f32_e32 v2, v2
	v_cvt_u32_f32_e32 v1, v1
	s_delay_alu instid0(VALU_DEP_2) | instskip(NEXT) | instid1(VALU_DEP_2)
	v_readfirstlane_b32 s7, v2
	v_readfirstlane_b32 s17, v1
	s_delay_alu instid0(VALU_DEP_2) | instskip(NEXT) | instid1(VALU_DEP_1)
	s_mul_i32 s33, s21, s7
	s_mul_hi_u32 s37, s21, s17
	s_mul_i32 s36, s31, s17
	s_add_i32 s33, s37, s33
	s_mul_i32 s38, s21, s17
	s_add_i32 s33, s33, s36
	s_mul_hi_u32 s37, s17, s38
	s_mul_hi_u32 s39, s7, s38
	s_mul_i32 s36, s7, s38
	s_mul_hi_u32 s38, s17, s33
	s_mul_i32 s17, s17, s33
	s_mul_hi_u32 s40, s7, s33
	s_add_u32 s17, s37, s17
	s_addc_u32 s37, 0, s38
	s_add_u32 s17, s17, s36
	s_mul_i32 s33, s7, s33
	s_addc_u32 s17, s37, s39
	s_addc_u32 s36, s40, 0
	s_add_u32 s17, s17, s33
	s_addc_u32 s33, 0, s36
	v_add_co_u32 v1, s17, v1, s17
	s_delay_alu instid0(VALU_DEP_1) | instskip(SKIP_1) | instid1(VALU_DEP_1)
	s_cmp_lg_u32 s17, 0
	s_addc_u32 s7, s7, s33
	v_readfirstlane_b32 s17, v1
	s_mul_i32 s33, s21, s7
	s_delay_alu instid0(VALU_DEP_1)
	s_mul_hi_u32 s36, s21, s17
	s_mul_i32 s31, s31, s17
	s_add_i32 s33, s36, s33
	s_mul_i32 s21, s21, s17
	s_add_i32 s33, s33, s31
	s_mul_hi_u32 s36, s7, s21
	s_mul_i32 s37, s7, s21
	s_mul_hi_u32 s21, s17, s21
	s_mul_hi_u32 s38, s17, s33
	s_mul_i32 s17, s17, s33
	s_mul_hi_u32 s31, s7, s33
	s_add_u32 s17, s21, s17
	s_addc_u32 s21, 0, s38
	s_add_u32 s17, s17, s37
	s_mul_i32 s33, s7, s33
	s_addc_u32 s17, s21, s36
	s_addc_u32 s21, s31, 0
	s_add_u32 s17, s17, s33
	s_addc_u32 s21, 0, s21
	v_add_co_u32 v1, s17, v1, s17
	s_delay_alu instid0(VALU_DEP_1) | instskip(SKIP_2) | instid1(VALU_DEP_1)
	s_cmp_lg_u32 s17, 0
	s_addc_u32 s7, s7, s21
	s_ashr_i32 s36, s27, 31
	v_readfirstlane_b32 s17, v1
	s_add_u32 s38, s26, s36
	s_mov_b32 s37, s36
	s_addc_u32 s39, s27, s36
	s_delay_alu instid0(SALU_CYCLE_1) | instskip(NEXT) | instid1(SALU_CYCLE_1)
	s_xor_b64 s[38:39], s[38:39], s[36:37]
	s_mul_i32 s31, s38, s7
	s_mul_hi_u32 s33, s38, s17
	s_mul_hi_u32 s21, s38, s7
	s_mul_hi_u32 s41, s39, s17
	s_mul_i32 s17, s39, s17
	s_add_u32 s31, s33, s31
	s_addc_u32 s21, 0, s21
	s_mul_hi_u32 s40, s39, s7
	s_add_u32 s17, s31, s17
	s_mul_i32 s7, s39, s7
	s_addc_u32 s17, s21, s41
	s_addc_u32 s21, s40, 0
	s_add_u32 s7, s17, s7
	s_addc_u32 s17, 0, s21
	s_mul_hi_u32 s21, s34, s7
	s_mul_i32 s33, s34, s17
	s_mul_i32 s40, s34, s7
	s_add_i32 s21, s21, s33
	v_sub_co_u32 v1, s33, s38, s40
	s_mul_i32 s31, s35, s7
	s_delay_alu instid0(SALU_CYCLE_1) | instskip(NEXT) | instid1(VALU_DEP_1)
	s_add_i32 s21, s21, s31
	v_sub_co_u32 v2, s38, v1, s34
	s_sub_i32 s31, s39, s21
	s_cmp_lg_u32 s33, 0
	s_subb_u32 s31, s31, s35
	s_cmp_lg_u32 s38, 0
	v_readfirstlane_b32 s38, v2
	s_subb_u32 s31, s31, 0
	s_delay_alu instid0(SALU_CYCLE_1) | instskip(SKIP_1) | instid1(VALU_DEP_1)
	s_cmp_ge_u32 s31, s35
	s_cselect_b32 s40, -1, 0
	s_cmp_ge_u32 s38, s34
	s_cselect_b32 s38, -1, 0
	s_cmp_eq_u32 s31, s35
	s_cselect_b32 s31, s38, s40
	s_add_u32 s38, s7, 1
	s_addc_u32 s40, s17, 0
	s_add_u32 s41, s7, 2
	s_addc_u32 s42, s17, 0
	s_cmp_lg_u32 s31, 0
	s_cselect_b32 s31, s41, s38
	s_cselect_b32 s38, s42, s40
	s_cmp_lg_u32 s33, 0
	v_readfirstlane_b32 s33, v1
	s_subb_u32 s21, s39, s21
	s_delay_alu instid0(SALU_CYCLE_1) | instskip(SKIP_1) | instid1(VALU_DEP_1)
	s_cmp_ge_u32 s21, s35
	s_cselect_b32 s39, -1, 0
	s_cmp_ge_u32 s33, s34
	s_cselect_b32 s33, -1, 0
	s_cmp_eq_u32 s21, s35
	s_cselect_b32 s21, s33, s39
	s_delay_alu instid0(SALU_CYCLE_1) | instskip(SKIP_3) | instid1(SALU_CYCLE_1)
	s_cmp_lg_u32 s21, 0
	s_cselect_b32 s35, s38, s17
	s_cselect_b32 s34, s31, s7
	s_xor_b64 s[28:29], s[36:37], s[28:29]
	s_xor_b64 s[34:35], s[34:35], s[28:29]
	s_delay_alu instid0(SALU_CYCLE_1)
	s_sub_u32 s28, s34, s28
	s_subb_u32 s29, s35, s29
	s_and_not1_b32 vcc_lo, exec_lo, s30
	s_cbranch_vccnz .LBB48_7
.LBB48_6:
	v_cvt_f32_u32_e32 v1, s2
	s_sub_i32 s17, 0, s2
	s_mov_b32 s29, 0
	s_delay_alu instid0(VALU_DEP_1) | instskip(SKIP_2) | instid1(VALU_DEP_1)
	v_rcp_iflag_f32_e32 v1, v1
	s_waitcnt_depctr 0xfff
	v_mul_f32_e32 v1, 0x4f7ffffe, v1
	v_cvt_u32_f32_e32 v1, v1
	s_delay_alu instid0(VALU_DEP_1) | instskip(NEXT) | instid1(VALU_DEP_1)
	v_readfirstlane_b32 s7, v1
	s_mul_i32 s17, s17, s7
	s_delay_alu instid0(SALU_CYCLE_1) | instskip(NEXT) | instid1(SALU_CYCLE_1)
	s_mul_hi_u32 s17, s7, s17
	s_add_i32 s7, s7, s17
	s_delay_alu instid0(SALU_CYCLE_1) | instskip(NEXT) | instid1(SALU_CYCLE_1)
	s_mul_hi_u32 s7, s26, s7
	s_mul_i32 s17, s7, s2
	s_add_i32 s21, s7, 1
	s_sub_i32 s17, s26, s17
	s_delay_alu instid0(SALU_CYCLE_1)
	s_sub_i32 s28, s17, s2
	s_cmp_ge_u32 s17, s2
	s_cselect_b32 s7, s21, s7
	s_cselect_b32 s17, s28, s17
	s_add_i32 s21, s7, 1
	s_cmp_ge_u32 s17, s2
	s_cselect_b32 s28, s21, s7
.LBB48_7:
	s_delay_alu instid0(SALU_CYCLE_1)
	s_mul_i32 s3, s28, s3
	s_mul_hi_u32 s7, s28, s2
	s_mul_hi_u32 s34, s28, s4
	s_add_i32 s3, s7, s3
	s_mul_i32 s7, s29, s2
	s_mul_i32 s2, s28, s2
	s_add_i32 s3, s3, s7
	s_sub_u32 s17, s26, s2
	s_subb_u32 s33, s27, s3
	s_mul_i32 s35, s29, s4
	s_mul_i32 s30, s28, s4
	s_mul_hi_u32 s29, s17, s5
	s_mul_i32 s33, s33, s5
	s_mul_i32 s26, s17, s5
	s_mov_b32 s36, exec_lo
	v_cmpx_gt_i32_e64 s20, v0
	s_cbranch_execz .LBB48_10
; %bb.8:
	s_mul_i32 s3, s16, s9
	s_mul_hi_u32 s7, s16, s8
	s_mul_i32 s2, s16, s8
	s_add_i32 s3, s7, s3
	s_ashr_i32 s21, s20, 31
	s_lshl_b64 s[2:3], s[2:3], 1
	s_load_b32 s39, s[0:1], 0x8c
	s_add_u32 s37, s12, s2
	s_addc_u32 s38, s13, s3
	s_ashr_i32 s7, s4, 31
	s_ashr_i32 s8, s5, 31
	s_mul_i32 s7, s28, s7
	s_mul_i32 s8, s17, s8
	s_add_i32 s7, s34, s7
	s_add_i32 s8, s29, s8
	;; [unrolled: 1-line block ×4, first 2 shown]
	s_lshl_b64 s[8:9], s[30:31], 1
	s_lshl_b64 s[40:41], s[26:27], 1
	v_dual_mov_b32 v4, v0 :: v_dual_lshlrev_b32 v1, 2, v0
	s_add_u32 s44, s8, s40
	s_addc_u32 s45, s9, s41
	s_add_u32 s8, s44, s18
	s_addc_u32 s9, s45, s19
	s_ashr_i32 s7, s6, 31
	v_lshlrev_b32_e32 v3, 1, v0
	s_lshl_b64 s[40:41], s[6:7], 1
	s_delay_alu instid0(SALU_CYCLE_1)
	s_add_u32 s7, s8, s40
	s_addc_u32 s27, s9, s41
	s_lshl_b64 s[8:9], s[24:25], 2
	s_waitcnt lgkmcnt(0)
	s_and_b32 s31, s39, 0xffff
	s_add_u32 s8, s22, s8
	s_addc_u32 s9, s23, s9
	v_add_co_u32 v1, s8, s8, v1
	s_lshl_b64 s[42:43], s[20:21], 1
	v_add_co_ci_u32_e64 v2, null, s9, 0, s8
	s_lshl_b32 s22, s31, 2
	s_lshl_b64 s[8:9], s[20:21], 2
	s_add_u32 s2, s2, s42
	s_addc_u32 s3, s3, s43
	s_add_u32 s12, s12, s2
	s_addc_u32 s13, s13, s3
	s_lshl_b32 s21, s31, 1
	s_add_u32 s2, s44, s42
	s_addc_u32 s3, s45, s43
	s_add_u32 s2, s2, s40
	s_addc_u32 s3, s3, s41
	s_add_u32 s23, s18, s2
	s_mov_b32 s24, 0
	s_addc_u32 s25, s19, s3
.LBB48_9:                               ; =>This Inner Loop Header: Depth=1
	global_load_b32 v13, v[1:2], off
	v_add_co_u32 v5, vcc_lo, v1, s8
	v_add_co_u32 v7, s2, s37, v3
	v_add_co_ci_u32_e32 v6, vcc_lo, s9, v2, vcc_lo
	v_add_co_ci_u32_e64 v8, null, s38, 0, s2
	v_add_co_u32 v9, s2, s12, v3
	s_delay_alu instid0(VALU_DEP_1)
	v_add_co_ci_u32_e64 v10, null, s13, 0, s2
	global_load_b32 v14, v[5:6], off
	global_load_u16 v15, v[7:8], off
	global_load_u16 v16, v[9:10], off
	v_add_co_u32 v1, vcc_lo, v1, s22
	v_add_co_ci_u32_e32 v2, vcc_lo, 0, v2, vcc_lo
	v_add_co_u32 v5, s2, s7, v3
	s_delay_alu instid0(VALU_DEP_1) | instskip(SKIP_1) | instid1(VALU_DEP_1)
	v_add_co_ci_u32_e64 v6, null, s27, 0, s2
	v_add_co_u32 v11, s2, s23, v3
	v_add_co_ci_u32_e64 v12, null, s25, 0, s2
	s_add_u32 s12, s12, s21
	s_addc_u32 s13, s13, 0
	s_add_u32 s37, s37, s21
	s_addc_u32 s38, s38, 0
	;; [unrolled: 2-line block ×4, first 2 shown]
	s_waitcnt vmcnt(3)
	v_bfe_u32 v17, v13, 16, 1
	v_cmp_o_f32_e32 vcc_lo, v13, v13
	s_delay_alu instid0(VALU_DEP_2) | instskip(NEXT) | instid1(VALU_DEP_1)
	v_add3_u32 v17, v13, v17, 0x7fff
	v_and_b32_e32 v17, 0xffff0000, v17
	s_waitcnt vmcnt(2)
	v_bfe_u32 v18, v14, 16, 1
	s_waitcnt vmcnt(0)
	s_delay_alu instid0(VALU_DEP_2) | instskip(SKIP_1) | instid1(VALU_DEP_3)
	v_dual_cndmask_b32 v13, 0x7fc00000, v17 :: v_dual_lshlrev_b32 v16, 16, v16
	v_cmp_o_f32_e32 vcc_lo, v14, v14
	v_add3_u32 v18, v14, v18, 0x7fff
	s_delay_alu instid0(VALU_DEP_1) | instskip(NEXT) | instid1(VALU_DEP_1)
	v_and_b32_e32 v17, 0xffff0000, v18
	v_cndmask_b32_e32 v17, 0x7fc00000, v17, vcc_lo
	v_lshlrev_b32_e32 v15, 16, v15
	s_delay_alu instid0(VALU_DEP_1) | instskip(SKIP_1) | instid1(VALU_DEP_4)
	v_mul_f32_e32 v14, v13, v15
	v_mul_f32_e32 v13, v13, v16
	;; [unrolled: 1-line block ×3, first 2 shown]
	v_dual_mul_f32 v15, v17, v15 :: v_dual_add_nc_u32 v4, s31, v4
	s_delay_alu instid0(VALU_DEP_4) | instskip(NEXT) | instid1(VALU_DEP_4)
	v_bfe_u32 v18, v14, 16, 1
	v_bfe_u32 v19, v13, 16, 1
	v_cmp_o_f32_e64 s2, v14, v14
	v_cmp_o_f32_e32 vcc_lo, v13, v13
	v_bfe_u32 v20, v15, 16, 1
	v_add3_u32 v17, v14, v18, 0x7fff
	v_bfe_u32 v18, v16, 16, 1
	v_add3_u32 v19, v13, v19, 0x7fff
	s_delay_alu instid0(VALU_DEP_4) | instskip(NEXT) | instid1(VALU_DEP_4)
	v_add3_u32 v20, v15, v20, 0x7fff
	v_and_b32_e32 v17, 0xffff0000, v17
	s_delay_alu instid0(VALU_DEP_4) | instskip(NEXT) | instid1(VALU_DEP_4)
	v_add3_u32 v18, v16, v18, 0x7fff
	v_and_b32_e32 v19, 0xffff0000, v19
	s_delay_alu instid0(VALU_DEP_3) | instskip(NEXT) | instid1(VALU_DEP_3)
	v_cndmask_b32_e64 v14, 0x7fc00000, v17, s2
	v_and_b32_e32 v13, 0xffff0000, v18
	v_cmp_o_f32_e64 s2, v16, v16
	v_and_b32_e32 v17, 0xffff0000, v20
	v_cndmask_b32_e32 v18, 0x7fc00000, v19, vcc_lo
	v_cmp_o_f32_e32 vcc_lo, v15, v15
	s_delay_alu instid0(VALU_DEP_4) | instskip(NEXT) | instid1(VALU_DEP_4)
	v_cndmask_b32_e64 v13, 0x7fc00000, v13, s2
	v_cndmask_b32_e32 v15, 0x7fc00000, v17, vcc_lo
	v_cmp_le_i32_e32 vcc_lo, s20, v4
	s_delay_alu instid0(VALU_DEP_3) | instskip(NEXT) | instid1(VALU_DEP_3)
	v_sub_f32_e32 v13, v14, v13
	v_add_f32_e32 v14, v18, v15
	s_or_b32 s24, vcc_lo, s24
	s_delay_alu instid0(VALU_DEP_2) | instskip(SKIP_1) | instid1(VALU_DEP_3)
	v_bfe_u32 v15, v13, 16, 1
	v_cmp_o_f32_e64 s3, v13, v13
	v_bfe_u32 v16, v14, 16, 1
	v_cmp_o_f32_e64 s2, v14, v14
	s_delay_alu instid0(VALU_DEP_4) | instskip(NEXT) | instid1(VALU_DEP_3)
	v_add3_u32 v15, v13, v15, 0x7fff
	v_add3_u32 v16, v14, v16, 0x7fff
	s_delay_alu instid0(VALU_DEP_2) | instskip(NEXT) | instid1(VALU_DEP_2)
	v_lshrrev_b32_e32 v15, 16, v15
	v_lshrrev_b32_e32 v16, 16, v16
	s_delay_alu instid0(VALU_DEP_2) | instskip(NEXT) | instid1(VALU_DEP_2)
	v_cndmask_b32_e64 v13, 0x7fc0, v15, s3
	v_cndmask_b32_e64 v14, 0x7fc0, v16, s2
	global_store_b16 v[7:8], v13, off
	global_store_b16 v[9:10], v14, off
	global_store_b16 v[5:6], v13, off
	global_store_b16 v[11:12], v14, off
	s_and_not1_b32 exec_lo, exec_lo, s24
	s_cbranch_execnz .LBB48_9
.LBB48_10:
	s_or_b32 exec_lo, exec_lo, s36
	s_delay_alu instid0(SALU_CYCLE_1)
	s_mov_b32 s2, exec_lo
	v_cmpx_gt_i32_e64 s6, v0
	s_cbranch_execz .LBB48_13
; %bb.11:
	s_mul_i32 s3, s16, s11
	s_mul_hi_u32 s7, s16, s10
	s_mul_i32 s2, s16, s10
	s_add_i32 s3, s7, s3
	s_load_b32 s7, s[0:1], 0x8c
	s_lshl_b64 s[2:3], s[2:3], 1
	s_delay_alu instid0(SALU_CYCLE_1) | instskip(SKIP_2) | instid1(SALU_CYCLE_1)
	s_add_u32 s2, s14, s2
	s_addc_u32 s3, s15, s3
	s_ashr_i32 s4, s4, 31
	s_mul_i32 s4, s28, s4
	s_delay_alu instid0(SALU_CYCLE_1) | instskip(NEXT) | instid1(SALU_CYCLE_1)
	s_add_i32 s0, s34, s4
	s_add_i32 s31, s0, s35
	s_delay_alu instid0(SALU_CYCLE_1) | instskip(NEXT) | instid1(SALU_CYCLE_1)
	s_lshl_b64 s[0:1], s[30:31], 1
	s_add_u32 s0, s18, s0
	s_addc_u32 s8, s19, s1
	s_ashr_i32 s1, s5, 31
	s_delay_alu instid0(SALU_CYCLE_1) | instskip(NEXT) | instid1(SALU_CYCLE_1)
	s_mul_i32 s17, s17, s1
	s_add_i32 s1, s29, s17
	s_delay_alu instid0(SALU_CYCLE_1) | instskip(NEXT) | instid1(SALU_CYCLE_1)
	s_add_i32 s27, s1, s33
	s_lshl_b64 s[4:5], s[26:27], 1
	s_delay_alu instid0(SALU_CYCLE_1)
	s_add_u32 s1, s0, s4
	s_addc_u32 s4, s8, s5
	s_waitcnt lgkmcnt(0)
	s_and_b32 s5, s7, 0xffff
	s_mov_b32 s7, 0
	.p2align	6
.LBB48_12:                              ; =>This Inner Loop Header: Depth=1
	v_ashrrev_i32_e32 v1, 31, v0
	s_delay_alu instid0(VALU_DEP_1) | instskip(SKIP_1) | instid1(VALU_DEP_2)
	v_lshlrev_b64 v[1:2], 1, v[0:1]
	v_add_nc_u32_e32 v0, s5, v0
	v_add_co_u32 v3, vcc_lo, s2, v1
	s_delay_alu instid0(VALU_DEP_3) | instskip(NEXT) | instid1(VALU_DEP_3)
	v_add_co_ci_u32_e32 v4, vcc_lo, s3, v2, vcc_lo
	v_cmp_le_i32_e32 vcc_lo, s6, v0
	v_add_co_u32 v1, s0, s1, v1
	global_load_u16 v3, v[3:4], off
	v_add_co_ci_u32_e64 v2, s0, s4, v2, s0
	s_or_b32 s7, vcc_lo, s7
	s_waitcnt vmcnt(0)
	global_store_b16 v[1:2], v3, off
	s_and_not1_b32 exec_lo, exec_lo, s7
	s_cbranch_execnz .LBB48_12
.LBB48_13:
	s_nop 0
	s_sendmsg sendmsg(MSG_DEALLOC_VGPRS)
	s_endpgm
.LBB48_14:
                                        ; implicit-def: $sgpr28_sgpr29
	s_branch .LBB48_6
	.section	.rodata,"a",@progbits
	.p2align	6, 0x0
	.amdhsa_kernel _ZN4vllm38concat_and_cache_mla_rope_fused_kernelIN3c108BFloat16EfLb1E14__hip_bfloat16S3_LNS_18Fp8KVCacheDataTypeE0EEEvPKlPT_S8_PKS7_PKT0_illlliPT3_S6_iiiiPKf
		.amdhsa_group_segment_fixed_size 0
		.amdhsa_private_segment_fixed_size 0
		.amdhsa_kernarg_size 384
		.amdhsa_user_sgpr_count 15
		.amdhsa_user_sgpr_dispatch_ptr 0
		.amdhsa_user_sgpr_queue_ptr 0
		.amdhsa_user_sgpr_kernarg_segment_ptr 1
		.amdhsa_user_sgpr_dispatch_id 0
		.amdhsa_user_sgpr_private_segment_size 0
		.amdhsa_wavefront_size32 1
		.amdhsa_uses_dynamic_stack 0
		.amdhsa_enable_private_segment 0
		.amdhsa_system_sgpr_workgroup_id_x 1
		.amdhsa_system_sgpr_workgroup_id_y 0
		.amdhsa_system_sgpr_workgroup_id_z 0
		.amdhsa_system_sgpr_workgroup_info 0
		.amdhsa_system_vgpr_workitem_id 0
		.amdhsa_next_free_vgpr 21
		.amdhsa_next_free_sgpr 46
		.amdhsa_reserve_vcc 1
		.amdhsa_float_round_mode_32 0
		.amdhsa_float_round_mode_16_64 0
		.amdhsa_float_denorm_mode_32 3
		.amdhsa_float_denorm_mode_16_64 3
		.amdhsa_dx10_clamp 1
		.amdhsa_ieee_mode 1
		.amdhsa_fp16_overflow 0
		.amdhsa_workgroup_processor_mode 1
		.amdhsa_memory_ordered 1
		.amdhsa_forward_progress 0
		.amdhsa_shared_vgpr_count 0
		.amdhsa_exception_fp_ieee_invalid_op 0
		.amdhsa_exception_fp_denorm_src 0
		.amdhsa_exception_fp_ieee_div_zero 0
		.amdhsa_exception_fp_ieee_overflow 0
		.amdhsa_exception_fp_ieee_underflow 0
		.amdhsa_exception_fp_ieee_inexact 0
		.amdhsa_exception_int_div_zero 0
	.end_amdhsa_kernel
	.section	.text._ZN4vllm38concat_and_cache_mla_rope_fused_kernelIN3c108BFloat16EfLb1E14__hip_bfloat16S3_LNS_18Fp8KVCacheDataTypeE0EEEvPKlPT_S8_PKS7_PKT0_illlliPT3_S6_iiiiPKf,"axG",@progbits,_ZN4vllm38concat_and_cache_mla_rope_fused_kernelIN3c108BFloat16EfLb1E14__hip_bfloat16S3_LNS_18Fp8KVCacheDataTypeE0EEEvPKlPT_S8_PKS7_PKT0_illlliPT3_S6_iiiiPKf,comdat
.Lfunc_end48:
	.size	_ZN4vllm38concat_and_cache_mla_rope_fused_kernelIN3c108BFloat16EfLb1E14__hip_bfloat16S3_LNS_18Fp8KVCacheDataTypeE0EEEvPKlPT_S8_PKS7_PKT0_illlliPT3_S6_iiiiPKf, .Lfunc_end48-_ZN4vllm38concat_and_cache_mla_rope_fused_kernelIN3c108BFloat16EfLb1E14__hip_bfloat16S3_LNS_18Fp8KVCacheDataTypeE0EEEvPKlPT_S8_PKS7_PKT0_illlliPT3_S6_iiiiPKf
                                        ; -- End function
	.section	.AMDGPU.csdata,"",@progbits
; Kernel info:
; codeLenInByte = 3152
; NumSgprs: 48
; NumVgprs: 21
; ScratchSize: 0
; MemoryBound: 0
; FloatMode: 240
; IeeeMode: 1
; LDSByteSize: 0 bytes/workgroup (compile time only)
; SGPRBlocks: 5
; VGPRBlocks: 2
; NumSGPRsForWavesPerEU: 48
; NumVGPRsForWavesPerEU: 21
; Occupancy: 16
; WaveLimiterHint : 1
; COMPUTE_PGM_RSRC2:SCRATCH_EN: 0
; COMPUTE_PGM_RSRC2:USER_SGPR: 15
; COMPUTE_PGM_RSRC2:TRAP_HANDLER: 0
; COMPUTE_PGM_RSRC2:TGID_X_EN: 1
; COMPUTE_PGM_RSRC2:TGID_Y_EN: 0
; COMPUTE_PGM_RSRC2:TGID_Z_EN: 0
; COMPUTE_PGM_RSRC2:TIDIG_COMP_CNT: 0
	.section	.text._ZN4vllm38concat_and_cache_mla_rope_fused_kernelIN3c108BFloat16EfLb0E14__hip_bfloat16S3_LNS_18Fp8KVCacheDataTypeE0EEEvPKlPT_S8_PKS7_PKT0_illlliPT3_S6_iiiiPKf,"axG",@progbits,_ZN4vllm38concat_and_cache_mla_rope_fused_kernelIN3c108BFloat16EfLb0E14__hip_bfloat16S3_LNS_18Fp8KVCacheDataTypeE0EEEvPKlPT_S8_PKS7_PKT0_illlliPT3_S6_iiiiPKf,comdat
	.protected	_ZN4vllm38concat_and_cache_mla_rope_fused_kernelIN3c108BFloat16EfLb0E14__hip_bfloat16S3_LNS_18Fp8KVCacheDataTypeE0EEEvPKlPT_S8_PKS7_PKT0_illlliPT3_S6_iiiiPKf ; -- Begin function _ZN4vllm38concat_and_cache_mla_rope_fused_kernelIN3c108BFloat16EfLb0E14__hip_bfloat16S3_LNS_18Fp8KVCacheDataTypeE0EEEvPKlPT_S8_PKS7_PKT0_illlliPT3_S6_iiiiPKf
	.globl	_ZN4vllm38concat_and_cache_mla_rope_fused_kernelIN3c108BFloat16EfLb0E14__hip_bfloat16S3_LNS_18Fp8KVCacheDataTypeE0EEEvPKlPT_S8_PKS7_PKT0_illlliPT3_S6_iiiiPKf
	.p2align	8
	.type	_ZN4vllm38concat_and_cache_mla_rope_fused_kernelIN3c108BFloat16EfLb0E14__hip_bfloat16S3_LNS_18Fp8KVCacheDataTypeE0EEEvPKlPT_S8_PKS7_PKT0_illlliPT3_S6_iiiiPKf,@function
_ZN4vllm38concat_and_cache_mla_rope_fused_kernelIN3c108BFloat16EfLb0E14__hip_bfloat16S3_LNS_18Fp8KVCacheDataTypeE0EEEvPKlPT_S8_PKS7_PKT0_illlliPT3_S6_iiiiPKf: ; @_ZN4vllm38concat_and_cache_mla_rope_fused_kernelIN3c108BFloat16EfLb0E14__hip_bfloat16S3_LNS_18Fp8KVCacheDataTypeE0EEEvPKlPT_S8_PKS7_PKT0_illlliPT3_S6_iiiiPKf
; %bb.0:
	s_load_b64 s[4:5], s[0:1], 0x60
	s_mov_b32 s20, s15
	s_mov_b32 s21, 0
	s_delay_alu instid0(SALU_CYCLE_1)
	s_lshl_b64 s[2:3], s[20:21], 3
	s_waitcnt lgkmcnt(0)
	s_add_u32 s4, s4, s2
	s_addc_u32 s5, s5, s3
	s_load_b64 s[28:29], s[4:5], 0x0
	s_waitcnt lgkmcnt(0)
	v_cmp_lt_i64_e64 s4, s[28:29], 0
	s_delay_alu instid0(VALU_DEP_1)
	s_and_b32 vcc_lo, exec_lo, s4
	s_cbranch_vccnz .LBB49_13
; %bb.1:
	s_clause 0x3
	s_load_b32 s18, s[0:1], 0x28
	s_load_b64 s[4:5], s[0:1], 0x0
	s_load_b128 s[12:15], s[0:1], 0x10
	s_load_b32 s19, s[0:1], 0x50
	s_waitcnt lgkmcnt(0)
	s_ashr_i32 s21, s18, 31
	s_add_u32 s2, s4, s2
	s_addc_u32 s3, s5, s3
	s_load_b64 s[16:17], s[2:3], 0x0
	s_clause 0x2
	s_load_b64 s[26:27], s[0:1], 0x20
	s_load_b64 s[22:23], s[0:1], 0x58
	s_load_b256 s[4:11], s[0:1], 0x30
	s_lshr_b32 s2, s18, 31
	s_delay_alu instid0(SALU_CYCLE_1) | instskip(NEXT) | instid1(SALU_CYCLE_1)
	s_add_i32 s2, s18, s2
	s_ashr_i32 s24, s2, 1
	s_delay_alu instid0(SALU_CYCLE_1)
	s_mul_i32 s3, s24, s19
	s_waitcnt lgkmcnt(0)
	s_mul_i32 s2, s16, s21
	s_mul_hi_u32 s19, s16, s18
	s_mul_i32 s17, s17, s18
	s_add_i32 s2, s19, s2
	s_mul_i32 s30, s16, s18
	s_add_i32 s31, s2, s17
	s_mov_b32 s16, exec_lo
	v_cmpx_gt_i32_e64 s3, v0
	s_cbranch_execz .LBB49_4
; %bb.2:
	s_load_b64 s[34:35], s[0:1], 0x8
	s_lshl_b64 s[18:19], s[30:31], 2
	s_mul_i32 s2, s20, s5
	s_mul_hi_u32 s5, s20, s4
	s_add_u32 s17, s26, s18
	s_mul_i32 s4, s20, s4
	s_addc_u32 s18, s27, s19
	s_add_i32 s5, s5, s2
	s_load_b32 s2, s[0:1], 0x8c
	s_lshl_b64 s[4:5], s[4:5], 1
	s_ashr_i32 s25, s24, 31
	s_waitcnt lgkmcnt(0)
	s_add_u32 s19, s34, s4
	s_addc_u32 s21, s35, s5
	s_abs_i32 s33, s24
	s_mov_b32 s34, 0
	v_cvt_f32_u32_e32 v1, s33
	s_sub_i32 s4, 0, s33
	s_sub_i32 s36, 0, s24
	s_and_b32 s35, s2, 0xffff
	s_delay_alu instid0(VALU_DEP_1)
	v_rcp_iflag_f32_e32 v1, v1
	s_lshl_b32 s2, s24, 1
	s_lshl_b32 s38, s35, 1
	s_sub_i32 s37, 0, s2
	s_waitcnt_depctr 0xfff
	v_mul_f32_e32 v1, 0x4f7ffffe, v1
	s_delay_alu instid0(VALU_DEP_1) | instskip(NEXT) | instid1(VALU_DEP_1)
	v_cvt_u32_f32_e32 v2, v1
	v_mul_lo_u32 v1, s4, v2
	s_lshl_b64 s[4:5], s[24:25], 2
	s_delay_alu instid0(VALU_DEP_1) | instskip(SKIP_1) | instid1(VALU_DEP_2)
	v_mul_hi_u32 v3, v2, v1
	v_lshlrev_b32_e32 v1, 1, v0
	v_dual_mov_b32 v2, v0 :: v_dual_add_nc_u32 v3, v2, v3
.LBB49_3:                               ; =>This Inner Loop Header: Depth=1
	s_delay_alu instid0(VALU_DEP_1) | instskip(SKIP_1) | instid1(VALU_DEP_2)
	v_sub_nc_u32_e32 v4, 0, v2
	v_ashrrev_i32_e32 v5, 31, v2
	v_max_i32_e32 v4, v2, v4
	s_delay_alu instid0(VALU_DEP_2) | instskip(NEXT) | instid1(VALU_DEP_2)
	v_xor_b32_e32 v5, s25, v5
	v_mul_hi_u32 v6, v4, v3
	s_delay_alu instid0(VALU_DEP_1) | instskip(SKIP_1) | instid1(VALU_DEP_2)
	v_mul_lo_u32 v7, v6, s33
	v_add_nc_u32_e32 v8, 1, v6
	v_sub_nc_u32_e32 v4, v4, v7
	s_delay_alu instid0(VALU_DEP_1) | instskip(SKIP_1) | instid1(VALU_DEP_4)
	v_subrev_nc_u32_e32 v7, s33, v4
	v_cmp_le_u32_e32 vcc_lo, s33, v4
	v_cndmask_b32_e32 v6, v6, v8, vcc_lo
	s_delay_alu instid0(VALU_DEP_1) | instskip(NEXT) | instid1(VALU_DEP_1)
	v_dual_cndmask_b32 v4, v4, v7 :: v_dual_add_nc_u32 v7, 1, v6
	v_cmp_le_u32_e32 vcc_lo, s33, v4
	s_delay_alu instid0(VALU_DEP_2) | instskip(NEXT) | instid1(VALU_DEP_1)
	v_cndmask_b32_e32 v4, v6, v7, vcc_lo
	v_xor_b32_e32 v4, v4, v5
	s_delay_alu instid0(VALU_DEP_1) | instskip(NEXT) | instid1(VALU_DEP_1)
	v_sub_nc_u32_e32 v10, v4, v5
	v_mad_u64_u32 v[4:5], null, s36, v10, v[2:3]
	v_ashrrev_i32_e32 v5, 31, v10
	v_mul_lo_u32 v11, v10, s7
	v_mad_u64_u32 v[6:7], null, v10, s6, 0
	v_mad_u64_u32 v[8:9], null, s37, v10, v[1:2]
	s_delay_alu instid0(VALU_DEP_4) | instskip(SKIP_3) | instid1(VALU_DEP_3)
	v_mul_lo_u32 v10, v5, s6
	v_ashrrev_i32_e32 v5, 31, v4
	v_add_nc_u32_e32 v2, s35, v2
	v_add_nc_u32_e32 v1, s38, v1
	v_lshlrev_b64 v[4:5], 2, v[4:5]
	v_ashrrev_i32_e32 v9, 31, v8
	v_add3_u32 v7, v7, v11, v10
	s_delay_alu instid0(VALU_DEP_3) | instskip(NEXT) | instid1(VALU_DEP_4)
	v_add_co_u32 v4, vcc_lo, s17, v4
	v_add_co_ci_u32_e32 v5, vcc_lo, s18, v5, vcc_lo
	s_delay_alu instid0(VALU_DEP_3)
	v_lshlrev_b64 v[6:7], 1, v[6:7]
	v_lshlrev_b64 v[8:9], 1, v[8:9]
	global_load_b32 v10, v[4:5], off
	v_add_co_u32 v4, vcc_lo, v4, s4
	v_add_co_ci_u32_e32 v5, vcc_lo, s5, v5, vcc_lo
	v_add_co_u32 v6, vcc_lo, s19, v6
	v_add_co_ci_u32_e32 v7, vcc_lo, s21, v7, vcc_lo
	global_load_b32 v11, v[4:5], off
	v_add_co_u32 v4, vcc_lo, v6, v8
	v_add_co_ci_u32_e32 v5, vcc_lo, v7, v9, vcc_lo
	global_load_b32 v6, v[4:5], off
	s_waitcnt vmcnt(2)
	v_bfe_u32 v7, v10, 16, 1
	v_cmp_o_f32_e32 vcc_lo, v10, v10
	s_delay_alu instid0(VALU_DEP_2) | instskip(SKIP_2) | instid1(VALU_DEP_2)
	v_add3_u32 v7, v10, v7, 0x7fff
	s_waitcnt vmcnt(1)
	v_bfe_u32 v8, v11, 16, 1
	v_and_b32_e32 v7, 0xffff0000, v7
	s_delay_alu instid0(VALU_DEP_2) | instskip(NEXT) | instid1(VALU_DEP_2)
	v_add3_u32 v8, v11, v8, 0x7fff
	v_cndmask_b32_e32 v7, 0x7fc00000, v7, vcc_lo
	v_cmp_o_f32_e32 vcc_lo, v11, v11
	s_waitcnt vmcnt(0)
	v_lshlrev_b32_e32 v9, 16, v6
	v_and_b32_e32 v6, 0xffff0000, v6
	v_and_b32_e32 v8, 0xffff0000, v8
	s_delay_alu instid0(VALU_DEP_3) | instskip(NEXT) | instid1(VALU_DEP_2)
	v_mul_f32_e32 v10, v7, v9
	v_dual_mul_f32 v7, v7, v6 :: v_dual_cndmask_b32 v8, 0x7fc00000, v8
	s_delay_alu instid0(VALU_DEP_2) | instskip(NEXT) | instid1(VALU_DEP_2)
	v_bfe_u32 v11, v10, 16, 1
	v_cmp_o_f32_e64 s2, v7, v7
	s_delay_alu instid0(VALU_DEP_3) | instskip(SKIP_3) | instid1(VALU_DEP_2)
	v_mul_f32_e32 v6, v8, v6
	v_mul_f32_e32 v8, v8, v9
	v_bfe_u32 v9, v7, 16, 1
	v_add3_u32 v11, v10, v11, 0x7fff
	v_add3_u32 v9, v7, v9, 0x7fff
	s_delay_alu instid0(VALU_DEP_2) | instskip(SKIP_1) | instid1(VALU_DEP_3)
	v_and_b32_e32 v11, 0xffff0000, v11
	v_cmp_o_f32_e32 vcc_lo, v10, v10
	v_and_b32_e32 v9, 0xffff0000, v9
	v_bfe_u32 v12, v6, 16, 1
	s_delay_alu instid0(VALU_DEP_4) | instskip(NEXT) | instid1(VALU_DEP_3)
	v_cndmask_b32_e32 v11, 0x7fc00000, v11, vcc_lo
	v_cndmask_b32_e64 v9, 0x7fc00000, v9, s2
	s_delay_alu instid0(VALU_DEP_3) | instskip(SKIP_1) | instid1(VALU_DEP_2)
	v_add3_u32 v12, v6, v12, 0x7fff
	v_cmp_o_f32_e64 s2, v6, v6
	v_and_b32_e32 v7, 0xffff0000, v12
	v_bfe_u32 v13, v8, 16, 1
	v_cmp_o_f32_e32 vcc_lo, v8, v8
	s_delay_alu instid0(VALU_DEP_3) | instskip(NEXT) | instid1(VALU_DEP_3)
	v_cndmask_b32_e64 v6, 0x7fc00000, v7, s2
	v_add3_u32 v13, v8, v13, 0x7fff
	s_delay_alu instid0(VALU_DEP_1) | instskip(NEXT) | instid1(VALU_DEP_1)
	v_and_b32_e32 v10, 0xffff0000, v13
	v_cndmask_b32_e32 v7, 0x7fc00000, v10, vcc_lo
	s_delay_alu instid0(VALU_DEP_1) | instskip(NEXT) | instid1(VALU_DEP_1)
	v_add_f32_e32 v7, v9, v7
	v_bfe_u32 v9, v7, 16, 1
	v_cmp_o_f32_e32 vcc_lo, v7, v7
	s_delay_alu instid0(VALU_DEP_2) | instskip(NEXT) | instid1(VALU_DEP_1)
	v_add3_u32 v9, v7, v9, 0x7fff
	v_lshrrev_b32_e32 v9, 16, v9
	s_delay_alu instid0(VALU_DEP_1) | instskip(NEXT) | instid1(VALU_DEP_1)
	v_dual_sub_f32 v6, v11, v6 :: v_dual_cndmask_b32 v7, 0x7fc0, v9
	v_bfe_u32 v8, v6, 16, 1
	v_cmp_o_f32_e64 s2, v6, v6
	v_cmp_le_i32_e32 vcc_lo, s3, v2
	s_delay_alu instid0(VALU_DEP_3) | instskip(SKIP_1) | instid1(VALU_DEP_1)
	v_add3_u32 v8, v6, v8, 0x7fff
	s_or_b32 s34, vcc_lo, s34
	v_lshrrev_b32_e32 v8, 16, v8
	s_delay_alu instid0(VALU_DEP_1) | instskip(NEXT) | instid1(VALU_DEP_1)
	v_cndmask_b32_e64 v6, 0x7fc0, v8, s2
	v_perm_b32 v6, v7, v6, 0x5040100
	global_store_b32 v[4:5], v6, off
	s_and_not1_b32 exec_lo, exec_lo, s34
	s_cbranch_execnz .LBB49_3
.LBB49_4:
	s_or_b32 exec_lo, exec_lo, s16
	s_load_b128 s[16:19], s[0:1], 0x68
	s_waitcnt lgkmcnt(0)
	s_ashr_i32 s3, s19, 31
	s_mov_b32 s2, s19
	s_delay_alu instid0(SALU_CYCLE_1) | instskip(SKIP_1) | instid1(SALU_CYCLE_1)
	s_or_b64 s[4:5], s[28:29], s[2:3]
	s_mov_b32 s4, 0
	s_cmp_lg_u64 s[4:5], 0
	s_cbranch_scc0 .LBB49_14
; %bb.5:
	s_add_u32 s34, s2, s3
	s_mov_b32 s6, s3
	s_mov_b32 s7, s3
	s_addc_u32 s35, s3, s3
	s_delay_alu instid0(SALU_CYCLE_1) | instskip(NEXT) | instid1(SALU_CYCLE_1)
	s_xor_b64 s[34:35], s[34:35], s[6:7]
	v_cvt_f32_u32_e32 v1, s34
	v_cvt_f32_u32_e32 v2, s35
	s_sub_u32 s21, 0, s34
	s_subb_u32 s25, 0, s35
	s_delay_alu instid0(VALU_DEP_1) | instskip(NEXT) | instid1(VALU_DEP_1)
	v_fmamk_f32 v1, v2, 0x4f800000, v1
	v_rcp_f32_e32 v1, v1
	s_waitcnt_depctr 0xfff
	v_mul_f32_e32 v1, 0x5f7ffffc, v1
	s_delay_alu instid0(VALU_DEP_1) | instskip(NEXT) | instid1(VALU_DEP_1)
	v_mul_f32_e32 v2, 0x2f800000, v1
	v_trunc_f32_e32 v2, v2
	s_delay_alu instid0(VALU_DEP_1) | instskip(SKIP_1) | instid1(VALU_DEP_2)
	v_fmamk_f32 v1, v2, 0xcf800000, v1
	v_cvt_u32_f32_e32 v2, v2
	v_cvt_u32_f32_e32 v1, v1
	s_delay_alu instid0(VALU_DEP_2) | instskip(NEXT) | instid1(VALU_DEP_2)
	v_readfirstlane_b32 s5, v2
	v_readfirstlane_b32 s19, v1
	s_delay_alu instid0(VALU_DEP_2) | instskip(NEXT) | instid1(VALU_DEP_1)
	s_mul_i32 s33, s21, s5
	s_mul_hi_u32 s37, s21, s19
	s_mul_i32 s36, s25, s19
	s_add_i32 s33, s37, s33
	s_mul_i32 s38, s21, s19
	s_add_i32 s33, s33, s36
	s_mul_hi_u32 s37, s19, s38
	s_mul_hi_u32 s39, s5, s38
	s_mul_i32 s36, s5, s38
	s_mul_hi_u32 s38, s19, s33
	s_mul_i32 s19, s19, s33
	s_mul_hi_u32 s40, s5, s33
	s_add_u32 s19, s37, s19
	s_addc_u32 s37, 0, s38
	s_add_u32 s19, s19, s36
	s_mul_i32 s33, s5, s33
	s_addc_u32 s19, s37, s39
	s_addc_u32 s36, s40, 0
	s_add_u32 s19, s19, s33
	s_addc_u32 s33, 0, s36
	v_add_co_u32 v1, s19, v1, s19
	s_delay_alu instid0(VALU_DEP_1) | instskip(SKIP_1) | instid1(VALU_DEP_1)
	s_cmp_lg_u32 s19, 0
	s_addc_u32 s5, s5, s33
	v_readfirstlane_b32 s19, v1
	s_mul_i32 s33, s21, s5
	s_delay_alu instid0(VALU_DEP_1)
	s_mul_hi_u32 s36, s21, s19
	s_mul_i32 s25, s25, s19
	s_add_i32 s33, s36, s33
	s_mul_i32 s21, s21, s19
	s_add_i32 s33, s33, s25
	s_mul_hi_u32 s36, s5, s21
	s_mul_i32 s37, s5, s21
	s_mul_hi_u32 s21, s19, s21
	s_mul_hi_u32 s38, s19, s33
	s_mul_i32 s19, s19, s33
	s_mul_hi_u32 s25, s5, s33
	s_add_u32 s19, s21, s19
	s_addc_u32 s21, 0, s38
	s_add_u32 s19, s19, s37
	s_mul_i32 s33, s5, s33
	s_addc_u32 s19, s21, s36
	s_addc_u32 s21, s25, 0
	s_add_u32 s19, s19, s33
	s_addc_u32 s21, 0, s21
	v_add_co_u32 v1, s19, v1, s19
	s_delay_alu instid0(VALU_DEP_1) | instskip(SKIP_2) | instid1(VALU_DEP_1)
	s_cmp_lg_u32 s19, 0
	s_addc_u32 s5, s5, s21
	s_ashr_i32 s36, s29, 31
	v_readfirstlane_b32 s19, v1
	s_add_u32 s38, s28, s36
	s_mov_b32 s37, s36
	s_addc_u32 s39, s29, s36
	s_delay_alu instid0(SALU_CYCLE_1) | instskip(NEXT) | instid1(SALU_CYCLE_1)
	s_xor_b64 s[38:39], s[38:39], s[36:37]
	s_mul_i32 s25, s38, s5
	s_mul_hi_u32 s33, s38, s19
	s_mul_hi_u32 s21, s38, s5
	;; [unrolled: 1-line block ×3, first 2 shown]
	s_mul_i32 s19, s39, s19
	s_add_u32 s25, s33, s25
	s_addc_u32 s21, 0, s21
	s_mul_hi_u32 s40, s39, s5
	s_add_u32 s19, s25, s19
	s_mul_i32 s5, s39, s5
	s_addc_u32 s19, s21, s41
	s_addc_u32 s21, s40, 0
	s_add_u32 s5, s19, s5
	s_addc_u32 s19, 0, s21
	s_mul_hi_u32 s21, s34, s5
	s_mul_i32 s33, s34, s19
	s_mul_i32 s40, s34, s5
	s_add_i32 s21, s21, s33
	v_sub_co_u32 v1, s33, s38, s40
	s_mul_i32 s25, s35, s5
	s_delay_alu instid0(SALU_CYCLE_1) | instskip(NEXT) | instid1(VALU_DEP_1)
	s_add_i32 s21, s21, s25
	v_sub_co_u32 v2, s38, v1, s34
	s_sub_i32 s25, s39, s21
	s_cmp_lg_u32 s33, 0
	s_subb_u32 s25, s25, s35
	s_cmp_lg_u32 s38, 0
	v_readfirstlane_b32 s38, v2
	s_subb_u32 s25, s25, 0
	s_delay_alu instid0(SALU_CYCLE_1) | instskip(SKIP_1) | instid1(VALU_DEP_1)
	s_cmp_ge_u32 s25, s35
	s_cselect_b32 s40, -1, 0
	s_cmp_ge_u32 s38, s34
	s_cselect_b32 s38, -1, 0
	s_cmp_eq_u32 s25, s35
	s_cselect_b32 s25, s38, s40
	s_add_u32 s38, s5, 1
	s_addc_u32 s40, s19, 0
	s_add_u32 s41, s5, 2
	s_addc_u32 s42, s19, 0
	s_cmp_lg_u32 s25, 0
	s_cselect_b32 s25, s41, s38
	s_cselect_b32 s38, s42, s40
	s_cmp_lg_u32 s33, 0
	v_readfirstlane_b32 s33, v1
	s_subb_u32 s21, s39, s21
	s_delay_alu instid0(SALU_CYCLE_1) | instskip(SKIP_1) | instid1(VALU_DEP_1)
	s_cmp_ge_u32 s21, s35
	s_cselect_b32 s39, -1, 0
	s_cmp_ge_u32 s33, s34
	s_cselect_b32 s33, -1, 0
	s_cmp_eq_u32 s21, s35
	s_cselect_b32 s21, s33, s39
	s_delay_alu instid0(SALU_CYCLE_1) | instskip(SKIP_3) | instid1(SALU_CYCLE_1)
	s_cmp_lg_u32 s21, 0
	s_cselect_b32 s35, s38, s19
	s_cselect_b32 s34, s25, s5
	s_xor_b64 s[6:7], s[36:37], s[6:7]
	s_xor_b64 s[34:35], s[34:35], s[6:7]
	s_delay_alu instid0(SALU_CYCLE_1)
	s_sub_u32 s6, s34, s6
	s_subb_u32 s7, s35, s7
	s_and_not1_b32 vcc_lo, exec_lo, s4
	s_cbranch_vccnz .LBB49_7
.LBB49_6:
	v_cvt_f32_u32_e32 v1, s2
	s_sub_i32 s5, 0, s2
	s_delay_alu instid0(VALU_DEP_1) | instskip(SKIP_2) | instid1(VALU_DEP_1)
	v_rcp_iflag_f32_e32 v1, v1
	s_waitcnt_depctr 0xfff
	v_mul_f32_e32 v1, 0x4f7ffffe, v1
	v_cvt_u32_f32_e32 v1, v1
	s_delay_alu instid0(VALU_DEP_1) | instskip(NEXT) | instid1(VALU_DEP_1)
	v_readfirstlane_b32 s4, v1
	s_mul_i32 s5, s5, s4
	s_delay_alu instid0(SALU_CYCLE_1) | instskip(NEXT) | instid1(SALU_CYCLE_1)
	s_mul_hi_u32 s5, s4, s5
	s_add_i32 s4, s4, s5
	s_delay_alu instid0(SALU_CYCLE_1) | instskip(NEXT) | instid1(SALU_CYCLE_1)
	s_mul_hi_u32 s4, s28, s4
	s_mul_i32 s5, s4, s2
	s_add_i32 s6, s4, 1
	s_sub_i32 s5, s28, s5
	s_delay_alu instid0(SALU_CYCLE_1)
	s_sub_i32 s7, s5, s2
	s_cmp_ge_u32 s5, s2
	s_cselect_b32 s4, s6, s4
	s_cselect_b32 s5, s7, s5
	s_add_i32 s6, s4, 1
	s_cmp_ge_u32 s5, s2
	s_mov_b32 s7, 0
	s_cselect_b32 s6, s6, s4
.LBB49_7:
	s_delay_alu instid0(SALU_CYCLE_1)
	s_mul_i32 s3, s6, s3
	s_mul_hi_u32 s4, s6, s2
	s_mul_hi_u32 s33, s6, s16
	s_add_i32 s3, s4, s3
	s_mul_i32 s4, s7, s2
	s_mul_i32 s2, s6, s2
	s_add_i32 s3, s3, s4
	s_sub_u32 s5, s28, s2
	s_subb_u32 s21, s29, s3
	s_mul_i32 s36, s7, s16
	s_mul_i32 s34, s6, s16
	s_mul_hi_u32 s7, s5, s17
	s_mul_i32 s21, s21, s17
	s_mul_i32 s28, s5, s17
	s_mov_b32 s37, exec_lo
	v_cmpx_gt_i32_e64 s24, v0
	s_cbranch_execz .LBB49_10
; %bb.8:
	s_load_b32 s4, s[0:1], 0x8c
	s_lshl_b64 s[2:3], s[30:31], 2
	v_lshlrev_b32_e32 v7, 2, v0
	s_ashr_i32 s25, s24, 31
	s_ashr_i32 s29, s16, 31
	;; [unrolled: 1-line block ×4, first 2 shown]
	s_mul_i32 s9, s9, s20
	s_mul_hi_u32 s31, s8, s20
	s_mul_i32 s8, s8, s20
	s_mul_i32 s29, s6, s29
	;; [unrolled: 1-line block ×3, first 2 shown]
	v_mov_b32_e32 v9, v0
	s_waitcnt lgkmcnt(0)
	s_and_b32 s30, s4, 0xffff
	s_add_u32 s4, s26, s2
	s_addc_u32 s27, s27, s3
	s_add_i32 s9, s31, s9
	v_add_co_u32 v1, s4, s4, v7
	s_lshl_b64 s[8:9], s[8:9], 1
	s_lshl_b32 s26, s30, 2
	s_lshl_b64 s[2:3], s[24:25], 2
	v_add_co_ci_u32_e64 v2, null, s27, 0, s4
	s_add_u32 s4, s12, s8
	s_addc_u32 s25, s13, s9
	s_add_i32 s8, s33, s29
	s_add_i32 s9, s7, s35
	;; [unrolled: 1-line block ×4, first 2 shown]
	s_lshl_b64 s[8:9], s[34:35], 1
	s_lshl_b64 s[12:13], s[28:29], 1
	v_add_co_u32 v3, vcc_lo, v1, s2
	s_add_u32 s8, s8, s12
	v_add_co_ci_u32_e32 v4, vcc_lo, s3, v2, vcc_lo
	s_addc_u32 s9, s9, s13
	s_lshl_b64 s[2:3], s[18:19], 1
	v_add_co_u32 v5, s4, s4, v7
	s_add_u32 s2, s22, s2
	s_addc_u32 s3, s23, s3
	s_add_u32 s2, s2, s8
	s_addc_u32 s3, s3, s9
	v_add_co_u32 v7, s2, s2, v7
	v_add_co_ci_u32_e64 v6, null, s25, 0, s4
	v_add_co_ci_u32_e64 v8, null, s3, 0, s2
	s_mov_b32 s12, 0
	s_mov_b64 s[8:9], 0
.LBB49_9:                               ; =>This Inner Loop Header: Depth=1
	s_delay_alu instid0(SALU_CYCLE_1)
	v_add_co_u32 v10, vcc_lo, v1, s8
	v_add_co_ci_u32_e32 v11, vcc_lo, s9, v2, vcc_lo
	v_add_co_u32 v12, vcc_lo, v3, s8
	v_add_co_ci_u32_e32 v13, vcc_lo, s9, v4, vcc_lo
	;; [unrolled: 2-line block ×3, first 2 shown]
	s_clause 0x1
	global_load_b32 v10, v[10:11], off
	global_load_b32 v11, v[12:13], off
	;; [unrolled: 1-line block ×3, first 2 shown]
	v_add_nc_u32_e32 v9, s30, v9
	s_waitcnt vmcnt(2)
	v_bfe_u32 v13, v10, 16, 1
	s_waitcnt vmcnt(1)
	v_bfe_u32 v16, v11, 16, 1
	v_cmp_o_f32_e64 s2, v10, v10
	s_waitcnt vmcnt(0)
	v_lshlrev_b32_e32 v17, 16, v12
	v_cmp_o_f32_e32 vcc_lo, v11, v11
	v_add3_u32 v13, v10, v13, 0x7fff
	v_add3_u32 v16, v11, v16, 0x7fff
	s_delay_alu instid0(VALU_DEP_2) | instskip(NEXT) | instid1(VALU_DEP_2)
	v_and_b32_e32 v13, 0xffff0000, v13
	v_and_b32_e32 v16, 0xffff0000, v16
	s_delay_alu instid0(VALU_DEP_2) | instskip(SKIP_1) | instid1(VALU_DEP_3)
	v_cndmask_b32_e64 v10, 0x7fc00000, v13, s2
	v_and_b32_e32 v12, 0xffff0000, v12
	v_cndmask_b32_e32 v11, 0x7fc00000, v16, vcc_lo
	s_delay_alu instid0(VALU_DEP_3) | instskip(NEXT) | instid1(VALU_DEP_3)
	v_mul_f32_e32 v13, v10, v17
	v_mul_f32_e32 v10, v10, v12
	s_delay_alu instid0(VALU_DEP_3) | instskip(SKIP_1) | instid1(VALU_DEP_4)
	v_mul_f32_e32 v12, v11, v12
	v_mul_f32_e32 v11, v11, v17
	v_bfe_u32 v16, v13, 16, 1
	s_delay_alu instid0(VALU_DEP_4) | instskip(SKIP_1) | instid1(VALU_DEP_4)
	v_bfe_u32 v17, v10, 16, 1
	v_cmp_o_f32_e32 vcc_lo, v13, v13
	v_bfe_u32 v19, v11, 16, 1
	v_cmp_o_f32_e64 s2, v11, v11
	v_add3_u32 v16, v13, v16, 0x7fff
	v_add3_u32 v17, v10, v17, 0x7fff
	v_cmp_o_f32_e64 s4, v10, v10
	v_add3_u32 v19, v11, v19, 0x7fff
	s_delay_alu instid0(VALU_DEP_4) | instskip(NEXT) | instid1(VALU_DEP_4)
	v_and_b32_e32 v16, 0xffff0000, v16
	v_and_b32_e32 v17, 0xffff0000, v17
	v_bfe_u32 v18, v12, 16, 1
	s_delay_alu instid0(VALU_DEP_4)
	v_and_b32_e32 v19, 0xffff0000, v19
	v_cmp_o_f32_e64 s3, v12, v12
	v_cndmask_b32_e32 v11, 0x7fc00000, v16, vcc_lo
	v_cndmask_b32_e64 v10, 0x7fc00000, v17, s4
	v_add3_u32 v18, v12, v18, 0x7fff
	v_cndmask_b32_e64 v13, 0x7fc00000, v19, s2
	s_delay_alu instid0(VALU_DEP_2) | instskip(NEXT) | instid1(VALU_DEP_1)
	v_and_b32_e32 v18, 0xffff0000, v18
	v_cndmask_b32_e64 v12, 0x7fc00000, v18, s3
	s_delay_alu instid0(VALU_DEP_1) | instskip(NEXT) | instid1(VALU_DEP_1)
	v_dual_sub_f32 v11, v11, v12 :: v_dual_add_f32 v12, v10, v13
	v_bfe_u32 v10, v11, 16, 1
	s_delay_alu instid0(VALU_DEP_2) | instskip(SKIP_2) | instid1(VALU_DEP_4)
	v_bfe_u32 v13, v12, 16, 1
	v_cmp_o_f32_e64 s2, v12, v12
	v_cmp_o_f32_e64 s3, v11, v11
	v_add3_u32 v16, v11, v10, 0x7fff
	s_delay_alu instid0(VALU_DEP_4) | instskip(SKIP_2) | instid1(VALU_DEP_4)
	v_add3_u32 v13, v12, v13, 0x7fff
	v_add_co_u32 v10, vcc_lo, v7, s8
	v_add_co_ci_u32_e32 v11, vcc_lo, s9, v8, vcc_lo
	v_lshrrev_b32_e32 v16, 16, v16
	s_delay_alu instid0(VALU_DEP_4)
	v_lshrrev_b32_e32 v13, 16, v13
	v_cmp_le_i32_e32 vcc_lo, s24, v9
	s_add_u32 s8, s8, s26
	s_addc_u32 s9, s9, 0
	v_cndmask_b32_e64 v12, 0x7fc0, v16, s3
	v_cndmask_b32_e64 v13, 0x7fc0, v13, s2
	s_or_b32 s12, vcc_lo, s12
	s_delay_alu instid0(VALU_DEP_1)
	v_perm_b32 v12, v13, v12, 0x5040100
	global_store_b32 v[14:15], v12, off
	global_store_b32 v[10:11], v12, off
	s_and_not1_b32 exec_lo, exec_lo, s12
	s_cbranch_execnz .LBB49_9
.LBB49_10:
	s_or_b32 exec_lo, exec_lo, s37
	s_delay_alu instid0(SALU_CYCLE_1)
	s_mov_b32 s2, exec_lo
	v_cmpx_gt_i32_e64 s18, v0
	s_cbranch_execz .LBB49_13
; %bb.11:
	s_mul_i32 s3, s20, s11
	s_mul_hi_u32 s4, s20, s10
	s_mul_i32 s2, s20, s10
	s_add_i32 s3, s4, s3
	s_delay_alu instid0(SALU_CYCLE_1) | instskip(NEXT) | instid1(SALU_CYCLE_1)
	s_lshl_b64 s[2:3], s[2:3], 1
	s_add_u32 s2, s14, s2
	s_addc_u32 s3, s15, s3
	s_ashr_i32 s4, s16, 31
	s_delay_alu instid0(SALU_CYCLE_1) | instskip(SKIP_2) | instid1(SALU_CYCLE_1)
	s_mul_i32 s4, s6, s4
	s_load_b32 s6, s[0:1], 0x8c
	s_add_i32 s0, s33, s4
	s_add_i32 s35, s0, s36
	s_delay_alu instid0(SALU_CYCLE_1) | instskip(NEXT) | instid1(SALU_CYCLE_1)
	s_lshl_b64 s[0:1], s[34:35], 1
	s_add_u32 s0, s22, s0
	s_addc_u32 s8, s23, s1
	s_ashr_i32 s1, s17, 31
	s_delay_alu instid0(SALU_CYCLE_1) | instskip(NEXT) | instid1(SALU_CYCLE_1)
	s_mul_i32 s5, s5, s1
	s_add_i32 s1, s7, s5
	s_delay_alu instid0(SALU_CYCLE_1) | instskip(NEXT) | instid1(SALU_CYCLE_1)
	s_add_i32 s29, s1, s21
	s_lshl_b64 s[4:5], s[28:29], 1
	s_delay_alu instid0(SALU_CYCLE_1)
	s_add_u32 s1, s0, s4
	s_addc_u32 s4, s8, s5
	s_waitcnt lgkmcnt(0)
	s_and_b32 s5, s6, 0xffff
	s_mov_b32 s6, 0
	.p2align	6
.LBB49_12:                              ; =>This Inner Loop Header: Depth=1
	v_ashrrev_i32_e32 v1, 31, v0
	s_delay_alu instid0(VALU_DEP_1) | instskip(SKIP_1) | instid1(VALU_DEP_2)
	v_lshlrev_b64 v[1:2], 1, v[0:1]
	v_add_nc_u32_e32 v0, s5, v0
	v_add_co_u32 v3, vcc_lo, s2, v1
	s_delay_alu instid0(VALU_DEP_3) | instskip(NEXT) | instid1(VALU_DEP_3)
	v_add_co_ci_u32_e32 v4, vcc_lo, s3, v2, vcc_lo
	v_cmp_le_i32_e32 vcc_lo, s18, v0
	v_add_co_u32 v1, s0, s1, v1
	global_load_u16 v3, v[3:4], off
	v_add_co_ci_u32_e64 v2, s0, s4, v2, s0
	s_or_b32 s6, vcc_lo, s6
	s_waitcnt vmcnt(0)
	global_store_b16 v[1:2], v3, off
	s_and_not1_b32 exec_lo, exec_lo, s6
	s_cbranch_execnz .LBB49_12
.LBB49_13:
	s_nop 0
	s_sendmsg sendmsg(MSG_DEALLOC_VGPRS)
	s_endpgm
.LBB49_14:
                                        ; implicit-def: $sgpr6_sgpr7
	s_branch .LBB49_6
	.section	.rodata,"a",@progbits
	.p2align	6, 0x0
	.amdhsa_kernel _ZN4vllm38concat_and_cache_mla_rope_fused_kernelIN3c108BFloat16EfLb0E14__hip_bfloat16S3_LNS_18Fp8KVCacheDataTypeE0EEEvPKlPT_S8_PKS7_PKT0_illlliPT3_S6_iiiiPKf
		.amdhsa_group_segment_fixed_size 0
		.amdhsa_private_segment_fixed_size 0
		.amdhsa_kernarg_size 384
		.amdhsa_user_sgpr_count 15
		.amdhsa_user_sgpr_dispatch_ptr 0
		.amdhsa_user_sgpr_queue_ptr 0
		.amdhsa_user_sgpr_kernarg_segment_ptr 1
		.amdhsa_user_sgpr_dispatch_id 0
		.amdhsa_user_sgpr_private_segment_size 0
		.amdhsa_wavefront_size32 1
		.amdhsa_uses_dynamic_stack 0
		.amdhsa_enable_private_segment 0
		.amdhsa_system_sgpr_workgroup_id_x 1
		.amdhsa_system_sgpr_workgroup_id_y 0
		.amdhsa_system_sgpr_workgroup_id_z 0
		.amdhsa_system_sgpr_workgroup_info 0
		.amdhsa_system_vgpr_workitem_id 0
		.amdhsa_next_free_vgpr 20
		.amdhsa_next_free_sgpr 43
		.amdhsa_reserve_vcc 1
		.amdhsa_float_round_mode_32 0
		.amdhsa_float_round_mode_16_64 0
		.amdhsa_float_denorm_mode_32 3
		.amdhsa_float_denorm_mode_16_64 3
		.amdhsa_dx10_clamp 1
		.amdhsa_ieee_mode 1
		.amdhsa_fp16_overflow 0
		.amdhsa_workgroup_processor_mode 1
		.amdhsa_memory_ordered 1
		.amdhsa_forward_progress 0
		.amdhsa_shared_vgpr_count 0
		.amdhsa_exception_fp_ieee_invalid_op 0
		.amdhsa_exception_fp_denorm_src 0
		.amdhsa_exception_fp_ieee_div_zero 0
		.amdhsa_exception_fp_ieee_overflow 0
		.amdhsa_exception_fp_ieee_underflow 0
		.amdhsa_exception_fp_ieee_inexact 0
		.amdhsa_exception_int_div_zero 0
	.end_amdhsa_kernel
	.section	.text._ZN4vllm38concat_and_cache_mla_rope_fused_kernelIN3c108BFloat16EfLb0E14__hip_bfloat16S3_LNS_18Fp8KVCacheDataTypeE0EEEvPKlPT_S8_PKS7_PKT0_illlliPT3_S6_iiiiPKf,"axG",@progbits,_ZN4vllm38concat_and_cache_mla_rope_fused_kernelIN3c108BFloat16EfLb0E14__hip_bfloat16S3_LNS_18Fp8KVCacheDataTypeE0EEEvPKlPT_S8_PKS7_PKT0_illlliPT3_S6_iiiiPKf,comdat
.Lfunc_end49:
	.size	_ZN4vllm38concat_and_cache_mla_rope_fused_kernelIN3c108BFloat16EfLb0E14__hip_bfloat16S3_LNS_18Fp8KVCacheDataTypeE0EEEvPKlPT_S8_PKS7_PKT0_illlliPT3_S6_iiiiPKf, .Lfunc_end49-_ZN4vllm38concat_and_cache_mla_rope_fused_kernelIN3c108BFloat16EfLb0E14__hip_bfloat16S3_LNS_18Fp8KVCacheDataTypeE0EEEvPKlPT_S8_PKS7_PKT0_illlliPT3_S6_iiiiPKf
                                        ; -- End function
	.section	.AMDGPU.csdata,"",@progbits
; Kernel info:
; codeLenInByte = 3080
; NumSgprs: 45
; NumVgprs: 20
; ScratchSize: 0
; MemoryBound: 0
; FloatMode: 240
; IeeeMode: 1
; LDSByteSize: 0 bytes/workgroup (compile time only)
; SGPRBlocks: 5
; VGPRBlocks: 2
; NumSGPRsForWavesPerEU: 45
; NumVGPRsForWavesPerEU: 20
; Occupancy: 16
; WaveLimiterHint : 1
; COMPUTE_PGM_RSRC2:SCRATCH_EN: 0
; COMPUTE_PGM_RSRC2:USER_SGPR: 15
; COMPUTE_PGM_RSRC2:TRAP_HANDLER: 0
; COMPUTE_PGM_RSRC2:TGID_X_EN: 1
; COMPUTE_PGM_RSRC2:TGID_Y_EN: 0
; COMPUTE_PGM_RSRC2:TGID_Z_EN: 0
; COMPUTE_PGM_RSRC2:TIDIG_COMP_CNT: 0
	.section	.text._ZN4vllm38concat_and_cache_mla_rope_fused_kernelIN3c108BFloat16ENS1_4HalfELb1E14__hip_bfloat16S4_LNS_18Fp8KVCacheDataTypeE0EEEvPKlPT_S9_PKS8_PKT0_illlliPT3_S7_iiiiPKf,"axG",@progbits,_ZN4vllm38concat_and_cache_mla_rope_fused_kernelIN3c108BFloat16ENS1_4HalfELb1E14__hip_bfloat16S4_LNS_18Fp8KVCacheDataTypeE0EEEvPKlPT_S9_PKS8_PKT0_illlliPT3_S7_iiiiPKf,comdat
	.protected	_ZN4vllm38concat_and_cache_mla_rope_fused_kernelIN3c108BFloat16ENS1_4HalfELb1E14__hip_bfloat16S4_LNS_18Fp8KVCacheDataTypeE0EEEvPKlPT_S9_PKS8_PKT0_illlliPT3_S7_iiiiPKf ; -- Begin function _ZN4vllm38concat_and_cache_mla_rope_fused_kernelIN3c108BFloat16ENS1_4HalfELb1E14__hip_bfloat16S4_LNS_18Fp8KVCacheDataTypeE0EEEvPKlPT_S9_PKS8_PKT0_illlliPT3_S7_iiiiPKf
	.globl	_ZN4vllm38concat_and_cache_mla_rope_fused_kernelIN3c108BFloat16ENS1_4HalfELb1E14__hip_bfloat16S4_LNS_18Fp8KVCacheDataTypeE0EEEvPKlPT_S9_PKS8_PKT0_illlliPT3_S7_iiiiPKf
	.p2align	8
	.type	_ZN4vllm38concat_and_cache_mla_rope_fused_kernelIN3c108BFloat16ENS1_4HalfELb1E14__hip_bfloat16S4_LNS_18Fp8KVCacheDataTypeE0EEEvPKlPT_S9_PKS8_PKT0_illlliPT3_S7_iiiiPKf,@function
_ZN4vllm38concat_and_cache_mla_rope_fused_kernelIN3c108BFloat16ENS1_4HalfELb1E14__hip_bfloat16S4_LNS_18Fp8KVCacheDataTypeE0EEEvPKlPT_S9_PKS8_PKT0_illlliPT3_S7_iiiiPKf: ; @_ZN4vllm38concat_and_cache_mla_rope_fused_kernelIN3c108BFloat16ENS1_4HalfELb1E14__hip_bfloat16S4_LNS_18Fp8KVCacheDataTypeE0EEEvPKlPT_S9_PKS8_PKT0_illlliPT3_S7_iiiiPKf
; %bb.0:
	s_load_b64 s[4:5], s[0:1], 0x60
	s_mov_b32 s20, s15
	s_mov_b32 s21, 0
	s_delay_alu instid0(SALU_CYCLE_1)
	s_lshl_b64 s[2:3], s[20:21], 3
	s_waitcnt lgkmcnt(0)
	s_add_u32 s4, s4, s2
	s_addc_u32 s5, s5, s3
	s_load_b64 s[30:31], s[4:5], 0x0
	s_waitcnt lgkmcnt(0)
	v_cmp_lt_i64_e64 s4, s[30:31], 0
	s_delay_alu instid0(VALU_DEP_1)
	s_and_b32 vcc_lo, exec_lo, s4
	s_cbranch_vccnz .LBB50_13
; %bb.1:
	s_clause 0x2
	s_load_b32 s16, s[0:1], 0x28
	s_load_b64 s[4:5], s[0:1], 0x0
	s_load_b128 s[12:15], s[0:1], 0x10
	s_waitcnt lgkmcnt(0)
	s_ashr_i32 s17, s16, 31
	s_add_u32 s2, s4, s2
	s_addc_u32 s3, s5, s3
	s_load_b64 s[2:3], s[2:3], 0x0
	s_clause 0x3
	s_load_b64 s[26:27], s[0:1], 0x20
	s_load_b32 s18, s[0:1], 0x50
	s_load_b64 s[22:23], s[0:1], 0x58
	s_load_b256 s[4:11], s[0:1], 0x30
	s_waitcnt lgkmcnt(0)
	s_mul_i32 s17, s2, s17
	s_mul_hi_u32 s19, s2, s16
	s_mul_i32 s3, s3, s16
	s_add_i32 s17, s19, s17
	s_mul_i32 s2, s2, s16
	s_add_i32 s3, s17, s3
	s_mov_b32 s17, exec_lo
	s_lshl_b64 s[28:29], s[2:3], 1
	s_delay_alu instid0(SALU_CYCLE_1) | instskip(SKIP_2) | instid1(SALU_CYCLE_1)
	s_add_u32 s21, s26, s28
	s_addc_u32 s33, s27, s29
	s_lshr_b32 s2, s16, 31
	s_add_i32 s16, s16, s2
	s_delay_alu instid0(SALU_CYCLE_1) | instskip(NEXT) | instid1(SALU_CYCLE_1)
	s_ashr_i32 s24, s16, 1
	s_mul_i32 s16, s24, s18
	s_delay_alu instid0(SALU_CYCLE_1)
	v_cmpx_gt_i32_e64 s16, v0
	s_cbranch_execz .LBB50_4
; %bb.2:
	s_clause 0x1
	s_load_b64 s[2:3], s[0:1], 0x8
	s_load_b32 s35, s[0:1], 0x8c
	s_mul_i32 s5, s20, s5
	s_mul_hi_u32 s18, s20, s4
	s_mul_i32 s4, s20, s4
	s_add_i32 s5, s18, s5
	s_ashr_i32 s25, s24, 31
	s_lshl_b64 s[4:5], s[4:5], 1
	s_mov_b32 s36, 0
	s_waitcnt lgkmcnt(0)
	s_add_u32 s18, s2, s4
	s_addc_u32 s19, s3, s5
	s_abs_i32 s34, s24
	s_and_b32 s35, s35, 0xffff
	v_cvt_f32_u32_e32 v1, s34
	s_sub_i32 s2, 0, s34
	s_sub_i32 s37, 0, s24
	s_lshl_b64 s[4:5], s[24:25], 1
	s_delay_alu instid0(VALU_DEP_1) | instskip(SKIP_2) | instid1(VALU_DEP_1)
	v_rcp_iflag_f32_e32 v1, v1
	s_waitcnt_depctr 0xfff
	v_mul_f32_e32 v1, 0x4f7ffffe, v1
	v_cvt_u32_f32_e32 v1, v1
	s_delay_alu instid0(VALU_DEP_1) | instskip(NEXT) | instid1(VALU_DEP_1)
	v_mul_lo_u32 v2, s2, v1
	v_mul_hi_u32 v2, v1, v2
	s_delay_alu instid0(VALU_DEP_1)
	v_dual_mov_b32 v1, v0 :: v_dual_add_nc_u32 v2, v1, v2
.LBB50_3:                               ; =>This Inner Loop Header: Depth=1
	s_delay_alu instid0(VALU_DEP_1) | instskip(SKIP_1) | instid1(VALU_DEP_2)
	v_sub_nc_u32_e32 v3, 0, v1
	v_ashrrev_i32_e32 v4, 31, v1
	v_max_i32_e32 v3, v1, v3
	s_delay_alu instid0(VALU_DEP_2) | instskip(NEXT) | instid1(VALU_DEP_2)
	v_xor_b32_e32 v4, s25, v4
	v_mul_hi_u32 v5, v3, v2
	s_delay_alu instid0(VALU_DEP_1) | instskip(SKIP_1) | instid1(VALU_DEP_2)
	v_mul_lo_u32 v6, v5, s34
	v_add_nc_u32_e32 v7, 1, v5
	v_sub_nc_u32_e32 v3, v3, v6
	s_delay_alu instid0(VALU_DEP_1) | instskip(SKIP_1) | instid1(VALU_DEP_4)
	v_subrev_nc_u32_e32 v6, s34, v3
	v_cmp_le_u32_e32 vcc_lo, s34, v3
	v_cndmask_b32_e32 v5, v5, v7, vcc_lo
	s_delay_alu instid0(VALU_DEP_1) | instskip(NEXT) | instid1(VALU_DEP_1)
	v_dual_cndmask_b32 v3, v3, v6 :: v_dual_add_nc_u32 v6, 1, v5
	v_cmp_le_u32_e32 vcc_lo, s34, v3
	s_delay_alu instid0(VALU_DEP_2) | instskip(NEXT) | instid1(VALU_DEP_1)
	v_cndmask_b32_e32 v3, v5, v6, vcc_lo
	v_xor_b32_e32 v3, v3, v4
	s_delay_alu instid0(VALU_DEP_1) | instskip(NEXT) | instid1(VALU_DEP_1)
	v_sub_nc_u32_e32 v7, v3, v4
	v_mad_u64_u32 v[3:4], null, s37, v7, v[1:2]
	v_ashrrev_i32_e32 v8, 31, v7
	v_mul_lo_u32 v9, v7, s7
	v_mad_u64_u32 v[5:6], null, v7, s6, 0
	v_add_nc_u32_e32 v1, s35, v1
	s_delay_alu instid0(VALU_DEP_4) | instskip(SKIP_1) | instid1(VALU_DEP_1)
	v_mul_lo_u32 v7, v8, s6
	v_ashrrev_i32_e32 v4, 31, v3
	v_lshlrev_b64 v[3:4], 1, v[3:4]
	s_delay_alu instid0(VALU_DEP_3) | instskip(NEXT) | instid1(VALU_DEP_2)
	v_add3_u32 v6, v6, v9, v7
	v_add_co_u32 v7, vcc_lo, s21, v3
	s_delay_alu instid0(VALU_DEP_3) | instskip(NEXT) | instid1(VALU_DEP_3)
	v_add_co_ci_u32_e32 v8, vcc_lo, s33, v4, vcc_lo
	v_lshlrev_b64 v[5:6], 1, v[5:6]
	global_load_u16 v9, v[7:8], off
	v_add_co_u32 v7, vcc_lo, v7, s4
	v_add_co_ci_u32_e32 v8, vcc_lo, s5, v8, vcc_lo
	v_add_co_u32 v5, vcc_lo, s18, v5
	v_add_co_ci_u32_e32 v6, vcc_lo, s19, v6, vcc_lo
	global_load_u16 v7, v[7:8], off
	v_add_co_u32 v3, vcc_lo, v5, v3
	v_add_co_ci_u32_e32 v4, vcc_lo, v6, v4, vcc_lo
	s_delay_alu instid0(VALU_DEP_2) | instskip(NEXT) | instid1(VALU_DEP_2)
	v_add_co_u32 v5, vcc_lo, v3, s4
	v_add_co_ci_u32_e32 v6, vcc_lo, s5, v4, vcc_lo
	s_clause 0x1
	global_load_u16 v8, v[3:4], off
	global_load_u16 v10, v[5:6], off
	s_waitcnt vmcnt(3)
	v_cvt_f32_f16_e32 v11, v9
	v_cmp_o_f16_e32 vcc_lo, v9, v9
	s_delay_alu instid0(VALU_DEP_2) | instskip(SKIP_2) | instid1(VALU_DEP_2)
	v_bfe_u32 v13, v11, 16, 1
	s_waitcnt vmcnt(2)
	v_cvt_f32_f16_e32 v12, v7
	v_add3_u32 v11, v11, v13, 0x7fff
	s_delay_alu instid0(VALU_DEP_2) | instskip(NEXT) | instid1(VALU_DEP_2)
	v_bfe_u32 v13, v12, 16, 1
	v_and_b32_e32 v11, 0xffff0000, v11
	s_delay_alu instid0(VALU_DEP_2)
	v_add3_u32 v12, v12, v13, 0x7fff
	s_waitcnt vmcnt(1)
	v_lshlrev_b32_e32 v8, 16, v8
	s_waitcnt vmcnt(0)
	v_dual_cndmask_b32 v9, 0x7fc00000, v11 :: v_dual_lshlrev_b32 v10, 16, v10
	v_cmp_o_f16_e32 vcc_lo, v7, v7
	v_and_b32_e32 v11, 0xffff0000, v12
	s_delay_alu instid0(VALU_DEP_3) | instskip(NEXT) | instid1(VALU_DEP_2)
	v_mul_f32_e32 v7, v9, v8
	v_cndmask_b32_e32 v11, 0x7fc00000, v11, vcc_lo
	s_delay_alu instid0(VALU_DEP_2) | instskip(SKIP_1) | instid1(VALU_DEP_3)
	v_bfe_u32 v12, v7, 16, 1
	v_cmp_o_f32_e64 s2, v7, v7
	v_mul_f32_e32 v8, v11, v8
	s_delay_alu instid0(VALU_DEP_3) | instskip(SKIP_2) | instid1(VALU_DEP_4)
	v_add3_u32 v12, v7, v12, 0x7fff
	v_mul_f32_e32 v9, v9, v10
	v_mul_f32_e32 v10, v11, v10
	v_bfe_u32 v14, v8, 16, 1
	s_delay_alu instid0(VALU_DEP_4) | instskip(NEXT) | instid1(VALU_DEP_4)
	v_and_b32_e32 v12, 0xffff0000, v12
	v_bfe_u32 v11, v9, 16, 1
	s_delay_alu instid0(VALU_DEP_4) | instskip(NEXT) | instid1(VALU_DEP_4)
	v_bfe_u32 v13, v10, 16, 1
	v_add3_u32 v14, v8, v14, 0x7fff
	v_cmp_o_f32_e32 vcc_lo, v9, v9
	s_delay_alu instid0(VALU_DEP_4) | instskip(NEXT) | instid1(VALU_DEP_4)
	v_add3_u32 v11, v9, v11, 0x7fff
	v_add3_u32 v13, v10, v13, 0x7fff
	v_cndmask_b32_e64 v9, 0x7fc00000, v12, s2
	v_and_b32_e32 v12, 0xffff0000, v14
	v_cmp_o_f32_e64 s2, v10, v10
	v_and_b32_e32 v11, 0xffff0000, v11
	s_delay_alu instid0(VALU_DEP_1) | instskip(SKIP_4) | instid1(VALU_DEP_3)
	v_cndmask_b32_e32 v11, 0x7fc00000, v11, vcc_lo
	v_cmp_o_f32_e32 vcc_lo, v8, v8
	v_cndmask_b32_e32 v8, 0x7fc00000, v12, vcc_lo
	v_and_b32_e32 v7, 0xffff0000, v13
	v_cmp_le_i32_e32 vcc_lo, s16, v1
	v_add_f32_e32 v8, v11, v8
	s_delay_alu instid0(VALU_DEP_3) | instskip(SKIP_1) | instid1(VALU_DEP_2)
	v_cndmask_b32_e64 v7, 0x7fc00000, v7, s2
	s_or_b32 s36, vcc_lo, s36
	v_bfe_u32 v10, v8, 16, 1
	s_delay_alu instid0(VALU_DEP_2) | instskip(SKIP_1) | instid1(VALU_DEP_3)
	v_sub_f32_e32 v7, v9, v7
	v_cmp_o_f32_e64 s2, v8, v8
	v_add3_u32 v10, v8, v10, 0x7fff
	s_delay_alu instid0(VALU_DEP_3) | instskip(SKIP_1) | instid1(VALU_DEP_3)
	v_bfe_u32 v9, v7, 16, 1
	v_cmp_o_f32_e64 s3, v7, v7
	v_lshrrev_b32_e32 v10, 16, v10
	s_delay_alu instid0(VALU_DEP_3) | instskip(NEXT) | instid1(VALU_DEP_2)
	v_add3_u32 v9, v7, v9, 0x7fff
	v_cndmask_b32_e64 v8, 0x7fc0, v10, s2
	s_delay_alu instid0(VALU_DEP_2) | instskip(NEXT) | instid1(VALU_DEP_1)
	v_lshrrev_b32_e32 v9, 16, v9
	v_cndmask_b32_e64 v7, 0x7fc0, v9, s3
	s_clause 0x1
	global_store_b16 v[3:4], v7, off
	global_store_b16 v[5:6], v8, off
	s_and_not1_b32 exec_lo, exec_lo, s36
	s_cbranch_execnz .LBB50_3
.LBB50_4:
	s_or_b32 exec_lo, exec_lo, s17
	s_load_b128 s[16:19], s[0:1], 0x68
	s_waitcnt lgkmcnt(0)
	s_ashr_i32 s3, s19, 31
	s_mov_b32 s2, s19
	s_delay_alu instid0(SALU_CYCLE_1) | instskip(SKIP_1) | instid1(SALU_CYCLE_1)
	s_or_b64 s[4:5], s[30:31], s[2:3]
	s_mov_b32 s4, 0
	s_cmp_lg_u64 s[4:5], 0
	s_cbranch_scc0 .LBB50_14
; %bb.5:
	s_add_u32 s34, s2, s3
	s_mov_b32 s6, s3
	s_mov_b32 s7, s3
	s_addc_u32 s35, s3, s3
	s_delay_alu instid0(SALU_CYCLE_1) | instskip(NEXT) | instid1(SALU_CYCLE_1)
	s_xor_b64 s[34:35], s[34:35], s[6:7]
	v_cvt_f32_u32_e32 v1, s34
	v_cvt_f32_u32_e32 v2, s35
	s_sub_u32 s25, 0, s34
	s_subb_u32 s36, 0, s35
	s_delay_alu instid0(VALU_DEP_1) | instskip(NEXT) | instid1(VALU_DEP_1)
	v_fmamk_f32 v1, v2, 0x4f800000, v1
	v_rcp_f32_e32 v1, v1
	s_waitcnt_depctr 0xfff
	v_mul_f32_e32 v1, 0x5f7ffffc, v1
	s_delay_alu instid0(VALU_DEP_1) | instskip(NEXT) | instid1(VALU_DEP_1)
	v_mul_f32_e32 v2, 0x2f800000, v1
	v_trunc_f32_e32 v2, v2
	s_delay_alu instid0(VALU_DEP_1) | instskip(SKIP_1) | instid1(VALU_DEP_2)
	v_fmamk_f32 v1, v2, 0xcf800000, v1
	v_cvt_u32_f32_e32 v2, v2
	v_cvt_u32_f32_e32 v1, v1
	s_delay_alu instid0(VALU_DEP_2) | instskip(NEXT) | instid1(VALU_DEP_2)
	v_readfirstlane_b32 s5, v2
	v_readfirstlane_b32 s19, v1
	s_delay_alu instid0(VALU_DEP_2) | instskip(NEXT) | instid1(VALU_DEP_1)
	s_mul_i32 s37, s25, s5
	s_mul_hi_u32 s39, s25, s19
	s_mul_i32 s38, s36, s19
	s_add_i32 s37, s39, s37
	s_mul_i32 s40, s25, s19
	s_add_i32 s37, s37, s38
	s_mul_hi_u32 s39, s19, s40
	s_mul_hi_u32 s41, s5, s40
	s_mul_i32 s38, s5, s40
	s_mul_hi_u32 s40, s19, s37
	s_mul_i32 s19, s19, s37
	s_mul_hi_u32 s42, s5, s37
	s_add_u32 s19, s39, s19
	s_addc_u32 s39, 0, s40
	s_add_u32 s19, s19, s38
	s_mul_i32 s37, s5, s37
	s_addc_u32 s19, s39, s41
	s_addc_u32 s38, s42, 0
	s_add_u32 s19, s19, s37
	s_addc_u32 s37, 0, s38
	v_add_co_u32 v1, s19, v1, s19
	s_delay_alu instid0(VALU_DEP_1) | instskip(SKIP_1) | instid1(VALU_DEP_1)
	s_cmp_lg_u32 s19, 0
	s_addc_u32 s5, s5, s37
	v_readfirstlane_b32 s19, v1
	s_mul_i32 s37, s25, s5
	s_delay_alu instid0(VALU_DEP_1)
	s_mul_hi_u32 s38, s25, s19
	s_mul_i32 s36, s36, s19
	s_add_i32 s37, s38, s37
	s_mul_i32 s25, s25, s19
	s_add_i32 s37, s37, s36
	s_mul_hi_u32 s38, s5, s25
	s_mul_i32 s39, s5, s25
	s_mul_hi_u32 s25, s19, s25
	s_mul_hi_u32 s40, s19, s37
	s_mul_i32 s19, s19, s37
	s_mul_hi_u32 s36, s5, s37
	s_add_u32 s19, s25, s19
	s_addc_u32 s25, 0, s40
	s_add_u32 s19, s19, s39
	s_mul_i32 s37, s5, s37
	s_addc_u32 s19, s25, s38
	s_addc_u32 s25, s36, 0
	s_add_u32 s19, s19, s37
	s_addc_u32 s25, 0, s25
	v_add_co_u32 v1, s19, v1, s19
	s_delay_alu instid0(VALU_DEP_1) | instskip(SKIP_2) | instid1(VALU_DEP_1)
	s_cmp_lg_u32 s19, 0
	s_addc_u32 s5, s5, s25
	s_ashr_i32 s36, s31, 31
	v_readfirstlane_b32 s19, v1
	s_add_u32 s38, s30, s36
	s_mov_b32 s37, s36
	s_addc_u32 s39, s31, s36
	s_delay_alu instid0(SALU_CYCLE_1) | instskip(NEXT) | instid1(SALU_CYCLE_1)
	s_xor_b64 s[38:39], s[38:39], s[36:37]
	s_mul_i32 s40, s38, s5
	s_mul_hi_u32 s41, s38, s19
	s_mul_hi_u32 s25, s38, s5
	;; [unrolled: 1-line block ×3, first 2 shown]
	s_mul_i32 s19, s39, s19
	s_add_u32 s40, s41, s40
	s_addc_u32 s25, 0, s25
	s_mul_hi_u32 s42, s39, s5
	s_add_u32 s19, s40, s19
	s_mul_i32 s5, s39, s5
	s_addc_u32 s19, s25, s43
	s_addc_u32 s25, s42, 0
	s_add_u32 s5, s19, s5
	s_addc_u32 s19, 0, s25
	s_mul_i32 s42, s34, s5
	s_mul_hi_u32 s25, s34, s5
	s_mul_i32 s41, s34, s19
	v_sub_co_u32 v1, s38, s38, s42
	s_mul_i32 s40, s35, s5
	s_add_i32 s25, s25, s41
	s_delay_alu instid0(SALU_CYCLE_1) | instskip(NEXT) | instid1(VALU_DEP_1)
	s_add_i32 s25, s25, s40
	v_sub_co_u32 v2, s41, v1, s34
	s_sub_i32 s40, s39, s25
	s_cmp_lg_u32 s38, 0
	s_subb_u32 s40, s40, s35
	s_cmp_lg_u32 s41, 0
	v_readfirstlane_b32 s41, v2
	s_subb_u32 s40, s40, 0
	s_delay_alu instid0(SALU_CYCLE_1) | instskip(SKIP_1) | instid1(VALU_DEP_1)
	s_cmp_ge_u32 s40, s35
	s_cselect_b32 s42, -1, 0
	s_cmp_ge_u32 s41, s34
	s_cselect_b32 s41, -1, 0
	s_cmp_eq_u32 s40, s35
	s_cselect_b32 s40, s41, s42
	s_add_u32 s41, s5, 1
	s_addc_u32 s42, s19, 0
	s_add_u32 s43, s5, 2
	s_addc_u32 s44, s19, 0
	s_cmp_lg_u32 s40, 0
	s_cselect_b32 s40, s43, s41
	s_cselect_b32 s41, s44, s42
	s_cmp_lg_u32 s38, 0
	v_readfirstlane_b32 s38, v1
	s_subb_u32 s25, s39, s25
	s_delay_alu instid0(SALU_CYCLE_1) | instskip(SKIP_1) | instid1(VALU_DEP_1)
	s_cmp_ge_u32 s25, s35
	s_cselect_b32 s39, -1, 0
	s_cmp_ge_u32 s38, s34
	s_cselect_b32 s34, -1, 0
	s_cmp_eq_u32 s25, s35
	s_cselect_b32 s25, s34, s39
	s_delay_alu instid0(SALU_CYCLE_1) | instskip(SKIP_3) | instid1(SALU_CYCLE_1)
	s_cmp_lg_u32 s25, 0
	s_cselect_b32 s35, s41, s19
	s_cselect_b32 s34, s40, s5
	s_xor_b64 s[6:7], s[36:37], s[6:7]
	s_xor_b64 s[34:35], s[34:35], s[6:7]
	s_delay_alu instid0(SALU_CYCLE_1)
	s_sub_u32 s6, s34, s6
	s_subb_u32 s7, s35, s7
	s_and_not1_b32 vcc_lo, exec_lo, s4
	s_cbranch_vccnz .LBB50_7
.LBB50_6:
	v_cvt_f32_u32_e32 v1, s2
	s_sub_i32 s5, 0, s2
	s_delay_alu instid0(VALU_DEP_1) | instskip(SKIP_2) | instid1(VALU_DEP_1)
	v_rcp_iflag_f32_e32 v1, v1
	s_waitcnt_depctr 0xfff
	v_mul_f32_e32 v1, 0x4f7ffffe, v1
	v_cvt_u32_f32_e32 v1, v1
	s_delay_alu instid0(VALU_DEP_1) | instskip(NEXT) | instid1(VALU_DEP_1)
	v_readfirstlane_b32 s4, v1
	s_mul_i32 s5, s5, s4
	s_delay_alu instid0(SALU_CYCLE_1) | instskip(NEXT) | instid1(SALU_CYCLE_1)
	s_mul_hi_u32 s5, s4, s5
	s_add_i32 s4, s4, s5
	s_delay_alu instid0(SALU_CYCLE_1) | instskip(NEXT) | instid1(SALU_CYCLE_1)
	s_mul_hi_u32 s4, s30, s4
	s_mul_i32 s5, s4, s2
	s_add_i32 s6, s4, 1
	s_sub_i32 s5, s30, s5
	s_delay_alu instid0(SALU_CYCLE_1)
	s_sub_i32 s7, s5, s2
	s_cmp_ge_u32 s5, s2
	s_cselect_b32 s4, s6, s4
	s_cselect_b32 s5, s7, s5
	s_add_i32 s6, s4, 1
	s_cmp_ge_u32 s5, s2
	s_mov_b32 s7, 0
	s_cselect_b32 s6, s6, s4
.LBB50_7:
	s_delay_alu instid0(SALU_CYCLE_1)
	s_mul_i32 s3, s6, s3
	s_mul_hi_u32 s4, s6, s2
	s_mul_hi_u32 s38, s6, s16
	s_add_i32 s3, s4, s3
	s_mul_i32 s4, s7, s2
	s_mul_i32 s2, s6, s2
	s_add_i32 s3, s3, s4
	s_sub_u32 s36, s30, s2
	s_subb_u32 s37, s31, s3
	s_mul_i32 s39, s7, s16
	s_mul_i32 s34, s6, s16
	s_mul_hi_u32 s7, s36, s17
	s_mul_i32 s37, s37, s17
	s_mul_i32 s30, s36, s17
	s_mov_b32 s40, exec_lo
	v_cmpx_gt_i32_e64 s24, v0
	s_cbranch_execz .LBB50_10
; %bb.8:
	s_mul_i32 s3, s20, s9
	s_mul_hi_u32 s4, s20, s8
	s_mul_i32 s2, s20, s8
	s_add_i32 s3, s4, s3
	s_ashr_i32 s25, s24, 31
	s_lshl_b64 s[2:3], s[2:3], 1
	s_load_b32 s41, s[0:1], 0x8c
	s_add_u32 s8, s12, s2
	s_addc_u32 s9, s13, s3
	s_ashr_i32 s4, s16, 31
	s_ashr_i32 s5, s17, 31
	s_mul_i32 s4, s6, s4
	s_mul_i32 s5, s36, s5
	s_add_i32 s4, s38, s4
	s_add_i32 s5, s7, s5
	;; [unrolled: 1-line block ×4, first 2 shown]
	s_lshl_b64 s[4:5], s[34:35], 1
	s_lshl_b64 s[42:43], s[30:31], 1
	v_dual_mov_b32 v2, v0 :: v_dual_lshlrev_b32 v1, 1, v0
	s_add_u32 s44, s4, s42
	s_addc_u32 s45, s5, s43
	s_add_u32 s31, s44, s22
	s_addc_u32 s35, s45, s23
	s_ashr_i32 s19, s18, 31
	s_delay_alu instid0(SALU_CYCLE_1) | instskip(NEXT) | instid1(SALU_CYCLE_1)
	s_lshl_b64 s[4:5], s[18:19], 1
	s_add_u32 s19, s31, s4
	s_addc_u32 s31, s35, s5
	s_waitcnt lgkmcnt(0)
	s_and_b32 s35, s41, 0xffff
	s_lshl_b64 s[42:43], s[24:25], 1
	s_lshl_b32 s25, s35, 1
	s_add_u32 s28, s28, s42
	s_addc_u32 s29, s29, s43
	s_add_u32 s26, s26, s28
	s_addc_u32 s27, s27, s29
	s_add_u32 s2, s2, s42
	s_addc_u32 s3, s3, s43
	s_add_u32 s12, s12, s2
	s_addc_u32 s13, s13, s3
	s_add_u32 s2, s44, s42
	s_addc_u32 s3, s45, s43
	s_add_u32 s2, s2, s4
	s_addc_u32 s3, s3, s5
	s_add_u32 s28, s22, s2
	s_mov_b32 s41, 0
	s_addc_u32 s29, s23, s3
.LBB50_9:                               ; =>This Inner Loop Header: Depth=1
	v_add_co_u32 v3, s2, s21, v1
	s_delay_alu instid0(VALU_DEP_1) | instskip(SKIP_1) | instid1(VALU_DEP_1)
	v_add_co_ci_u32_e64 v4, null, s33, 0, s2
	v_add_co_u32 v5, s2, s26, v1
	v_add_co_ci_u32_e64 v6, null, s27, 0, s2
	v_add_co_u32 v7, s2, s12, v1
	s_delay_alu instid0(VALU_DEP_1) | instskip(SKIP_1) | instid1(VALU_DEP_1)
	v_add_co_ci_u32_e64 v8, null, s13, 0, s2
	v_add_co_u32 v9, s2, s8, v1
	v_add_co_ci_u32_e64 v10, null, s9, 0, s2
	global_load_u16 v11, v[3:4], off
	global_load_u16 v12, v[5:6], off
	;; [unrolled: 1-line block ×4, first 2 shown]
	v_add_co_u32 v3, s2, s19, v1
	s_delay_alu instid0(VALU_DEP_1) | instskip(SKIP_1) | instid1(VALU_DEP_1)
	v_add_co_ci_u32_e64 v4, null, s31, 0, s2
	v_add_co_u32 v5, s2, s28, v1
	v_add_co_ci_u32_e64 v6, null, s29, 0, s2
	s_add_u32 s21, s21, s25
	s_addc_u32 s33, s33, 0
	s_add_u32 s26, s26, s25
	s_addc_u32 s27, s27, 0
	;; [unrolled: 2-line block ×6, first 2 shown]
	s_waitcnt vmcnt(3)
	v_cvt_f32_f16_e32 v15, v11
	s_waitcnt vmcnt(2)
	v_cvt_f32_f16_e32 v16, v12
	v_cmp_o_f16_e64 s2, v12, v12
	s_waitcnt vmcnt(0)
	v_lshlrev_b32_e32 v14, 16, v14
	v_cmp_o_f16_e64 s3, v11, v11
	v_bfe_u32 v17, v15, 16, 1
	v_bfe_u32 v18, v16, 16, 1
	s_delay_alu instid0(VALU_DEP_2) | instskip(NEXT) | instid1(VALU_DEP_2)
	v_add3_u32 v15, v15, v17, 0x7fff
	v_add3_u32 v16, v16, v18, 0x7fff
	s_delay_alu instid0(VALU_DEP_1) | instskip(NEXT) | instid1(VALU_DEP_1)
	v_and_b32_e32 v16, 0xffff0000, v16
	v_cndmask_b32_e64 v12, 0x7fc00000, v16, s2
	v_lshlrev_b32_e32 v13, 16, v13
	s_delay_alu instid0(VALU_DEP_1) | instskip(NEXT) | instid1(VALU_DEP_1)
	v_dual_mul_f32 v16, v12, v13 :: v_dual_and_b32 v15, 0xffff0000, v15
	v_cndmask_b32_e64 v11, 0x7fc00000, v15, s3
	v_mul_f32_e32 v12, v12, v14
	v_add_nc_u32_e32 v2, s35, v2
	s_delay_alu instid0(VALU_DEP_4) | instskip(NEXT) | instid1(VALU_DEP_4)
	v_cmp_o_f32_e64 s2, v16, v16
	v_mul_f32_e32 v15, v11, v14
	v_mul_f32_e32 v11, v11, v13
	v_bfe_u32 v14, v16, 16, 1
	v_bfe_u32 v18, v12, 16, 1
	v_cmp_o_f32_e64 s3, v12, v12
	v_bfe_u32 v13, v15, 16, 1
	v_bfe_u32 v17, v11, 16, 1
	v_add3_u32 v14, v16, v14, 0x7fff
	v_add3_u32 v18, v12, v18, 0x7fff
	v_cmp_o_f32_e64 s4, v11, v11
	v_add3_u32 v13, v15, v13, 0x7fff
	v_add3_u32 v17, v11, v17, 0x7fff
	v_and_b32_e32 v14, 0xffff0000, v14
	v_cmp_o_f32_e64 s5, v15, v15
	v_cmp_le_i32_e32 vcc_lo, s24, v2
	v_and_b32_e32 v13, 0xffff0000, v13
	v_and_b32_e32 v16, 0xffff0000, v17
	v_cndmask_b32_e64 v12, 0x7fc00000, v14, s2
	s_or_b32 s41, vcc_lo, s41
	s_delay_alu instid0(VALU_DEP_3) | instskip(NEXT) | instid1(VALU_DEP_3)
	v_cndmask_b32_e64 v11, 0x7fc00000, v13, s5
	v_cndmask_b32_e64 v14, 0x7fc00000, v16, s4
	v_and_b32_e32 v17, 0xffff0000, v18
	s_delay_alu instid0(VALU_DEP_3) | instskip(NEXT) | instid1(VALU_DEP_2)
	v_sub_f32_e32 v11, v11, v12
	v_cndmask_b32_e64 v13, 0x7fc00000, v17, s3
	s_delay_alu instid0(VALU_DEP_2) | instskip(NEXT) | instid1(VALU_DEP_2)
	v_cmp_o_f32_e64 s3, v11, v11
	v_add_f32_e32 v12, v14, v13
	v_bfe_u32 v13, v11, 16, 1
	s_delay_alu instid0(VALU_DEP_2) | instskip(NEXT) | instid1(VALU_DEP_2)
	v_bfe_u32 v14, v12, 16, 1
	v_add3_u32 v13, v11, v13, 0x7fff
	v_cmp_o_f32_e64 s2, v12, v12
	s_delay_alu instid0(VALU_DEP_3) | instskip(NEXT) | instid1(VALU_DEP_3)
	v_add3_u32 v14, v12, v14, 0x7fff
	v_lshrrev_b32_e32 v13, 16, v13
	s_delay_alu instid0(VALU_DEP_2) | instskip(NEXT) | instid1(VALU_DEP_2)
	v_lshrrev_b32_e32 v14, 16, v14
	v_cndmask_b32_e64 v11, 0x7fc0, v13, s3
	s_delay_alu instid0(VALU_DEP_2)
	v_cndmask_b32_e64 v12, 0x7fc0, v14, s2
	global_store_b16 v[9:10], v11, off
	global_store_b16 v[7:8], v12, off
	;; [unrolled: 1-line block ×4, first 2 shown]
	s_and_not1_b32 exec_lo, exec_lo, s41
	s_cbranch_execnz .LBB50_9
.LBB50_10:
	s_or_b32 exec_lo, exec_lo, s40
	s_delay_alu instid0(SALU_CYCLE_1)
	s_mov_b32 s2, exec_lo
	v_cmpx_gt_i32_e64 s18, v0
	s_cbranch_execz .LBB50_13
; %bb.11:
	s_mul_i32 s3, s20, s11
	s_mul_hi_u32 s4, s20, s10
	s_mul_i32 s2, s20, s10
	s_add_i32 s3, s4, s3
	s_delay_alu instid0(SALU_CYCLE_1) | instskip(NEXT) | instid1(SALU_CYCLE_1)
	s_lshl_b64 s[2:3], s[2:3], 1
	s_add_u32 s2, s14, s2
	s_addc_u32 s3, s15, s3
	s_ashr_i32 s4, s16, 31
	s_delay_alu instid0(SALU_CYCLE_1) | instskip(SKIP_2) | instid1(SALU_CYCLE_1)
	s_mul_i32 s4, s6, s4
	s_load_b32 s6, s[0:1], 0x8c
	s_add_i32 s0, s38, s4
	s_add_i32 s35, s0, s39
	s_delay_alu instid0(SALU_CYCLE_1) | instskip(NEXT) | instid1(SALU_CYCLE_1)
	s_lshl_b64 s[0:1], s[34:35], 1
	s_add_u32 s0, s22, s0
	s_addc_u32 s8, s23, s1
	s_ashr_i32 s1, s17, 31
	s_delay_alu instid0(SALU_CYCLE_1) | instskip(NEXT) | instid1(SALU_CYCLE_1)
	s_mul_i32 s36, s36, s1
	s_add_i32 s1, s7, s36
	s_delay_alu instid0(SALU_CYCLE_1) | instskip(NEXT) | instid1(SALU_CYCLE_1)
	s_add_i32 s31, s1, s37
	s_lshl_b64 s[4:5], s[30:31], 1
	s_delay_alu instid0(SALU_CYCLE_1)
	s_add_u32 s1, s0, s4
	s_addc_u32 s4, s8, s5
	s_waitcnt lgkmcnt(0)
	s_and_b32 s5, s6, 0xffff
	s_mov_b32 s6, 0
	.p2align	6
.LBB50_12:                              ; =>This Inner Loop Header: Depth=1
	v_ashrrev_i32_e32 v1, 31, v0
	s_delay_alu instid0(VALU_DEP_1) | instskip(SKIP_1) | instid1(VALU_DEP_2)
	v_lshlrev_b64 v[1:2], 1, v[0:1]
	v_add_nc_u32_e32 v0, s5, v0
	v_add_co_u32 v3, vcc_lo, s2, v1
	s_delay_alu instid0(VALU_DEP_3) | instskip(NEXT) | instid1(VALU_DEP_3)
	v_add_co_ci_u32_e32 v4, vcc_lo, s3, v2, vcc_lo
	v_cmp_le_i32_e32 vcc_lo, s18, v0
	v_add_co_u32 v1, s0, s1, v1
	global_load_u16 v3, v[3:4], off
	v_add_co_ci_u32_e64 v2, s0, s4, v2, s0
	s_or_b32 s6, vcc_lo, s6
	s_waitcnt vmcnt(0)
	global_store_b16 v[1:2], v3, off
	s_and_not1_b32 exec_lo, exec_lo, s6
	s_cbranch_execnz .LBB50_12
.LBB50_13:
	s_nop 0
	s_sendmsg sendmsg(MSG_DEALLOC_VGPRS)
	s_endpgm
.LBB50_14:
                                        ; implicit-def: $sgpr6_sgpr7
	s_branch .LBB50_6
	.section	.rodata,"a",@progbits
	.p2align	6, 0x0
	.amdhsa_kernel _ZN4vllm38concat_and_cache_mla_rope_fused_kernelIN3c108BFloat16ENS1_4HalfELb1E14__hip_bfloat16S4_LNS_18Fp8KVCacheDataTypeE0EEEvPKlPT_S9_PKS8_PKT0_illlliPT3_S7_iiiiPKf
		.amdhsa_group_segment_fixed_size 0
		.amdhsa_private_segment_fixed_size 0
		.amdhsa_kernarg_size 384
		.amdhsa_user_sgpr_count 15
		.amdhsa_user_sgpr_dispatch_ptr 0
		.amdhsa_user_sgpr_queue_ptr 0
		.amdhsa_user_sgpr_kernarg_segment_ptr 1
		.amdhsa_user_sgpr_dispatch_id 0
		.amdhsa_user_sgpr_private_segment_size 0
		.amdhsa_wavefront_size32 1
		.amdhsa_uses_dynamic_stack 0
		.amdhsa_enable_private_segment 0
		.amdhsa_system_sgpr_workgroup_id_x 1
		.amdhsa_system_sgpr_workgroup_id_y 0
		.amdhsa_system_sgpr_workgroup_id_z 0
		.amdhsa_system_sgpr_workgroup_info 0
		.amdhsa_system_vgpr_workitem_id 0
		.amdhsa_next_free_vgpr 19
		.amdhsa_next_free_sgpr 46
		.amdhsa_reserve_vcc 1
		.amdhsa_float_round_mode_32 0
		.amdhsa_float_round_mode_16_64 0
		.amdhsa_float_denorm_mode_32 3
		.amdhsa_float_denorm_mode_16_64 3
		.amdhsa_dx10_clamp 1
		.amdhsa_ieee_mode 1
		.amdhsa_fp16_overflow 0
		.amdhsa_workgroup_processor_mode 1
		.amdhsa_memory_ordered 1
		.amdhsa_forward_progress 0
		.amdhsa_shared_vgpr_count 0
		.amdhsa_exception_fp_ieee_invalid_op 0
		.amdhsa_exception_fp_denorm_src 0
		.amdhsa_exception_fp_ieee_div_zero 0
		.amdhsa_exception_fp_ieee_overflow 0
		.amdhsa_exception_fp_ieee_underflow 0
		.amdhsa_exception_fp_ieee_inexact 0
		.amdhsa_exception_int_div_zero 0
	.end_amdhsa_kernel
	.section	.text._ZN4vllm38concat_and_cache_mla_rope_fused_kernelIN3c108BFloat16ENS1_4HalfELb1E14__hip_bfloat16S4_LNS_18Fp8KVCacheDataTypeE0EEEvPKlPT_S9_PKS8_PKT0_illlliPT3_S7_iiiiPKf,"axG",@progbits,_ZN4vllm38concat_and_cache_mla_rope_fused_kernelIN3c108BFloat16ENS1_4HalfELb1E14__hip_bfloat16S4_LNS_18Fp8KVCacheDataTypeE0EEEvPKlPT_S9_PKS8_PKT0_illlliPT3_S7_iiiiPKf,comdat
.Lfunc_end50:
	.size	_ZN4vllm38concat_and_cache_mla_rope_fused_kernelIN3c108BFloat16ENS1_4HalfELb1E14__hip_bfloat16S4_LNS_18Fp8KVCacheDataTypeE0EEEvPKlPT_S9_PKS8_PKT0_illlliPT3_S7_iiiiPKf, .Lfunc_end50-_ZN4vllm38concat_and_cache_mla_rope_fused_kernelIN3c108BFloat16ENS1_4HalfELb1E14__hip_bfloat16S4_LNS_18Fp8KVCacheDataTypeE0EEEvPKlPT_S9_PKS8_PKT0_illlliPT3_S7_iiiiPKf
                                        ; -- End function
	.section	.AMDGPU.csdata,"",@progbits
; Kernel info:
; codeLenInByte = 3192
; NumSgprs: 48
; NumVgprs: 19
; ScratchSize: 0
; MemoryBound: 0
; FloatMode: 240
; IeeeMode: 1
; LDSByteSize: 0 bytes/workgroup (compile time only)
; SGPRBlocks: 5
; VGPRBlocks: 2
; NumSGPRsForWavesPerEU: 48
; NumVGPRsForWavesPerEU: 19
; Occupancy: 16
; WaveLimiterHint : 1
; COMPUTE_PGM_RSRC2:SCRATCH_EN: 0
; COMPUTE_PGM_RSRC2:USER_SGPR: 15
; COMPUTE_PGM_RSRC2:TRAP_HANDLER: 0
; COMPUTE_PGM_RSRC2:TGID_X_EN: 1
; COMPUTE_PGM_RSRC2:TGID_Y_EN: 0
; COMPUTE_PGM_RSRC2:TGID_Z_EN: 0
; COMPUTE_PGM_RSRC2:TIDIG_COMP_CNT: 0
	.section	.text._ZN4vllm38concat_and_cache_mla_rope_fused_kernelIN3c108BFloat16ENS1_4HalfELb0E14__hip_bfloat16S4_LNS_18Fp8KVCacheDataTypeE0EEEvPKlPT_S9_PKS8_PKT0_illlliPT3_S7_iiiiPKf,"axG",@progbits,_ZN4vllm38concat_and_cache_mla_rope_fused_kernelIN3c108BFloat16ENS1_4HalfELb0E14__hip_bfloat16S4_LNS_18Fp8KVCacheDataTypeE0EEEvPKlPT_S9_PKS8_PKT0_illlliPT3_S7_iiiiPKf,comdat
	.protected	_ZN4vllm38concat_and_cache_mla_rope_fused_kernelIN3c108BFloat16ENS1_4HalfELb0E14__hip_bfloat16S4_LNS_18Fp8KVCacheDataTypeE0EEEvPKlPT_S9_PKS8_PKT0_illlliPT3_S7_iiiiPKf ; -- Begin function _ZN4vllm38concat_and_cache_mla_rope_fused_kernelIN3c108BFloat16ENS1_4HalfELb0E14__hip_bfloat16S4_LNS_18Fp8KVCacheDataTypeE0EEEvPKlPT_S9_PKS8_PKT0_illlliPT3_S7_iiiiPKf
	.globl	_ZN4vllm38concat_and_cache_mla_rope_fused_kernelIN3c108BFloat16ENS1_4HalfELb0E14__hip_bfloat16S4_LNS_18Fp8KVCacheDataTypeE0EEEvPKlPT_S9_PKS8_PKT0_illlliPT3_S7_iiiiPKf
	.p2align	8
	.type	_ZN4vllm38concat_and_cache_mla_rope_fused_kernelIN3c108BFloat16ENS1_4HalfELb0E14__hip_bfloat16S4_LNS_18Fp8KVCacheDataTypeE0EEEvPKlPT_S9_PKS8_PKT0_illlliPT3_S7_iiiiPKf,@function
_ZN4vllm38concat_and_cache_mla_rope_fused_kernelIN3c108BFloat16ENS1_4HalfELb0E14__hip_bfloat16S4_LNS_18Fp8KVCacheDataTypeE0EEEvPKlPT_S9_PKS8_PKT0_illlliPT3_S7_iiiiPKf: ; @_ZN4vllm38concat_and_cache_mla_rope_fused_kernelIN3c108BFloat16ENS1_4HalfELb0E14__hip_bfloat16S4_LNS_18Fp8KVCacheDataTypeE0EEEvPKlPT_S9_PKS8_PKT0_illlliPT3_S7_iiiiPKf
; %bb.0:
	s_load_b64 s[4:5], s[0:1], 0x60
	s_mov_b32 s16, s15
	s_mov_b32 s17, 0
	s_delay_alu instid0(SALU_CYCLE_1)
	s_lshl_b64 s[2:3], s[16:17], 3
	s_waitcnt lgkmcnt(0)
	s_add_u32 s4, s4, s2
	s_addc_u32 s5, s5, s3
	s_load_b64 s[24:25], s[4:5], 0x0
	s_waitcnt lgkmcnt(0)
	v_cmp_lt_i64_e64 s4, s[24:25], 0
	s_delay_alu instid0(VALU_DEP_1)
	s_and_b32 vcc_lo, exec_lo, s4
	s_cbranch_vccnz .LBB51_13
; %bb.1:
	s_clause 0x3
	s_load_b32 s17, s[0:1], 0x28
	s_load_b64 s[4:5], s[0:1], 0x0
	s_load_b128 s[12:15], s[0:1], 0x10
	s_load_b32 s21, s[0:1], 0x50
	v_lshlrev_b32_e32 v3, 1, v0
	s_waitcnt lgkmcnt(0)
	s_ashr_i32 s28, s17, 31
	s_add_u32 s2, s4, s2
	s_addc_u32 s3, s5, s3
	s_load_b64 s[26:27], s[2:3], 0x0
	s_clause 0x2
	s_load_b64 s[22:23], s[0:1], 0x20
	s_load_b64 s[18:19], s[0:1], 0x58
	s_load_b256 s[4:11], s[0:1], 0x30
	s_lshr_b32 s2, s17, 31
	s_delay_alu instid0(SALU_CYCLE_1) | instskip(NEXT) | instid1(SALU_CYCLE_1)
	s_add_i32 s2, s17, s2
	s_ashr_i32 s20, s2, 1
	s_delay_alu instid0(SALU_CYCLE_1)
	s_mul_i32 s3, s20, s21
	s_waitcnt lgkmcnt(0)
	s_mul_i32 s2, s26, s28
	s_mul_hi_u32 s21, s26, s17
	s_mul_i32 s27, s27, s17
	s_add_i32 s2, s21, s2
	s_mul_i32 s26, s26, s17
	s_add_i32 s27, s2, s27
	s_mov_b32 s17, exec_lo
	v_cmpx_gt_i32_e64 s3, v0
	s_cbranch_execz .LBB51_4
; %bb.2:
	s_load_b64 s[30:31], s[0:1], 0x8
	s_lshl_b64 s[28:29], s[26:27], 1
	s_mul_i32 s2, s16, s5
	s_mul_hi_u32 s5, s16, s4
	s_add_u32 s28, s22, s28
	s_mul_i32 s4, s16, s4
	s_addc_u32 s29, s23, s29
	s_add_i32 s5, s5, s2
	s_load_b32 s2, s[0:1], 0x8c
	s_lshl_b64 s[4:5], s[4:5], 1
	s_ashr_i32 s21, s20, 31
	s_mov_b32 s34, 0
	s_waitcnt lgkmcnt(0)
	s_add_u32 s30, s30, s4
	s_addc_u32 s31, s31, s5
	s_abs_i32 s33, s20
	s_sub_i32 s36, 0, s20
	v_cvt_f32_u32_e32 v1, s33
	s_sub_i32 s4, 0, s33
	s_and_b32 s35, s2, 0xffff
	s_delay_alu instid0(VALU_DEP_1)
	v_rcp_iflag_f32_e32 v1, v1
	s_lshl_b32 s2, s20, 1
	s_lshl_b32 s38, s35, 1
	s_sub_i32 s37, 0, s2
	s_waitcnt_depctr 0xfff
	v_mul_f32_e32 v1, 0x4f7ffffe, v1
	s_delay_alu instid0(VALU_DEP_1) | instskip(NEXT) | instid1(VALU_DEP_1)
	v_cvt_u32_f32_e32 v2, v1
	v_mul_lo_u32 v1, s4, v2
	s_lshl_b64 s[4:5], s[20:21], 1
	s_delay_alu instid0(VALU_DEP_1) | instskip(NEXT) | instid1(VALU_DEP_1)
	v_mul_hi_u32 v4, v2, v1
	v_dual_mov_b32 v1, v3 :: v_dual_add_nc_u32 v4, v2, v4
	v_mov_b32_e32 v2, v0
.LBB51_3:                               ; =>This Inner Loop Header: Depth=1
	s_delay_alu instid0(VALU_DEP_1) | instskip(SKIP_1) | instid1(VALU_DEP_2)
	v_sub_nc_u32_e32 v5, 0, v2
	v_ashrrev_i32_e32 v6, 31, v2
	v_max_i32_e32 v5, v2, v5
	s_delay_alu instid0(VALU_DEP_2) | instskip(NEXT) | instid1(VALU_DEP_2)
	v_xor_b32_e32 v6, s21, v6
	v_mul_hi_u32 v7, v5, v4
	s_delay_alu instid0(VALU_DEP_1) | instskip(SKIP_1) | instid1(VALU_DEP_2)
	v_mul_lo_u32 v8, v7, s33
	v_add_nc_u32_e32 v9, 1, v7
	v_sub_nc_u32_e32 v5, v5, v8
	s_delay_alu instid0(VALU_DEP_1) | instskip(SKIP_1) | instid1(VALU_DEP_4)
	v_subrev_nc_u32_e32 v8, s33, v5
	v_cmp_le_u32_e32 vcc_lo, s33, v5
	v_cndmask_b32_e32 v7, v7, v9, vcc_lo
	s_delay_alu instid0(VALU_DEP_1) | instskip(NEXT) | instid1(VALU_DEP_1)
	v_dual_cndmask_b32 v5, v5, v8 :: v_dual_add_nc_u32 v8, 1, v7
	v_cmp_le_u32_e32 vcc_lo, s33, v5
	s_delay_alu instid0(VALU_DEP_2) | instskip(NEXT) | instid1(VALU_DEP_1)
	v_cndmask_b32_e32 v5, v7, v8, vcc_lo
	v_xor_b32_e32 v5, v5, v6
	s_delay_alu instid0(VALU_DEP_1) | instskip(NEXT) | instid1(VALU_DEP_1)
	v_sub_nc_u32_e32 v11, v5, v6
	v_mad_u64_u32 v[5:6], null, s36, v11, v[2:3]
	v_ashrrev_i32_e32 v6, 31, v11
	v_mul_lo_u32 v12, v11, s7
	v_mad_u64_u32 v[7:8], null, v11, s6, 0
	v_mad_u64_u32 v[9:10], null, s37, v11, v[1:2]
	s_delay_alu instid0(VALU_DEP_4) | instskip(SKIP_3) | instid1(VALU_DEP_3)
	v_mul_lo_u32 v11, v6, s6
	v_ashrrev_i32_e32 v6, 31, v5
	v_add_nc_u32_e32 v2, s35, v2
	v_add_nc_u32_e32 v1, s38, v1
	v_lshlrev_b64 v[5:6], 1, v[5:6]
	v_ashrrev_i32_e32 v10, 31, v9
	v_add3_u32 v8, v8, v12, v11
	s_delay_alu instid0(VALU_DEP_3) | instskip(NEXT) | instid1(VALU_DEP_4)
	v_add_co_u32 v5, vcc_lo, s28, v5
	v_add_co_ci_u32_e32 v6, vcc_lo, s29, v6, vcc_lo
	s_delay_alu instid0(VALU_DEP_3)
	v_lshlrev_b64 v[7:8], 1, v[7:8]
	v_lshlrev_b64 v[9:10], 1, v[9:10]
	global_load_u16 v11, v[5:6], off
	v_add_co_u32 v5, vcc_lo, v5, s4
	v_add_co_ci_u32_e32 v6, vcc_lo, s5, v6, vcc_lo
	v_add_co_u32 v7, vcc_lo, s30, v7
	v_add_co_ci_u32_e32 v8, vcc_lo, s31, v8, vcc_lo
	global_load_u16 v12, v[5:6], off
	v_add_co_u32 v5, vcc_lo, v7, v9
	v_add_co_ci_u32_e32 v6, vcc_lo, v8, v10, vcc_lo
	global_load_b32 v7, v[5:6], off
	s_waitcnt vmcnt(2)
	v_cvt_f32_f16_e32 v8, v11
	v_cmp_o_f16_e32 vcc_lo, v11, v11
	s_delay_alu instid0(VALU_DEP_2) | instskip(SKIP_2) | instid1(VALU_DEP_2)
	v_bfe_u32 v10, v8, 16, 1
	s_waitcnt vmcnt(1)
	v_cvt_f32_f16_e32 v9, v12
	v_add3_u32 v8, v8, v10, 0x7fff
	s_delay_alu instid0(VALU_DEP_2) | instskip(NEXT) | instid1(VALU_DEP_2)
	v_bfe_u32 v10, v9, 16, 1
	v_and_b32_e32 v8, 0xffff0000, v8
	s_waitcnt vmcnt(0)
	v_lshlrev_b32_e32 v13, 16, v7
	v_and_b32_e32 v7, 0xffff0000, v7
	v_add3_u32 v9, v9, v10, 0x7fff
	v_cndmask_b32_e32 v8, 0x7fc00000, v8, vcc_lo
	v_cmp_o_f16_e32 vcc_lo, v12, v12
	s_delay_alu instid0(VALU_DEP_3) | instskip(NEXT) | instid1(VALU_DEP_3)
	v_and_b32_e32 v9, 0xffff0000, v9
	v_mul_f32_e32 v10, v8, v13
	s_delay_alu instid0(VALU_DEP_2) | instskip(NEXT) | instid1(VALU_DEP_2)
	v_dual_mul_f32 v8, v8, v7 :: v_dual_cndmask_b32 v9, 0x7fc00000, v9
	v_bfe_u32 v11, v10, 16, 1
	s_delay_alu instid0(VALU_DEP_2) | instskip(SKIP_2) | instid1(VALU_DEP_4)
	v_bfe_u32 v12, v8, 16, 1
	v_cmp_o_f32_e32 vcc_lo, v10, v10
	v_cmp_o_f32_e64 s2, v8, v8
	v_add3_u32 v11, v10, v11, 0x7fff
	s_delay_alu instid0(VALU_DEP_4) | instskip(SKIP_2) | instid1(VALU_DEP_4)
	v_add3_u32 v12, v8, v12, 0x7fff
	v_mul_f32_e32 v7, v9, v7
	v_mul_f32_e32 v9, v9, v13
	v_and_b32_e32 v11, 0xffff0000, v11
	s_delay_alu instid0(VALU_DEP_4) | instskip(NEXT) | instid1(VALU_DEP_4)
	v_and_b32_e32 v12, 0xffff0000, v12
	v_bfe_u32 v13, v7, 16, 1
	s_delay_alu instid0(VALU_DEP_4) | instskip(NEXT) | instid1(VALU_DEP_4)
	v_bfe_u32 v14, v9, 16, 1
	v_cndmask_b32_e32 v11, 0x7fc00000, v11, vcc_lo
	s_delay_alu instid0(VALU_DEP_4) | instskip(NEXT) | instid1(VALU_DEP_4)
	v_cndmask_b32_e64 v12, 0x7fc00000, v12, s2
	v_add3_u32 v13, v7, v13, 0x7fff
	s_delay_alu instid0(VALU_DEP_4) | instskip(SKIP_1) | instid1(VALU_DEP_3)
	v_add3_u32 v14, v9, v14, 0x7fff
	v_cmp_o_f32_e64 s2, v7, v7
	v_and_b32_e32 v8, 0xffff0000, v13
	s_delay_alu instid0(VALU_DEP_3) | instskip(SKIP_1) | instid1(VALU_DEP_3)
	v_and_b32_e32 v10, 0xffff0000, v14
	v_cmp_o_f32_e32 vcc_lo, v9, v9
	v_cndmask_b32_e64 v7, 0x7fc00000, v8, s2
	s_delay_alu instid0(VALU_DEP_1) | instskip(NEXT) | instid1(VALU_DEP_1)
	v_dual_cndmask_b32 v8, 0x7fc00000, v10 :: v_dual_sub_f32 v7, v11, v7
	v_add_f32_e32 v8, v12, v8
	s_delay_alu instid0(VALU_DEP_2) | instskip(SKIP_1) | instid1(VALU_DEP_3)
	v_bfe_u32 v9, v7, 16, 1
	v_cmp_o_f32_e64 s2, v7, v7
	v_bfe_u32 v10, v8, 16, 1
	v_cmp_o_f32_e32 vcc_lo, v8, v8
	s_delay_alu instid0(VALU_DEP_4) | instskip(NEXT) | instid1(VALU_DEP_3)
	v_add3_u32 v9, v7, v9, 0x7fff
	v_add3_u32 v10, v8, v10, 0x7fff
	s_delay_alu instid0(VALU_DEP_2) | instskip(NEXT) | instid1(VALU_DEP_2)
	v_lshrrev_b32_e32 v9, 16, v9
	v_lshrrev_b32_e32 v10, 16, v10
	s_delay_alu instid0(VALU_DEP_2) | instskip(NEXT) | instid1(VALU_DEP_2)
	v_cndmask_b32_e64 v7, 0x7fc0, v9, s2
	v_cndmask_b32_e32 v8, 0x7fc0, v10, vcc_lo
	v_cmp_le_i32_e32 vcc_lo, s3, v2
	s_delay_alu instid0(VALU_DEP_2)
	v_perm_b32 v7, v8, v7, 0x5040100
	s_or_b32 s34, vcc_lo, s34
	global_store_b32 v[5:6], v7, off
	s_and_not1_b32 exec_lo, exec_lo, s34
	s_cbranch_execnz .LBB51_3
.LBB51_4:
	s_or_b32 exec_lo, exec_lo, s17
	s_load_b128 s[4:7], s[0:1], 0x68
	s_waitcnt lgkmcnt(0)
	s_ashr_i32 s3, s7, 31
	s_mov_b32 s2, s7
	s_delay_alu instid0(SALU_CYCLE_1) | instskip(SKIP_1) | instid1(SALU_CYCLE_1)
	s_or_b64 s[30:31], s[24:25], s[2:3]
	s_mov_b32 s30, 0
	s_cmp_lg_u64 s[30:31], 0
	s_cbranch_scc0 .LBB51_14
; %bb.5:
	s_add_u32 s34, s2, s3
	s_mov_b32 s28, s3
	s_mov_b32 s29, s3
	s_addc_u32 s35, s3, s3
	s_delay_alu instid0(SALU_CYCLE_1) | instskip(NEXT) | instid1(SALU_CYCLE_1)
	s_xor_b64 s[34:35], s[34:35], s[28:29]
	v_cvt_f32_u32_e32 v1, s34
	v_cvt_f32_u32_e32 v2, s35
	s_sub_u32 s21, 0, s34
	s_subb_u32 s31, 0, s35
	s_delay_alu instid0(VALU_DEP_1) | instskip(NEXT) | instid1(VALU_DEP_1)
	v_fmamk_f32 v1, v2, 0x4f800000, v1
	v_rcp_f32_e32 v1, v1
	s_waitcnt_depctr 0xfff
	v_mul_f32_e32 v1, 0x5f7ffffc, v1
	s_delay_alu instid0(VALU_DEP_1) | instskip(NEXT) | instid1(VALU_DEP_1)
	v_mul_f32_e32 v2, 0x2f800000, v1
	v_trunc_f32_e32 v2, v2
	s_delay_alu instid0(VALU_DEP_1) | instskip(SKIP_1) | instid1(VALU_DEP_2)
	v_fmamk_f32 v1, v2, 0xcf800000, v1
	v_cvt_u32_f32_e32 v2, v2
	v_cvt_u32_f32_e32 v1, v1
	s_delay_alu instid0(VALU_DEP_2) | instskip(NEXT) | instid1(VALU_DEP_2)
	v_readfirstlane_b32 s7, v2
	v_readfirstlane_b32 s17, v1
	s_delay_alu instid0(VALU_DEP_2) | instskip(NEXT) | instid1(VALU_DEP_1)
	s_mul_i32 s33, s21, s7
	s_mul_hi_u32 s37, s21, s17
	s_mul_i32 s36, s31, s17
	s_add_i32 s33, s37, s33
	s_mul_i32 s38, s21, s17
	s_add_i32 s33, s33, s36
	s_mul_hi_u32 s37, s17, s38
	s_mul_hi_u32 s39, s7, s38
	s_mul_i32 s36, s7, s38
	s_mul_hi_u32 s38, s17, s33
	s_mul_i32 s17, s17, s33
	s_mul_hi_u32 s40, s7, s33
	s_add_u32 s17, s37, s17
	s_addc_u32 s37, 0, s38
	s_add_u32 s17, s17, s36
	s_mul_i32 s33, s7, s33
	s_addc_u32 s17, s37, s39
	s_addc_u32 s36, s40, 0
	s_add_u32 s17, s17, s33
	s_addc_u32 s33, 0, s36
	v_add_co_u32 v1, s17, v1, s17
	s_delay_alu instid0(VALU_DEP_1) | instskip(SKIP_1) | instid1(VALU_DEP_1)
	s_cmp_lg_u32 s17, 0
	s_addc_u32 s7, s7, s33
	v_readfirstlane_b32 s17, v1
	s_mul_i32 s33, s21, s7
	s_delay_alu instid0(VALU_DEP_1)
	s_mul_hi_u32 s36, s21, s17
	s_mul_i32 s31, s31, s17
	s_add_i32 s33, s36, s33
	s_mul_i32 s21, s21, s17
	s_add_i32 s33, s33, s31
	s_mul_hi_u32 s36, s7, s21
	s_mul_i32 s37, s7, s21
	s_mul_hi_u32 s21, s17, s21
	s_mul_hi_u32 s38, s17, s33
	s_mul_i32 s17, s17, s33
	s_mul_hi_u32 s31, s7, s33
	s_add_u32 s17, s21, s17
	s_addc_u32 s21, 0, s38
	s_add_u32 s17, s17, s37
	s_mul_i32 s33, s7, s33
	s_addc_u32 s17, s21, s36
	s_addc_u32 s21, s31, 0
	s_add_u32 s17, s17, s33
	s_addc_u32 s21, 0, s21
	v_add_co_u32 v1, s17, v1, s17
	s_delay_alu instid0(VALU_DEP_1) | instskip(SKIP_2) | instid1(VALU_DEP_1)
	s_cmp_lg_u32 s17, 0
	s_addc_u32 s7, s7, s21
	s_ashr_i32 s36, s25, 31
	v_readfirstlane_b32 s17, v1
	s_add_u32 s38, s24, s36
	s_mov_b32 s37, s36
	s_addc_u32 s39, s25, s36
	s_delay_alu instid0(SALU_CYCLE_1) | instskip(NEXT) | instid1(SALU_CYCLE_1)
	s_xor_b64 s[38:39], s[38:39], s[36:37]
	s_mul_i32 s31, s38, s7
	s_mul_hi_u32 s33, s38, s17
	s_mul_hi_u32 s21, s38, s7
	;; [unrolled: 1-line block ×3, first 2 shown]
	s_mul_i32 s17, s39, s17
	s_add_u32 s31, s33, s31
	s_addc_u32 s21, 0, s21
	s_mul_hi_u32 s40, s39, s7
	s_add_u32 s17, s31, s17
	s_mul_i32 s7, s39, s7
	s_addc_u32 s17, s21, s41
	s_addc_u32 s21, s40, 0
	s_add_u32 s7, s17, s7
	s_addc_u32 s17, 0, s21
	s_mul_hi_u32 s21, s34, s7
	s_mul_i32 s33, s34, s17
	s_mul_i32 s40, s34, s7
	s_add_i32 s21, s21, s33
	v_sub_co_u32 v1, s33, s38, s40
	s_mul_i32 s31, s35, s7
	s_delay_alu instid0(SALU_CYCLE_1) | instskip(NEXT) | instid1(VALU_DEP_1)
	s_add_i32 s21, s21, s31
	v_sub_co_u32 v2, s38, v1, s34
	s_sub_i32 s31, s39, s21
	s_cmp_lg_u32 s33, 0
	s_subb_u32 s31, s31, s35
	s_cmp_lg_u32 s38, 0
	v_readfirstlane_b32 s38, v2
	s_subb_u32 s31, s31, 0
	s_delay_alu instid0(SALU_CYCLE_1) | instskip(SKIP_1) | instid1(VALU_DEP_1)
	s_cmp_ge_u32 s31, s35
	s_cselect_b32 s40, -1, 0
	s_cmp_ge_u32 s38, s34
	s_cselect_b32 s38, -1, 0
	s_cmp_eq_u32 s31, s35
	s_cselect_b32 s31, s38, s40
	s_add_u32 s38, s7, 1
	s_addc_u32 s40, s17, 0
	s_add_u32 s41, s7, 2
	s_addc_u32 s42, s17, 0
	s_cmp_lg_u32 s31, 0
	s_cselect_b32 s31, s41, s38
	s_cselect_b32 s38, s42, s40
	s_cmp_lg_u32 s33, 0
	v_readfirstlane_b32 s33, v1
	s_subb_u32 s21, s39, s21
	s_delay_alu instid0(SALU_CYCLE_1) | instskip(SKIP_1) | instid1(VALU_DEP_1)
	s_cmp_ge_u32 s21, s35
	s_cselect_b32 s39, -1, 0
	s_cmp_ge_u32 s33, s34
	s_cselect_b32 s33, -1, 0
	s_cmp_eq_u32 s21, s35
	s_cselect_b32 s21, s33, s39
	s_delay_alu instid0(SALU_CYCLE_1) | instskip(SKIP_3) | instid1(SALU_CYCLE_1)
	s_cmp_lg_u32 s21, 0
	s_cselect_b32 s35, s38, s17
	s_cselect_b32 s34, s31, s7
	s_xor_b64 s[28:29], s[36:37], s[28:29]
	s_xor_b64 s[34:35], s[34:35], s[28:29]
	s_delay_alu instid0(SALU_CYCLE_1)
	s_sub_u32 s28, s34, s28
	s_subb_u32 s29, s35, s29
	s_and_not1_b32 vcc_lo, exec_lo, s30
	s_cbranch_vccnz .LBB51_7
.LBB51_6:
	v_cvt_f32_u32_e32 v1, s2
	s_sub_i32 s17, 0, s2
	s_mov_b32 s29, 0
	s_delay_alu instid0(VALU_DEP_1) | instskip(SKIP_2) | instid1(VALU_DEP_1)
	v_rcp_iflag_f32_e32 v1, v1
	s_waitcnt_depctr 0xfff
	v_mul_f32_e32 v1, 0x4f7ffffe, v1
	v_cvt_u32_f32_e32 v1, v1
	s_delay_alu instid0(VALU_DEP_1) | instskip(NEXT) | instid1(VALU_DEP_1)
	v_readfirstlane_b32 s7, v1
	s_mul_i32 s17, s17, s7
	s_delay_alu instid0(SALU_CYCLE_1) | instskip(NEXT) | instid1(SALU_CYCLE_1)
	s_mul_hi_u32 s17, s7, s17
	s_add_i32 s7, s7, s17
	s_delay_alu instid0(SALU_CYCLE_1) | instskip(NEXT) | instid1(SALU_CYCLE_1)
	s_mul_hi_u32 s7, s24, s7
	s_mul_i32 s17, s7, s2
	s_add_i32 s21, s7, 1
	s_sub_i32 s17, s24, s17
	s_delay_alu instid0(SALU_CYCLE_1)
	s_sub_i32 s28, s17, s2
	s_cmp_ge_u32 s17, s2
	s_cselect_b32 s7, s21, s7
	s_cselect_b32 s17, s28, s17
	s_add_i32 s21, s7, 1
	s_cmp_ge_u32 s17, s2
	s_cselect_b32 s28, s21, s7
.LBB51_7:
	s_delay_alu instid0(SALU_CYCLE_1)
	s_mul_i32 s3, s28, s3
	s_mul_hi_u32 s7, s28, s2
	s_mul_hi_u32 s34, s28, s4
	s_add_i32 s3, s7, s3
	s_mul_i32 s7, s29, s2
	s_mul_i32 s2, s28, s2
	s_add_i32 s3, s3, s7
	s_sub_u32 s17, s24, s2
	s_subb_u32 s33, s25, s3
	s_mul_i32 s35, s29, s4
	s_mul_i32 s30, s28, s4
	s_mul_hi_u32 s29, s17, s5
	s_mul_i32 s33, s33, s5
	s_mul_i32 s24, s17, s5
	s_mov_b32 s36, exec_lo
	v_cmpx_gt_i32_e64 s20, v0
	s_cbranch_execz .LBB51_10
; %bb.8:
	s_load_b32 s25, s[0:1], 0x8c
	s_lshl_b64 s[2:3], s[26:27], 1
	s_ashr_i32 s21, s20, 31
	s_ashr_i32 s31, s4, 31
	;; [unrolled: 1-line block ×4, first 2 shown]
	s_mul_i32 s9, s9, s16
	s_mul_hi_u32 s27, s8, s16
	s_mul_i32 s38, s8, s16
	s_mul_i32 s31, s28, s31
	;; [unrolled: 1-line block ×3, first 2 shown]
	v_lshlrev_b32_e32 v5, 2, v0
	v_mov_b32_e32 v7, v0
	s_waitcnt lgkmcnt(0)
	s_and_b32 s26, s25, 0xffff
	s_add_u32 s25, s22, s2
	s_addc_u32 s23, s23, s3
	s_add_i32 s39, s27, s9
	s_lshl_b64 s[8:9], s[20:21], 1
	s_lshl_b64 s[2:3], s[38:39], 1
	v_add_co_u32 v1, s21, s25, v3
	s_lshl_b32 s22, s26, 1
	v_add_co_ci_u32_e64 v2, null, s23, 0, s21
	s_add_u32 s23, s12, s2
	s_addc_u32 s27, s13, s3
	s_add_i32 s2, s34, s31
	s_add_i32 s3, s29, s37
	;; [unrolled: 1-line block ×4, first 2 shown]
	s_lshl_b64 s[2:3], s[30:31], 1
	s_lshl_b64 s[12:13], s[24:25], 1
	s_lshl_b32 s21, s26, 2
	s_add_u32 s12, s2, s12
	s_addc_u32 s13, s3, s13
	s_lshl_b64 s[2:3], s[6:7], 1
	v_add_co_u32 v3, s7, s23, v5
	s_add_u32 s2, s18, s2
	s_addc_u32 s3, s19, s3
	s_add_u32 s2, s2, s12
	s_addc_u32 s3, s3, s13
	v_add_co_u32 v5, s2, s2, v5
	v_add_co_ci_u32_e64 v4, null, s27, 0, s7
	v_add_co_ci_u32_e64 v6, null, s3, 0, s2
	s_mov_b32 s7, 0
	s_mov_b64 s[12:13], 0
.LBB51_9:                               ; =>This Inner Loop Header: Depth=1
	global_load_u16 v12, v[1:2], off
	v_add_co_u32 v8, vcc_lo, v1, s8
	v_add_co_ci_u32_e32 v9, vcc_lo, s9, v2, vcc_lo
	v_add_co_u32 v10, vcc_lo, v3, s12
	v_add_co_ci_u32_e32 v11, vcc_lo, s13, v4, vcc_lo
	global_load_u16 v8, v[8:9], off
	global_load_b32 v9, v[10:11], off
	v_add_nc_u32_e32 v7, s26, v7
	s_waitcnt vmcnt(2)
	v_cvt_f32_f16_e32 v13, v12
	v_cmp_o_f16_e32 vcc_lo, v12, v12
	s_delay_alu instid0(VALU_DEP_2) | instskip(SKIP_2) | instid1(VALU_DEP_2)
	v_bfe_u32 v14, v13, 16, 1
	s_waitcnt vmcnt(1)
	v_cvt_f32_f16_e32 v15, v8
	v_add3_u32 v13, v13, v14, 0x7fff
	s_waitcnt vmcnt(0)
	v_lshlrev_b32_e32 v16, 16, v9
	s_delay_alu instid0(VALU_DEP_3) | instskip(NEXT) | instid1(VALU_DEP_3)
	v_bfe_u32 v14, v15, 16, 1
	v_and_b32_e32 v13, 0xffff0000, v13
	s_delay_alu instid0(VALU_DEP_2) | instskip(NEXT) | instid1(VALU_DEP_2)
	v_add3_u32 v14, v15, v14, 0x7fff
	v_cndmask_b32_e32 v12, 0x7fc00000, v13, vcc_lo
	v_and_b32_e32 v9, 0xffff0000, v9
	v_cmp_o_f16_e32 vcc_lo, v8, v8
	s_delay_alu instid0(VALU_DEP_3) | instskip(NEXT) | instid1(VALU_DEP_3)
	v_dual_mul_f32 v8, v12, v16 :: v_dual_and_b32 v13, 0xffff0000, v14
	v_mul_f32_e32 v12, v12, v9
	s_delay_alu instid0(VALU_DEP_2) | instskip(NEXT) | instid1(VALU_DEP_3)
	v_cndmask_b32_e32 v13, 0x7fc00000, v13, vcc_lo
	v_bfe_u32 v14, v8, 16, 1
	s_delay_alu instid0(VALU_DEP_3) | instskip(SKIP_2) | instid1(VALU_DEP_4)
	v_bfe_u32 v15, v12, 16, 1
	v_cmp_o_f32_e32 vcc_lo, v8, v8
	v_cmp_o_f32_e64 s2, v12, v12
	v_add3_u32 v14, v8, v14, 0x7fff
	v_mul_f32_e32 v9, v13, v9
	v_mul_f32_e32 v13, v13, v16
	v_add3_u32 v15, v12, v15, 0x7fff
	s_delay_alu instid0(VALU_DEP_4) | instskip(NEXT) | instid1(VALU_DEP_4)
	v_and_b32_e32 v14, 0xffff0000, v14
	v_bfe_u32 v16, v9, 16, 1
	s_delay_alu instid0(VALU_DEP_4) | instskip(NEXT) | instid1(VALU_DEP_4)
	v_bfe_u32 v17, v13, 16, 1
	v_and_b32_e32 v15, 0xffff0000, v15
	s_delay_alu instid0(VALU_DEP_4) | instskip(NEXT) | instid1(VALU_DEP_4)
	v_cndmask_b32_e32 v14, 0x7fc00000, v14, vcc_lo
	v_add3_u32 v16, v9, v16, 0x7fff
	s_delay_alu instid0(VALU_DEP_4) | instskip(SKIP_3) | instid1(VALU_DEP_4)
	v_add3_u32 v17, v13, v17, 0x7fff
	v_cmp_o_f32_e32 vcc_lo, v13, v13
	v_cndmask_b32_e64 v15, 0x7fc00000, v15, s2
	v_cmp_o_f32_e64 s2, v9, v9
	v_and_b32_e32 v12, 0xffff0000, v17
	s_delay_alu instid0(VALU_DEP_1) | instskip(NEXT) | instid1(VALU_DEP_1)
	v_cndmask_b32_e32 v9, 0x7fc00000, v12, vcc_lo
	v_dual_add_f32 v13, v15, v9 :: v_dual_and_b32 v8, 0xffff0000, v16
	s_delay_alu instid0(VALU_DEP_1) | instskip(NEXT) | instid1(VALU_DEP_2)
	v_cndmask_b32_e64 v8, 0x7fc00000, v8, s2
	v_bfe_u32 v15, v13, 16, 1
	s_delay_alu instid0(VALU_DEP_2) | instskip(SKIP_2) | instid1(VALU_DEP_4)
	v_sub_f32_e32 v12, v14, v8
	v_cmp_o_f32_e64 s2, v13, v13
	v_add_co_u32 v8, vcc_lo, v5, s12
	v_add3_u32 v15, v13, v15, 0x7fff
	s_delay_alu instid0(VALU_DEP_4) | instskip(SKIP_2) | instid1(VALU_DEP_4)
	v_bfe_u32 v14, v12, 16, 1
	v_cmp_o_f32_e64 s3, v12, v12
	v_add_co_ci_u32_e32 v9, vcc_lo, s13, v6, vcc_lo
	v_lshrrev_b32_e32 v15, 16, v15
	s_delay_alu instid0(VALU_DEP_4) | instskip(SKIP_2) | instid1(VALU_DEP_3)
	v_add3_u32 v14, v12, v14, 0x7fff
	v_add_co_u32 v1, vcc_lo, v1, s22
	v_add_co_ci_u32_e32 v2, vcc_lo, 0, v2, vcc_lo
	v_lshrrev_b32_e32 v14, 16, v14
	v_cndmask_b32_e64 v13, 0x7fc0, v15, s2
	v_cmp_le_i32_e32 vcc_lo, s20, v7
	s_add_u32 s12, s12, s21
	s_addc_u32 s13, s13, 0
	v_cndmask_b32_e64 v12, 0x7fc0, v14, s3
	s_or_b32 s7, vcc_lo, s7
	s_delay_alu instid0(VALU_DEP_1)
	v_perm_b32 v12, v13, v12, 0x5040100
	global_store_b32 v[10:11], v12, off
	global_store_b32 v[8:9], v12, off
	s_and_not1_b32 exec_lo, exec_lo, s7
	s_cbranch_execnz .LBB51_9
.LBB51_10:
	s_or_b32 exec_lo, exec_lo, s36
	s_delay_alu instid0(SALU_CYCLE_1)
	s_mov_b32 s2, exec_lo
	v_cmpx_gt_i32_e64 s6, v0
	s_cbranch_execz .LBB51_13
; %bb.11:
	s_mul_i32 s3, s16, s11
	s_mul_hi_u32 s7, s16, s10
	s_mul_i32 s2, s16, s10
	s_add_i32 s3, s7, s3
	s_load_b32 s7, s[0:1], 0x8c
	s_lshl_b64 s[2:3], s[2:3], 1
	s_delay_alu instid0(SALU_CYCLE_1) | instskip(SKIP_2) | instid1(SALU_CYCLE_1)
	s_add_u32 s2, s14, s2
	s_addc_u32 s3, s15, s3
	s_ashr_i32 s4, s4, 31
	s_mul_i32 s4, s28, s4
	s_delay_alu instid0(SALU_CYCLE_1) | instskip(NEXT) | instid1(SALU_CYCLE_1)
	s_add_i32 s0, s34, s4
	s_add_i32 s31, s0, s35
	s_delay_alu instid0(SALU_CYCLE_1) | instskip(NEXT) | instid1(SALU_CYCLE_1)
	s_lshl_b64 s[0:1], s[30:31], 1
	s_add_u32 s0, s18, s0
	s_addc_u32 s8, s19, s1
	s_ashr_i32 s1, s5, 31
	s_delay_alu instid0(SALU_CYCLE_1) | instskip(NEXT) | instid1(SALU_CYCLE_1)
	s_mul_i32 s17, s17, s1
	s_add_i32 s1, s29, s17
	s_delay_alu instid0(SALU_CYCLE_1) | instskip(NEXT) | instid1(SALU_CYCLE_1)
	s_add_i32 s25, s1, s33
	s_lshl_b64 s[4:5], s[24:25], 1
	s_delay_alu instid0(SALU_CYCLE_1)
	s_add_u32 s1, s0, s4
	s_addc_u32 s4, s8, s5
	s_waitcnt lgkmcnt(0)
	s_and_b32 s5, s7, 0xffff
	s_mov_b32 s7, 0
	.p2align	6
.LBB51_12:                              ; =>This Inner Loop Header: Depth=1
	v_ashrrev_i32_e32 v1, 31, v0
	s_delay_alu instid0(VALU_DEP_1) | instskip(SKIP_1) | instid1(VALU_DEP_2)
	v_lshlrev_b64 v[1:2], 1, v[0:1]
	v_add_nc_u32_e32 v0, s5, v0
	v_add_co_u32 v3, vcc_lo, s2, v1
	s_delay_alu instid0(VALU_DEP_3) | instskip(NEXT) | instid1(VALU_DEP_3)
	v_add_co_ci_u32_e32 v4, vcc_lo, s3, v2, vcc_lo
	v_cmp_le_i32_e32 vcc_lo, s6, v0
	v_add_co_u32 v1, s0, s1, v1
	global_load_u16 v3, v[3:4], off
	v_add_co_ci_u32_e64 v2, s0, s4, v2, s0
	s_or_b32 s7, vcc_lo, s7
	s_waitcnt vmcnt(0)
	global_store_b16 v[1:2], v3, off
	s_and_not1_b32 exec_lo, exec_lo, s7
	s_cbranch_execnz .LBB51_12
.LBB51_13:
	s_nop 0
	s_sendmsg sendmsg(MSG_DEALLOC_VGPRS)
	s_endpgm
.LBB51_14:
                                        ; implicit-def: $sgpr28_sgpr29
	s_branch .LBB51_6
	.section	.rodata,"a",@progbits
	.p2align	6, 0x0
	.amdhsa_kernel _ZN4vllm38concat_and_cache_mla_rope_fused_kernelIN3c108BFloat16ENS1_4HalfELb0E14__hip_bfloat16S4_LNS_18Fp8KVCacheDataTypeE0EEEvPKlPT_S9_PKS8_PKT0_illlliPT3_S7_iiiiPKf
		.amdhsa_group_segment_fixed_size 0
		.amdhsa_private_segment_fixed_size 0
		.amdhsa_kernarg_size 384
		.amdhsa_user_sgpr_count 15
		.amdhsa_user_sgpr_dispatch_ptr 0
		.amdhsa_user_sgpr_queue_ptr 0
		.amdhsa_user_sgpr_kernarg_segment_ptr 1
		.amdhsa_user_sgpr_dispatch_id 0
		.amdhsa_user_sgpr_private_segment_size 0
		.amdhsa_wavefront_size32 1
		.amdhsa_uses_dynamic_stack 0
		.amdhsa_enable_private_segment 0
		.amdhsa_system_sgpr_workgroup_id_x 1
		.amdhsa_system_sgpr_workgroup_id_y 0
		.amdhsa_system_sgpr_workgroup_id_z 0
		.amdhsa_system_sgpr_workgroup_info 0
		.amdhsa_system_vgpr_workitem_id 0
		.amdhsa_next_free_vgpr 18
		.amdhsa_next_free_sgpr 43
		.amdhsa_reserve_vcc 1
		.amdhsa_float_round_mode_32 0
		.amdhsa_float_round_mode_16_64 0
		.amdhsa_float_denorm_mode_32 3
		.amdhsa_float_denorm_mode_16_64 3
		.amdhsa_dx10_clamp 1
		.amdhsa_ieee_mode 1
		.amdhsa_fp16_overflow 0
		.amdhsa_workgroup_processor_mode 1
		.amdhsa_memory_ordered 1
		.amdhsa_forward_progress 0
		.amdhsa_shared_vgpr_count 0
		.amdhsa_exception_fp_ieee_invalid_op 0
		.amdhsa_exception_fp_denorm_src 0
		.amdhsa_exception_fp_ieee_div_zero 0
		.amdhsa_exception_fp_ieee_overflow 0
		.amdhsa_exception_fp_ieee_underflow 0
		.amdhsa_exception_fp_ieee_inexact 0
		.amdhsa_exception_int_div_zero 0
	.end_amdhsa_kernel
	.section	.text._ZN4vllm38concat_and_cache_mla_rope_fused_kernelIN3c108BFloat16ENS1_4HalfELb0E14__hip_bfloat16S4_LNS_18Fp8KVCacheDataTypeE0EEEvPKlPT_S9_PKS8_PKT0_illlliPT3_S7_iiiiPKf,"axG",@progbits,_ZN4vllm38concat_and_cache_mla_rope_fused_kernelIN3c108BFloat16ENS1_4HalfELb0E14__hip_bfloat16S4_LNS_18Fp8KVCacheDataTypeE0EEEvPKlPT_S9_PKS8_PKT0_illlliPT3_S7_iiiiPKf,comdat
.Lfunc_end51:
	.size	_ZN4vllm38concat_and_cache_mla_rope_fused_kernelIN3c108BFloat16ENS1_4HalfELb0E14__hip_bfloat16S4_LNS_18Fp8KVCacheDataTypeE0EEEvPKlPT_S9_PKS8_PKT0_illlliPT3_S7_iiiiPKf, .Lfunc_end51-_ZN4vllm38concat_and_cache_mla_rope_fused_kernelIN3c108BFloat16ENS1_4HalfELb0E14__hip_bfloat16S4_LNS_18Fp8KVCacheDataTypeE0EEEvPKlPT_S9_PKS8_PKT0_illlliPT3_S7_iiiiPKf
                                        ; -- End function
	.section	.AMDGPU.csdata,"",@progbits
; Kernel info:
; codeLenInByte = 3088
; NumSgprs: 45
; NumVgprs: 18
; ScratchSize: 0
; MemoryBound: 0
; FloatMode: 240
; IeeeMode: 1
; LDSByteSize: 0 bytes/workgroup (compile time only)
; SGPRBlocks: 5
; VGPRBlocks: 2
; NumSGPRsForWavesPerEU: 45
; NumVGPRsForWavesPerEU: 18
; Occupancy: 16
; WaveLimiterHint : 1
; COMPUTE_PGM_RSRC2:SCRATCH_EN: 0
; COMPUTE_PGM_RSRC2:USER_SGPR: 15
; COMPUTE_PGM_RSRC2:TRAP_HANDLER: 0
; COMPUTE_PGM_RSRC2:TGID_X_EN: 1
; COMPUTE_PGM_RSRC2:TGID_Y_EN: 0
; COMPUTE_PGM_RSRC2:TGID_Z_EN: 0
; COMPUTE_PGM_RSRC2:TIDIG_COMP_CNT: 0
	.section	.text._ZN4vllm38concat_and_cache_mla_rope_fused_kernelIN3c108BFloat16ES2_Lb1E14__hip_bfloat16S3_LNS_18Fp8KVCacheDataTypeE0EEEvPKlPT_S8_PKS7_PKT0_illlliPT3_S6_iiiiPKf,"axG",@progbits,_ZN4vllm38concat_and_cache_mla_rope_fused_kernelIN3c108BFloat16ES2_Lb1E14__hip_bfloat16S3_LNS_18Fp8KVCacheDataTypeE0EEEvPKlPT_S8_PKS7_PKT0_illlliPT3_S6_iiiiPKf,comdat
	.protected	_ZN4vllm38concat_and_cache_mla_rope_fused_kernelIN3c108BFloat16ES2_Lb1E14__hip_bfloat16S3_LNS_18Fp8KVCacheDataTypeE0EEEvPKlPT_S8_PKS7_PKT0_illlliPT3_S6_iiiiPKf ; -- Begin function _ZN4vllm38concat_and_cache_mla_rope_fused_kernelIN3c108BFloat16ES2_Lb1E14__hip_bfloat16S3_LNS_18Fp8KVCacheDataTypeE0EEEvPKlPT_S8_PKS7_PKT0_illlliPT3_S6_iiiiPKf
	.globl	_ZN4vllm38concat_and_cache_mla_rope_fused_kernelIN3c108BFloat16ES2_Lb1E14__hip_bfloat16S3_LNS_18Fp8KVCacheDataTypeE0EEEvPKlPT_S8_PKS7_PKT0_illlliPT3_S6_iiiiPKf
	.p2align	8
	.type	_ZN4vllm38concat_and_cache_mla_rope_fused_kernelIN3c108BFloat16ES2_Lb1E14__hip_bfloat16S3_LNS_18Fp8KVCacheDataTypeE0EEEvPKlPT_S8_PKS7_PKT0_illlliPT3_S6_iiiiPKf,@function
_ZN4vllm38concat_and_cache_mla_rope_fused_kernelIN3c108BFloat16ES2_Lb1E14__hip_bfloat16S3_LNS_18Fp8KVCacheDataTypeE0EEEvPKlPT_S8_PKS7_PKT0_illlliPT3_S6_iiiiPKf: ; @_ZN4vllm38concat_and_cache_mla_rope_fused_kernelIN3c108BFloat16ES2_Lb1E14__hip_bfloat16S3_LNS_18Fp8KVCacheDataTypeE0EEEvPKlPT_S8_PKS7_PKT0_illlliPT3_S6_iiiiPKf
; %bb.0:
	s_load_b64 s[4:5], s[0:1], 0x60
	s_mov_b32 s20, s15
	s_mov_b32 s21, 0
	s_delay_alu instid0(SALU_CYCLE_1)
	s_lshl_b64 s[2:3], s[20:21], 3
	s_waitcnt lgkmcnt(0)
	s_add_u32 s4, s4, s2
	s_addc_u32 s5, s5, s3
	s_load_b64 s[30:31], s[4:5], 0x0
	s_waitcnt lgkmcnt(0)
	v_cmp_lt_i64_e64 s4, s[30:31], 0
	s_delay_alu instid0(VALU_DEP_1)
	s_and_b32 vcc_lo, exec_lo, s4
	s_cbranch_vccnz .LBB52_13
; %bb.1:
	s_clause 0x2
	s_load_b32 s16, s[0:1], 0x28
	s_load_b64 s[4:5], s[0:1], 0x0
	s_load_b128 s[12:15], s[0:1], 0x10
	s_waitcnt lgkmcnt(0)
	s_ashr_i32 s17, s16, 31
	s_add_u32 s2, s4, s2
	s_addc_u32 s3, s5, s3
	s_load_b64 s[2:3], s[2:3], 0x0
	s_clause 0x3
	s_load_b64 s[26:27], s[0:1], 0x20
	s_load_b32 s18, s[0:1], 0x50
	s_load_b64 s[22:23], s[0:1], 0x58
	s_load_b256 s[4:11], s[0:1], 0x30
	s_waitcnt lgkmcnt(0)
	s_mul_i32 s17, s2, s17
	s_mul_hi_u32 s19, s2, s16
	s_mul_i32 s3, s3, s16
	s_add_i32 s17, s19, s17
	s_mul_i32 s2, s2, s16
	s_add_i32 s3, s17, s3
	s_mov_b32 s17, exec_lo
	s_lshl_b64 s[28:29], s[2:3], 1
	s_delay_alu instid0(SALU_CYCLE_1) | instskip(SKIP_2) | instid1(SALU_CYCLE_1)
	s_add_u32 s21, s26, s28
	s_addc_u32 s33, s27, s29
	s_lshr_b32 s2, s16, 31
	s_add_i32 s16, s16, s2
	s_delay_alu instid0(SALU_CYCLE_1) | instskip(NEXT) | instid1(SALU_CYCLE_1)
	s_ashr_i32 s24, s16, 1
	s_mul_i32 s16, s24, s18
	s_delay_alu instid0(SALU_CYCLE_1)
	v_cmpx_gt_i32_e64 s16, v0
	s_cbranch_execz .LBB52_4
; %bb.2:
	s_clause 0x1
	s_load_b64 s[2:3], s[0:1], 0x8
	s_load_b32 s35, s[0:1], 0x8c
	s_mul_i32 s5, s20, s5
	s_mul_hi_u32 s18, s20, s4
	s_mul_i32 s4, s20, s4
	s_add_i32 s5, s18, s5
	s_ashr_i32 s25, s24, 31
	s_lshl_b64 s[4:5], s[4:5], 1
	s_mov_b32 s36, 0
	s_waitcnt lgkmcnt(0)
	s_add_u32 s18, s2, s4
	s_addc_u32 s19, s3, s5
	s_abs_i32 s34, s24
	s_and_b32 s35, s35, 0xffff
	v_cvt_f32_u32_e32 v1, s34
	s_sub_i32 s2, 0, s34
	s_sub_i32 s37, 0, s24
	s_lshl_b64 s[4:5], s[24:25], 1
	s_delay_alu instid0(VALU_DEP_1) | instskip(SKIP_2) | instid1(VALU_DEP_1)
	v_rcp_iflag_f32_e32 v1, v1
	s_waitcnt_depctr 0xfff
	v_mul_f32_e32 v1, 0x4f7ffffe, v1
	v_cvt_u32_f32_e32 v1, v1
	s_delay_alu instid0(VALU_DEP_1) | instskip(NEXT) | instid1(VALU_DEP_1)
	v_mul_lo_u32 v2, s2, v1
	v_mul_hi_u32 v2, v1, v2
	s_delay_alu instid0(VALU_DEP_1)
	v_dual_mov_b32 v1, v0 :: v_dual_add_nc_u32 v2, v1, v2
.LBB52_3:                               ; =>This Inner Loop Header: Depth=1
	s_delay_alu instid0(VALU_DEP_1) | instskip(SKIP_1) | instid1(VALU_DEP_2)
	v_sub_nc_u32_e32 v3, 0, v1
	v_ashrrev_i32_e32 v4, 31, v1
	v_max_i32_e32 v3, v1, v3
	s_delay_alu instid0(VALU_DEP_2) | instskip(NEXT) | instid1(VALU_DEP_2)
	v_xor_b32_e32 v4, s25, v4
	v_mul_hi_u32 v5, v3, v2
	s_delay_alu instid0(VALU_DEP_1) | instskip(SKIP_1) | instid1(VALU_DEP_2)
	v_mul_lo_u32 v6, v5, s34
	v_add_nc_u32_e32 v7, 1, v5
	v_sub_nc_u32_e32 v3, v3, v6
	s_delay_alu instid0(VALU_DEP_1) | instskip(SKIP_1) | instid1(VALU_DEP_4)
	v_subrev_nc_u32_e32 v6, s34, v3
	v_cmp_le_u32_e32 vcc_lo, s34, v3
	v_cndmask_b32_e32 v5, v5, v7, vcc_lo
	s_delay_alu instid0(VALU_DEP_1) | instskip(NEXT) | instid1(VALU_DEP_1)
	v_dual_cndmask_b32 v3, v3, v6 :: v_dual_add_nc_u32 v6, 1, v5
	v_cmp_le_u32_e32 vcc_lo, s34, v3
	s_delay_alu instid0(VALU_DEP_2) | instskip(NEXT) | instid1(VALU_DEP_1)
	v_cndmask_b32_e32 v3, v5, v6, vcc_lo
	v_xor_b32_e32 v3, v3, v4
	s_delay_alu instid0(VALU_DEP_1) | instskip(NEXT) | instid1(VALU_DEP_1)
	v_sub_nc_u32_e32 v7, v3, v4
	v_mad_u64_u32 v[3:4], null, s37, v7, v[1:2]
	v_ashrrev_i32_e32 v8, 31, v7
	v_mul_lo_u32 v9, v7, s7
	v_mad_u64_u32 v[5:6], null, v7, s6, 0
	v_add_nc_u32_e32 v1, s35, v1
	s_delay_alu instid0(VALU_DEP_4) | instskip(SKIP_1) | instid1(VALU_DEP_1)
	v_mul_lo_u32 v7, v8, s6
	v_ashrrev_i32_e32 v4, 31, v3
	v_lshlrev_b64 v[3:4], 1, v[3:4]
	s_delay_alu instid0(VALU_DEP_3) | instskip(NEXT) | instid1(VALU_DEP_2)
	v_add3_u32 v6, v6, v9, v7
	v_add_co_u32 v7, vcc_lo, s21, v3
	s_delay_alu instid0(VALU_DEP_2) | instskip(NEXT) | instid1(VALU_DEP_4)
	v_lshlrev_b64 v[5:6], 1, v[5:6]
	v_add_co_ci_u32_e32 v8, vcc_lo, s33, v4, vcc_lo
	s_delay_alu instid0(VALU_DEP_3) | instskip(NEXT) | instid1(VALU_DEP_2)
	v_add_co_u32 v9, vcc_lo, v7, s4
	v_add_co_ci_u32_e32 v10, vcc_lo, s5, v8, vcc_lo
	s_delay_alu instid0(VALU_DEP_4)
	v_add_co_u32 v5, vcc_lo, s18, v5
	v_add_co_ci_u32_e32 v6, vcc_lo, s19, v6, vcc_lo
	global_load_u16 v7, v[7:8], off
	v_add_co_u32 v3, vcc_lo, v5, v3
	v_add_co_ci_u32_e32 v4, vcc_lo, v6, v4, vcc_lo
	global_load_u16 v8, v[9:10], off
	v_add_co_u32 v5, vcc_lo, v3, s4
	v_add_co_ci_u32_e32 v6, vcc_lo, s5, v4, vcc_lo
	s_clause 0x1
	global_load_u16 v9, v[3:4], off
	global_load_u16 v10, v[5:6], off
	s_waitcnt vmcnt(3)
	v_lshlrev_b32_e32 v7, 16, v7
	s_waitcnt vmcnt(2)
	v_lshlrev_b32_e32 v8, 16, v8
	;; [unrolled: 2-line block ×3, first 2 shown]
	s_waitcnt vmcnt(0)
	s_delay_alu instid0(VALU_DEP_1) | instskip(SKIP_1) | instid1(VALU_DEP_2)
	v_dual_mul_f32 v11, v7, v9 :: v_dual_lshlrev_b32 v10, 16, v10
	v_mul_f32_e32 v9, v8, v9
	v_mul_f32_e32 v8, v8, v10
	v_mul_f32_e32 v7, v7, v10
	s_delay_alu instid0(VALU_DEP_4) | instskip(NEXT) | instid1(VALU_DEP_4)
	v_bfe_u32 v12, v11, 16, 1
	v_bfe_u32 v10, v9, 16, 1
	s_delay_alu instid0(VALU_DEP_4) | instskip(NEXT) | instid1(VALU_DEP_4)
	v_bfe_u32 v13, v8, 16, 1
	v_bfe_u32 v14, v7, 16, 1
	v_cmp_o_f32_e64 s2, v11, v11
	v_add3_u32 v12, v11, v12, 0x7fff
	v_add3_u32 v10, v9, v10, 0x7fff
	;; [unrolled: 1-line block ×4, first 2 shown]
	s_delay_alu instid0(VALU_DEP_4) | instskip(NEXT) | instid1(VALU_DEP_4)
	v_and_b32_e32 v12, 0xffff0000, v12
	v_and_b32_e32 v10, 0xffff0000, v10
	v_cmp_o_f32_e32 vcc_lo, v9, v9
	v_and_b32_e32 v9, 0xffff0000, v13
	s_delay_alu instid0(VALU_DEP_4) | instskip(SKIP_3) | instid1(VALU_DEP_3)
	v_cndmask_b32_e64 v11, 0x7fc00000, v12, s2
	v_cmp_o_f32_e64 s2, v8, v8
	v_cndmask_b32_e32 v10, 0x7fc00000, v10, vcc_lo
	v_cmp_o_f32_e32 vcc_lo, v7, v7
	v_cndmask_b32_e64 v7, 0x7fc00000, v9, s2
	s_delay_alu instid0(VALU_DEP_1) | instskip(NEXT) | instid1(VALU_DEP_1)
	v_dual_sub_f32 v7, v11, v7 :: v_dual_and_b32 v12, 0xffff0000, v14
	v_cndmask_b32_e32 v8, 0x7fc00000, v12, vcc_lo
	v_cmp_le_i32_e32 vcc_lo, s16, v1
	s_delay_alu instid0(VALU_DEP_3) | instskip(NEXT) | instid1(VALU_DEP_3)
	v_bfe_u32 v9, v7, 16, 1
	v_add_f32_e32 v8, v10, v8
	v_cmp_o_f32_e64 s3, v7, v7
	s_or_b32 s36, vcc_lo, s36
	s_delay_alu instid0(VALU_DEP_3) | instskip(NEXT) | instid1(VALU_DEP_3)
	v_add3_u32 v9, v7, v9, 0x7fff
	v_bfe_u32 v10, v8, 16, 1
	v_cmp_o_f32_e64 s2, v8, v8
	s_delay_alu instid0(VALU_DEP_3) | instskip(NEXT) | instid1(VALU_DEP_3)
	v_lshrrev_b32_e32 v9, 16, v9
	v_add3_u32 v10, v8, v10, 0x7fff
	s_delay_alu instid0(VALU_DEP_2) | instskip(NEXT) | instid1(VALU_DEP_2)
	v_cndmask_b32_e64 v7, 0x7fc0, v9, s3
	v_lshrrev_b32_e32 v10, 16, v10
	s_delay_alu instid0(VALU_DEP_1)
	v_cndmask_b32_e64 v8, 0x7fc0, v10, s2
	s_clause 0x1
	global_store_b16 v[3:4], v7, off
	global_store_b16 v[5:6], v8, off
	s_and_not1_b32 exec_lo, exec_lo, s36
	s_cbranch_execnz .LBB52_3
.LBB52_4:
	s_or_b32 exec_lo, exec_lo, s17
	s_load_b128 s[16:19], s[0:1], 0x68
	s_waitcnt lgkmcnt(0)
	s_ashr_i32 s3, s19, 31
	s_mov_b32 s2, s19
	s_delay_alu instid0(SALU_CYCLE_1) | instskip(SKIP_1) | instid1(SALU_CYCLE_1)
	s_or_b64 s[4:5], s[30:31], s[2:3]
	s_mov_b32 s4, 0
	s_cmp_lg_u64 s[4:5], 0
	s_cbranch_scc0 .LBB52_14
; %bb.5:
	s_add_u32 s34, s2, s3
	s_mov_b32 s6, s3
	s_mov_b32 s7, s3
	s_addc_u32 s35, s3, s3
	s_delay_alu instid0(SALU_CYCLE_1) | instskip(NEXT) | instid1(SALU_CYCLE_1)
	s_xor_b64 s[34:35], s[34:35], s[6:7]
	v_cvt_f32_u32_e32 v1, s34
	v_cvt_f32_u32_e32 v2, s35
	s_sub_u32 s25, 0, s34
	s_subb_u32 s36, 0, s35
	s_delay_alu instid0(VALU_DEP_1) | instskip(NEXT) | instid1(VALU_DEP_1)
	v_fmamk_f32 v1, v2, 0x4f800000, v1
	v_rcp_f32_e32 v1, v1
	s_waitcnt_depctr 0xfff
	v_mul_f32_e32 v1, 0x5f7ffffc, v1
	s_delay_alu instid0(VALU_DEP_1) | instskip(NEXT) | instid1(VALU_DEP_1)
	v_mul_f32_e32 v2, 0x2f800000, v1
	v_trunc_f32_e32 v2, v2
	s_delay_alu instid0(VALU_DEP_1) | instskip(SKIP_1) | instid1(VALU_DEP_2)
	v_fmamk_f32 v1, v2, 0xcf800000, v1
	v_cvt_u32_f32_e32 v2, v2
	v_cvt_u32_f32_e32 v1, v1
	s_delay_alu instid0(VALU_DEP_2) | instskip(NEXT) | instid1(VALU_DEP_2)
	v_readfirstlane_b32 s5, v2
	v_readfirstlane_b32 s19, v1
	s_delay_alu instid0(VALU_DEP_2) | instskip(NEXT) | instid1(VALU_DEP_1)
	s_mul_i32 s37, s25, s5
	s_mul_hi_u32 s39, s25, s19
	s_mul_i32 s38, s36, s19
	s_add_i32 s37, s39, s37
	s_mul_i32 s40, s25, s19
	s_add_i32 s37, s37, s38
	s_mul_hi_u32 s39, s19, s40
	s_mul_hi_u32 s41, s5, s40
	s_mul_i32 s38, s5, s40
	s_mul_hi_u32 s40, s19, s37
	s_mul_i32 s19, s19, s37
	s_mul_hi_u32 s42, s5, s37
	s_add_u32 s19, s39, s19
	s_addc_u32 s39, 0, s40
	s_add_u32 s19, s19, s38
	s_mul_i32 s37, s5, s37
	s_addc_u32 s19, s39, s41
	s_addc_u32 s38, s42, 0
	s_add_u32 s19, s19, s37
	s_addc_u32 s37, 0, s38
	v_add_co_u32 v1, s19, v1, s19
	s_delay_alu instid0(VALU_DEP_1) | instskip(SKIP_1) | instid1(VALU_DEP_1)
	s_cmp_lg_u32 s19, 0
	s_addc_u32 s5, s5, s37
	v_readfirstlane_b32 s19, v1
	s_mul_i32 s37, s25, s5
	s_delay_alu instid0(VALU_DEP_1)
	s_mul_hi_u32 s38, s25, s19
	s_mul_i32 s36, s36, s19
	s_add_i32 s37, s38, s37
	s_mul_i32 s25, s25, s19
	s_add_i32 s37, s37, s36
	s_mul_hi_u32 s38, s5, s25
	s_mul_i32 s39, s5, s25
	s_mul_hi_u32 s25, s19, s25
	s_mul_hi_u32 s40, s19, s37
	s_mul_i32 s19, s19, s37
	s_mul_hi_u32 s36, s5, s37
	s_add_u32 s19, s25, s19
	s_addc_u32 s25, 0, s40
	s_add_u32 s19, s19, s39
	s_mul_i32 s37, s5, s37
	s_addc_u32 s19, s25, s38
	s_addc_u32 s25, s36, 0
	s_add_u32 s19, s19, s37
	s_addc_u32 s25, 0, s25
	v_add_co_u32 v1, s19, v1, s19
	s_delay_alu instid0(VALU_DEP_1) | instskip(SKIP_2) | instid1(VALU_DEP_1)
	s_cmp_lg_u32 s19, 0
	s_addc_u32 s5, s5, s25
	s_ashr_i32 s36, s31, 31
	v_readfirstlane_b32 s19, v1
	s_add_u32 s38, s30, s36
	s_mov_b32 s37, s36
	s_addc_u32 s39, s31, s36
	s_delay_alu instid0(SALU_CYCLE_1) | instskip(NEXT) | instid1(SALU_CYCLE_1)
	s_xor_b64 s[38:39], s[38:39], s[36:37]
	s_mul_i32 s40, s38, s5
	s_mul_hi_u32 s41, s38, s19
	s_mul_hi_u32 s25, s38, s5
	;; [unrolled: 1-line block ×3, first 2 shown]
	s_mul_i32 s19, s39, s19
	s_add_u32 s40, s41, s40
	s_addc_u32 s25, 0, s25
	s_mul_hi_u32 s42, s39, s5
	s_add_u32 s19, s40, s19
	s_mul_i32 s5, s39, s5
	s_addc_u32 s19, s25, s43
	s_addc_u32 s25, s42, 0
	s_add_u32 s5, s19, s5
	s_addc_u32 s19, 0, s25
	s_mul_i32 s42, s34, s5
	s_mul_hi_u32 s25, s34, s5
	s_mul_i32 s41, s34, s19
	v_sub_co_u32 v1, s38, s38, s42
	s_mul_i32 s40, s35, s5
	s_add_i32 s25, s25, s41
	s_delay_alu instid0(SALU_CYCLE_1) | instskip(NEXT) | instid1(VALU_DEP_1)
	s_add_i32 s25, s25, s40
	v_sub_co_u32 v2, s41, v1, s34
	s_sub_i32 s40, s39, s25
	s_cmp_lg_u32 s38, 0
	s_subb_u32 s40, s40, s35
	s_cmp_lg_u32 s41, 0
	v_readfirstlane_b32 s41, v2
	s_subb_u32 s40, s40, 0
	s_delay_alu instid0(SALU_CYCLE_1) | instskip(SKIP_1) | instid1(VALU_DEP_1)
	s_cmp_ge_u32 s40, s35
	s_cselect_b32 s42, -1, 0
	s_cmp_ge_u32 s41, s34
	s_cselect_b32 s41, -1, 0
	s_cmp_eq_u32 s40, s35
	s_cselect_b32 s40, s41, s42
	s_add_u32 s41, s5, 1
	s_addc_u32 s42, s19, 0
	s_add_u32 s43, s5, 2
	s_addc_u32 s44, s19, 0
	s_cmp_lg_u32 s40, 0
	s_cselect_b32 s40, s43, s41
	s_cselect_b32 s41, s44, s42
	s_cmp_lg_u32 s38, 0
	v_readfirstlane_b32 s38, v1
	s_subb_u32 s25, s39, s25
	s_delay_alu instid0(SALU_CYCLE_1) | instskip(SKIP_1) | instid1(VALU_DEP_1)
	s_cmp_ge_u32 s25, s35
	s_cselect_b32 s39, -1, 0
	s_cmp_ge_u32 s38, s34
	s_cselect_b32 s34, -1, 0
	s_cmp_eq_u32 s25, s35
	s_cselect_b32 s25, s34, s39
	s_delay_alu instid0(SALU_CYCLE_1) | instskip(SKIP_3) | instid1(SALU_CYCLE_1)
	s_cmp_lg_u32 s25, 0
	s_cselect_b32 s35, s41, s19
	s_cselect_b32 s34, s40, s5
	s_xor_b64 s[6:7], s[36:37], s[6:7]
	s_xor_b64 s[34:35], s[34:35], s[6:7]
	s_delay_alu instid0(SALU_CYCLE_1)
	s_sub_u32 s6, s34, s6
	s_subb_u32 s7, s35, s7
	s_and_not1_b32 vcc_lo, exec_lo, s4
	s_cbranch_vccnz .LBB52_7
.LBB52_6:
	v_cvt_f32_u32_e32 v1, s2
	s_sub_i32 s5, 0, s2
	s_delay_alu instid0(VALU_DEP_1) | instskip(SKIP_2) | instid1(VALU_DEP_1)
	v_rcp_iflag_f32_e32 v1, v1
	s_waitcnt_depctr 0xfff
	v_mul_f32_e32 v1, 0x4f7ffffe, v1
	v_cvt_u32_f32_e32 v1, v1
	s_delay_alu instid0(VALU_DEP_1) | instskip(NEXT) | instid1(VALU_DEP_1)
	v_readfirstlane_b32 s4, v1
	s_mul_i32 s5, s5, s4
	s_delay_alu instid0(SALU_CYCLE_1) | instskip(NEXT) | instid1(SALU_CYCLE_1)
	s_mul_hi_u32 s5, s4, s5
	s_add_i32 s4, s4, s5
	s_delay_alu instid0(SALU_CYCLE_1) | instskip(NEXT) | instid1(SALU_CYCLE_1)
	s_mul_hi_u32 s4, s30, s4
	s_mul_i32 s5, s4, s2
	s_add_i32 s6, s4, 1
	s_sub_i32 s5, s30, s5
	s_delay_alu instid0(SALU_CYCLE_1)
	s_sub_i32 s7, s5, s2
	s_cmp_ge_u32 s5, s2
	s_cselect_b32 s4, s6, s4
	s_cselect_b32 s5, s7, s5
	s_add_i32 s6, s4, 1
	s_cmp_ge_u32 s5, s2
	s_mov_b32 s7, 0
	s_cselect_b32 s6, s6, s4
.LBB52_7:
	s_delay_alu instid0(SALU_CYCLE_1)
	s_mul_i32 s3, s6, s3
	s_mul_hi_u32 s4, s6, s2
	s_mul_hi_u32 s38, s6, s16
	s_add_i32 s3, s4, s3
	s_mul_i32 s4, s7, s2
	s_mul_i32 s2, s6, s2
	s_add_i32 s3, s3, s4
	s_sub_u32 s36, s30, s2
	s_subb_u32 s37, s31, s3
	s_mul_i32 s39, s7, s16
	s_mul_i32 s34, s6, s16
	s_mul_hi_u32 s7, s36, s17
	s_mul_i32 s37, s37, s17
	s_mul_i32 s30, s36, s17
	s_mov_b32 s40, exec_lo
	v_cmpx_gt_i32_e64 s24, v0
	s_cbranch_execz .LBB52_10
; %bb.8:
	s_mul_i32 s3, s20, s9
	s_mul_hi_u32 s4, s20, s8
	s_mul_i32 s2, s20, s8
	s_add_i32 s3, s4, s3
	s_ashr_i32 s25, s24, 31
	s_lshl_b64 s[2:3], s[2:3], 1
	s_load_b32 s41, s[0:1], 0x8c
	s_add_u32 s8, s12, s2
	s_addc_u32 s9, s13, s3
	s_ashr_i32 s4, s16, 31
	s_ashr_i32 s5, s17, 31
	s_mul_i32 s4, s6, s4
	s_mul_i32 s5, s36, s5
	s_add_i32 s4, s38, s4
	s_add_i32 s5, s7, s5
	;; [unrolled: 1-line block ×4, first 2 shown]
	s_lshl_b64 s[4:5], s[34:35], 1
	s_lshl_b64 s[42:43], s[30:31], 1
	v_dual_mov_b32 v2, v0 :: v_dual_lshlrev_b32 v1, 1, v0
	s_add_u32 s44, s4, s42
	s_addc_u32 s45, s5, s43
	s_add_u32 s31, s44, s22
	s_addc_u32 s35, s45, s23
	s_ashr_i32 s19, s18, 31
	s_delay_alu instid0(SALU_CYCLE_1) | instskip(NEXT) | instid1(SALU_CYCLE_1)
	s_lshl_b64 s[4:5], s[18:19], 1
	s_add_u32 s19, s31, s4
	s_addc_u32 s31, s35, s5
	s_waitcnt lgkmcnt(0)
	s_and_b32 s35, s41, 0xffff
	s_lshl_b64 s[42:43], s[24:25], 1
	s_lshl_b32 s25, s35, 1
	s_add_u32 s28, s28, s42
	s_addc_u32 s29, s29, s43
	s_add_u32 s26, s26, s28
	s_addc_u32 s27, s27, s29
	;; [unrolled: 2-line block ×6, first 2 shown]
	s_add_u32 s28, s22, s2
	s_mov_b32 s41, 0
	s_addc_u32 s29, s23, s3
.LBB52_9:                               ; =>This Inner Loop Header: Depth=1
	v_add_co_u32 v3, s2, s21, v1
	s_delay_alu instid0(VALU_DEP_1) | instskip(SKIP_1) | instid1(VALU_DEP_1)
	v_add_co_ci_u32_e64 v4, null, s33, 0, s2
	v_add_co_u32 v5, s2, s8, v1
	v_add_co_ci_u32_e64 v6, null, s9, 0, s2
	v_add_co_u32 v7, s2, s12, v1
	s_delay_alu instid0(VALU_DEP_1) | instskip(SKIP_1) | instid1(VALU_DEP_1)
	v_add_co_ci_u32_e64 v8, null, s13, 0, s2
	v_add_co_u32 v9, s2, s26, v1
	v_add_co_ci_u32_e64 v10, null, s27, 0, s2
	global_load_u16 v11, v[7:8], off
	global_load_u16 v12, v[5:6], off
	;; [unrolled: 1-line block ×4, first 2 shown]
	v_add_co_u32 v3, s2, s19, v1
	s_delay_alu instid0(VALU_DEP_1) | instskip(SKIP_1) | instid1(VALU_DEP_1)
	v_add_co_ci_u32_e64 v4, null, s31, 0, s2
	v_add_co_u32 v9, s2, s28, v1
	v_add_co_ci_u32_e64 v10, null, s29, 0, s2
	s_add_u32 s21, s21, s25
	s_addc_u32 s33, s33, 0
	s_add_u32 s26, s26, s25
	s_addc_u32 s27, s27, 0
	;; [unrolled: 2-line block ×6, first 2 shown]
	s_waitcnt vmcnt(0)
	v_lshlrev_b32_e32 v14, 16, v14
	v_lshlrev_b32_e32 v13, 16, v13
	;; [unrolled: 1-line block ×4, first 2 shown]
	s_delay_alu instid0(VALU_DEP_2) | instskip(SKIP_1) | instid1(VALU_DEP_3)
	v_dual_mul_f32 v15, v13, v12 :: v_dual_add_nc_u32 v2, s35, v2
	v_mul_f32_e32 v12, v14, v12
	v_mul_f32_e32 v16, v14, v11
	;; [unrolled: 1-line block ×3, first 2 shown]
	s_delay_alu instid0(VALU_DEP_4)
	v_cmp_le_i32_e32 vcc_lo, s24, v2
	v_bfe_u32 v13, v15, 16, 1
	v_bfe_u32 v17, v12, 16, 1
	;; [unrolled: 1-line block ×4, first 2 shown]
	v_cmp_o_f32_e64 s2, v16, v16
	v_add3_u32 v13, v15, v13, 0x7fff
	v_add3_u32 v17, v12, v17, 0x7fff
	;; [unrolled: 1-line block ×4, first 2 shown]
	v_cmp_o_f32_e64 s4, v12, v12
	v_and_b32_e32 v13, 0xffff0000, v13
	v_and_b32_e32 v16, 0xffff0000, v17
	v_and_b32_e32 v14, 0xffff0000, v14
	v_cmp_o_f32_e64 s5, v15, v15
	v_cmp_o_f32_e64 s3, v11, v11
	s_or_b32 s41, vcc_lo, s41
	s_delay_alu instid0(VALU_DEP_3) | instskip(SKIP_3) | instid1(VALU_DEP_2)
	v_cndmask_b32_e64 v12, 0x7fc00000, v14, s2
	v_cndmask_b32_e64 v14, 0x7fc00000, v16, s4
	v_and_b32_e32 v17, 0xffff0000, v18
	v_cndmask_b32_e64 v11, 0x7fc00000, v13, s5
	v_cndmask_b32_e64 v13, 0x7fc00000, v17, s3
	s_delay_alu instid0(VALU_DEP_1) | instskip(NEXT) | instid1(VALU_DEP_1)
	v_dual_sub_f32 v11, v11, v12 :: v_dual_add_f32 v12, v14, v13
	v_bfe_u32 v13, v11, 16, 1
	v_cmp_o_f32_e64 s3, v11, v11
	s_delay_alu instid0(VALU_DEP_3) | instskip(NEXT) | instid1(VALU_DEP_3)
	v_bfe_u32 v14, v12, 16, 1
	v_add3_u32 v13, v11, v13, 0x7fff
	v_cmp_o_f32_e64 s2, v12, v12
	s_delay_alu instid0(VALU_DEP_3) | instskip(NEXT) | instid1(VALU_DEP_3)
	v_add3_u32 v14, v12, v14, 0x7fff
	v_lshrrev_b32_e32 v13, 16, v13
	s_delay_alu instid0(VALU_DEP_2) | instskip(NEXT) | instid1(VALU_DEP_2)
	v_lshrrev_b32_e32 v14, 16, v14
	v_cndmask_b32_e64 v11, 0x7fc0, v13, s3
	s_delay_alu instid0(VALU_DEP_2)
	v_cndmask_b32_e64 v12, 0x7fc0, v14, s2
	global_store_b16 v[5:6], v11, off
	global_store_b16 v[7:8], v12, off
	;; [unrolled: 1-line block ×4, first 2 shown]
	s_and_not1_b32 exec_lo, exec_lo, s41
	s_cbranch_execnz .LBB52_9
.LBB52_10:
	s_or_b32 exec_lo, exec_lo, s40
	s_delay_alu instid0(SALU_CYCLE_1)
	s_mov_b32 s2, exec_lo
	v_cmpx_gt_i32_e64 s18, v0
	s_cbranch_execz .LBB52_13
; %bb.11:
	s_mul_i32 s3, s20, s11
	s_mul_hi_u32 s4, s20, s10
	s_mul_i32 s2, s20, s10
	s_add_i32 s3, s4, s3
	s_delay_alu instid0(SALU_CYCLE_1) | instskip(NEXT) | instid1(SALU_CYCLE_1)
	s_lshl_b64 s[2:3], s[2:3], 1
	s_add_u32 s2, s14, s2
	s_addc_u32 s3, s15, s3
	s_ashr_i32 s4, s16, 31
	s_delay_alu instid0(SALU_CYCLE_1) | instskip(SKIP_2) | instid1(SALU_CYCLE_1)
	s_mul_i32 s4, s6, s4
	s_load_b32 s6, s[0:1], 0x8c
	s_add_i32 s0, s38, s4
	s_add_i32 s35, s0, s39
	s_delay_alu instid0(SALU_CYCLE_1) | instskip(NEXT) | instid1(SALU_CYCLE_1)
	s_lshl_b64 s[0:1], s[34:35], 1
	s_add_u32 s0, s22, s0
	s_addc_u32 s8, s23, s1
	s_ashr_i32 s1, s17, 31
	s_delay_alu instid0(SALU_CYCLE_1) | instskip(NEXT) | instid1(SALU_CYCLE_1)
	s_mul_i32 s36, s36, s1
	s_add_i32 s1, s7, s36
	s_delay_alu instid0(SALU_CYCLE_1) | instskip(NEXT) | instid1(SALU_CYCLE_1)
	s_add_i32 s31, s1, s37
	s_lshl_b64 s[4:5], s[30:31], 1
	s_delay_alu instid0(SALU_CYCLE_1)
	s_add_u32 s1, s0, s4
	s_addc_u32 s4, s8, s5
	s_waitcnt lgkmcnt(0)
	s_and_b32 s5, s6, 0xffff
	s_mov_b32 s6, 0
	.p2align	6
.LBB52_12:                              ; =>This Inner Loop Header: Depth=1
	v_ashrrev_i32_e32 v1, 31, v0
	s_delay_alu instid0(VALU_DEP_1) | instskip(SKIP_1) | instid1(VALU_DEP_2)
	v_lshlrev_b64 v[1:2], 1, v[0:1]
	v_add_nc_u32_e32 v0, s5, v0
	v_add_co_u32 v3, vcc_lo, s2, v1
	s_delay_alu instid0(VALU_DEP_3) | instskip(NEXT) | instid1(VALU_DEP_3)
	v_add_co_ci_u32_e32 v4, vcc_lo, s3, v2, vcc_lo
	v_cmp_le_i32_e32 vcc_lo, s18, v0
	v_add_co_u32 v1, s0, s1, v1
	global_load_u16 v3, v[3:4], off
	v_add_co_ci_u32_e64 v2, s0, s4, v2, s0
	s_or_b32 s6, vcc_lo, s6
	s_waitcnt vmcnt(0)
	global_store_b16 v[1:2], v3, off
	s_and_not1_b32 exec_lo, exec_lo, s6
	s_cbranch_execnz .LBB52_12
.LBB52_13:
	s_nop 0
	s_sendmsg sendmsg(MSG_DEALLOC_VGPRS)
	s_endpgm
.LBB52_14:
                                        ; implicit-def: $sgpr6_sgpr7
	s_branch .LBB52_6
	.section	.rodata,"a",@progbits
	.p2align	6, 0x0
	.amdhsa_kernel _ZN4vllm38concat_and_cache_mla_rope_fused_kernelIN3c108BFloat16ES2_Lb1E14__hip_bfloat16S3_LNS_18Fp8KVCacheDataTypeE0EEEvPKlPT_S8_PKS7_PKT0_illlliPT3_S6_iiiiPKf
		.amdhsa_group_segment_fixed_size 0
		.amdhsa_private_segment_fixed_size 0
		.amdhsa_kernarg_size 384
		.amdhsa_user_sgpr_count 15
		.amdhsa_user_sgpr_dispatch_ptr 0
		.amdhsa_user_sgpr_queue_ptr 0
		.amdhsa_user_sgpr_kernarg_segment_ptr 1
		.amdhsa_user_sgpr_dispatch_id 0
		.amdhsa_user_sgpr_private_segment_size 0
		.amdhsa_wavefront_size32 1
		.amdhsa_uses_dynamic_stack 0
		.amdhsa_enable_private_segment 0
		.amdhsa_system_sgpr_workgroup_id_x 1
		.amdhsa_system_sgpr_workgroup_id_y 0
		.amdhsa_system_sgpr_workgroup_id_z 0
		.amdhsa_system_sgpr_workgroup_info 0
		.amdhsa_system_vgpr_workitem_id 0
		.amdhsa_next_free_vgpr 19
		.amdhsa_next_free_sgpr 46
		.amdhsa_reserve_vcc 1
		.amdhsa_float_round_mode_32 0
		.amdhsa_float_round_mode_16_64 0
		.amdhsa_float_denorm_mode_32 3
		.amdhsa_float_denorm_mode_16_64 3
		.amdhsa_dx10_clamp 1
		.amdhsa_ieee_mode 1
		.amdhsa_fp16_overflow 0
		.amdhsa_workgroup_processor_mode 1
		.amdhsa_memory_ordered 1
		.amdhsa_forward_progress 0
		.amdhsa_shared_vgpr_count 0
		.amdhsa_exception_fp_ieee_invalid_op 0
		.amdhsa_exception_fp_denorm_src 0
		.amdhsa_exception_fp_ieee_div_zero 0
		.amdhsa_exception_fp_ieee_overflow 0
		.amdhsa_exception_fp_ieee_underflow 0
		.amdhsa_exception_fp_ieee_inexact 0
		.amdhsa_exception_int_div_zero 0
	.end_amdhsa_kernel
	.section	.text._ZN4vllm38concat_and_cache_mla_rope_fused_kernelIN3c108BFloat16ES2_Lb1E14__hip_bfloat16S3_LNS_18Fp8KVCacheDataTypeE0EEEvPKlPT_S8_PKS7_PKT0_illlliPT3_S6_iiiiPKf,"axG",@progbits,_ZN4vllm38concat_and_cache_mla_rope_fused_kernelIN3c108BFloat16ES2_Lb1E14__hip_bfloat16S3_LNS_18Fp8KVCacheDataTypeE0EEEvPKlPT_S8_PKS7_PKT0_illlliPT3_S6_iiiiPKf,comdat
.Lfunc_end52:
	.size	_ZN4vllm38concat_and_cache_mla_rope_fused_kernelIN3c108BFloat16ES2_Lb1E14__hip_bfloat16S3_LNS_18Fp8KVCacheDataTypeE0EEEvPKlPT_S8_PKS7_PKT0_illlliPT3_S6_iiiiPKf, .Lfunc_end52-_ZN4vllm38concat_and_cache_mla_rope_fused_kernelIN3c108BFloat16ES2_Lb1E14__hip_bfloat16S3_LNS_18Fp8KVCacheDataTypeE0EEEvPKlPT_S8_PKS7_PKT0_illlliPT3_S6_iiiiPKf
                                        ; -- End function
	.section	.AMDGPU.csdata,"",@progbits
; Kernel info:
; codeLenInByte = 2984
; NumSgprs: 48
; NumVgprs: 19
; ScratchSize: 0
; MemoryBound: 0
; FloatMode: 240
; IeeeMode: 1
; LDSByteSize: 0 bytes/workgroup (compile time only)
; SGPRBlocks: 5
; VGPRBlocks: 2
; NumSGPRsForWavesPerEU: 48
; NumVGPRsForWavesPerEU: 19
; Occupancy: 16
; WaveLimiterHint : 1
; COMPUTE_PGM_RSRC2:SCRATCH_EN: 0
; COMPUTE_PGM_RSRC2:USER_SGPR: 15
; COMPUTE_PGM_RSRC2:TRAP_HANDLER: 0
; COMPUTE_PGM_RSRC2:TGID_X_EN: 1
; COMPUTE_PGM_RSRC2:TGID_Y_EN: 0
; COMPUTE_PGM_RSRC2:TGID_Z_EN: 0
; COMPUTE_PGM_RSRC2:TIDIG_COMP_CNT: 0
	.section	.text._ZN4vllm38concat_and_cache_mla_rope_fused_kernelIN3c108BFloat16ES2_Lb0E14__hip_bfloat16S3_LNS_18Fp8KVCacheDataTypeE0EEEvPKlPT_S8_PKS7_PKT0_illlliPT3_S6_iiiiPKf,"axG",@progbits,_ZN4vllm38concat_and_cache_mla_rope_fused_kernelIN3c108BFloat16ES2_Lb0E14__hip_bfloat16S3_LNS_18Fp8KVCacheDataTypeE0EEEvPKlPT_S8_PKS7_PKT0_illlliPT3_S6_iiiiPKf,comdat
	.protected	_ZN4vllm38concat_and_cache_mla_rope_fused_kernelIN3c108BFloat16ES2_Lb0E14__hip_bfloat16S3_LNS_18Fp8KVCacheDataTypeE0EEEvPKlPT_S8_PKS7_PKT0_illlliPT3_S6_iiiiPKf ; -- Begin function _ZN4vllm38concat_and_cache_mla_rope_fused_kernelIN3c108BFloat16ES2_Lb0E14__hip_bfloat16S3_LNS_18Fp8KVCacheDataTypeE0EEEvPKlPT_S8_PKS7_PKT0_illlliPT3_S6_iiiiPKf
	.globl	_ZN4vllm38concat_and_cache_mla_rope_fused_kernelIN3c108BFloat16ES2_Lb0E14__hip_bfloat16S3_LNS_18Fp8KVCacheDataTypeE0EEEvPKlPT_S8_PKS7_PKT0_illlliPT3_S6_iiiiPKf
	.p2align	8
	.type	_ZN4vllm38concat_and_cache_mla_rope_fused_kernelIN3c108BFloat16ES2_Lb0E14__hip_bfloat16S3_LNS_18Fp8KVCacheDataTypeE0EEEvPKlPT_S8_PKS7_PKT0_illlliPT3_S6_iiiiPKf,@function
_ZN4vllm38concat_and_cache_mla_rope_fused_kernelIN3c108BFloat16ES2_Lb0E14__hip_bfloat16S3_LNS_18Fp8KVCacheDataTypeE0EEEvPKlPT_S8_PKS7_PKT0_illlliPT3_S6_iiiiPKf: ; @_ZN4vllm38concat_and_cache_mla_rope_fused_kernelIN3c108BFloat16ES2_Lb0E14__hip_bfloat16S3_LNS_18Fp8KVCacheDataTypeE0EEEvPKlPT_S8_PKS7_PKT0_illlliPT3_S6_iiiiPKf
; %bb.0:
	s_load_b64 s[4:5], s[0:1], 0x60
	s_mov_b32 s20, s15
	s_mov_b32 s21, 0
	s_delay_alu instid0(SALU_CYCLE_1)
	s_lshl_b64 s[2:3], s[20:21], 3
	s_waitcnt lgkmcnt(0)
	s_add_u32 s4, s4, s2
	s_addc_u32 s5, s5, s3
	s_load_b64 s[28:29], s[4:5], 0x0
	s_waitcnt lgkmcnt(0)
	v_cmp_lt_i64_e64 s4, s[28:29], 0
	s_delay_alu instid0(VALU_DEP_1)
	s_and_b32 vcc_lo, exec_lo, s4
	s_cbranch_vccnz .LBB53_13
; %bb.1:
	s_clause 0x3
	s_load_b32 s16, s[0:1], 0x28
	s_load_b64 s[4:5], s[0:1], 0x0
	s_load_b128 s[12:15], s[0:1], 0x10
	s_load_b32 s17, s[0:1], 0x50
	v_lshlrev_b32_e32 v3, 1, v0
	s_waitcnt lgkmcnt(0)
	s_ashr_i32 s19, s16, 31
	s_add_u32 s2, s4, s2
	s_addc_u32 s3, s5, s3
	s_lshr_b32 s18, s16, 31
	s_load_b64 s[2:3], s[2:3], 0x0
	s_clause 0x2
	s_load_b64 s[26:27], s[0:1], 0x20
	s_load_b64 s[22:23], s[0:1], 0x58
	s_load_b256 s[4:11], s[0:1], 0x30
	s_add_i32 s18, s16, s18
	s_delay_alu instid0(SALU_CYCLE_1) | instskip(NEXT) | instid1(SALU_CYCLE_1)
	s_ashr_i32 s24, s18, 1
	s_mul_i32 s18, s24, s17
	s_waitcnt lgkmcnt(0)
	s_mul_i32 s17, s2, s19
	s_mul_hi_u32 s19, s2, s16
	s_mul_i32 s3, s3, s16
	s_add_i32 s17, s19, s17
	s_mul_i32 s30, s2, s16
	s_add_i32 s31, s17, s3
	s_mov_b32 s19, exec_lo
	v_cmpx_gt_i32_e64 s18, v0
	s_cbranch_execz .LBB53_4
; %bb.2:
	s_load_b64 s[2:3], s[0:1], 0x8
	s_lshl_b64 s[16:17], s[30:31], 1
	s_mul_i32 s25, s20, s5
	s_mul_hi_u32 s33, s20, s4
	s_add_u32 s5, s26, s16
	s_mul_i32 s34, s20, s4
	s_load_b32 s4, s[0:1], 0x8c
	s_addc_u32 s21, s27, s17
	s_add_i32 s35, s33, s25
	s_ashr_i32 s25, s24, 31
	s_lshl_b64 s[16:17], s[34:35], 1
	s_mov_b32 s36, 0
	s_waitcnt lgkmcnt(0)
	s_add_u32 s33, s2, s16
	s_addc_u32 s34, s3, s17
	s_abs_i32 s35, s24
	s_sub_i32 s38, 0, s24
	v_cvt_f32_u32_e32 v1, s35
	s_sub_i32 s2, 0, s35
	s_and_b32 s37, s4, 0xffff
	s_lshl_b64 s[16:17], s[24:25], 1
	s_lshl_b32 s40, s37, 1
	v_rcp_iflag_f32_e32 v1, v1
	s_waitcnt_depctr 0xfff
	v_mul_f32_e32 v1, 0x4f7ffffe, v1
	s_delay_alu instid0(VALU_DEP_1) | instskip(NEXT) | instid1(VALU_DEP_1)
	v_cvt_u32_f32_e32 v2, v1
	v_mul_lo_u32 v1, s2, v2
	s_lshl_b32 s2, s24, 1
	s_delay_alu instid0(SALU_CYCLE_1) | instskip(NEXT) | instid1(VALU_DEP_1)
	s_sub_i32 s39, 0, s2
	v_mul_hi_u32 v4, v2, v1
	s_delay_alu instid0(VALU_DEP_1)
	v_dual_mov_b32 v1, v3 :: v_dual_add_nc_u32 v4, v2, v4
	v_mov_b32_e32 v2, v0
.LBB53_3:                               ; =>This Inner Loop Header: Depth=1
	s_delay_alu instid0(VALU_DEP_1) | instskip(SKIP_1) | instid1(VALU_DEP_2)
	v_sub_nc_u32_e32 v5, 0, v2
	v_ashrrev_i32_e32 v6, 31, v2
	v_max_i32_e32 v5, v2, v5
	s_delay_alu instid0(VALU_DEP_2) | instskip(NEXT) | instid1(VALU_DEP_2)
	v_xor_b32_e32 v6, s25, v6
	v_mul_hi_u32 v7, v5, v4
	s_delay_alu instid0(VALU_DEP_1) | instskip(SKIP_1) | instid1(VALU_DEP_2)
	v_mul_lo_u32 v8, v7, s35
	v_add_nc_u32_e32 v9, 1, v7
	v_sub_nc_u32_e32 v5, v5, v8
	s_delay_alu instid0(VALU_DEP_1) | instskip(SKIP_1) | instid1(VALU_DEP_4)
	v_subrev_nc_u32_e32 v8, s35, v5
	v_cmp_le_u32_e32 vcc_lo, s35, v5
	v_cndmask_b32_e32 v7, v7, v9, vcc_lo
	s_delay_alu instid0(VALU_DEP_1) | instskip(NEXT) | instid1(VALU_DEP_1)
	v_dual_cndmask_b32 v5, v5, v8 :: v_dual_add_nc_u32 v8, 1, v7
	v_cmp_le_u32_e32 vcc_lo, s35, v5
	s_delay_alu instid0(VALU_DEP_2) | instskip(NEXT) | instid1(VALU_DEP_1)
	v_cndmask_b32_e32 v5, v7, v8, vcc_lo
	v_xor_b32_e32 v5, v5, v6
	s_delay_alu instid0(VALU_DEP_1) | instskip(NEXT) | instid1(VALU_DEP_1)
	v_sub_nc_u32_e32 v11, v5, v6
	v_mad_u64_u32 v[5:6], null, s38, v11, v[2:3]
	v_ashrrev_i32_e32 v6, 31, v11
	v_mul_lo_u32 v12, v11, s7
	v_mad_u64_u32 v[7:8], null, v11, s6, 0
	v_mad_u64_u32 v[9:10], null, s39, v11, v[1:2]
	s_delay_alu instid0(VALU_DEP_4) | instskip(SKIP_3) | instid1(VALU_DEP_3)
	v_mul_lo_u32 v11, v6, s6
	v_ashrrev_i32_e32 v6, 31, v5
	v_add_nc_u32_e32 v2, s37, v2
	v_add_nc_u32_e32 v1, s40, v1
	v_lshlrev_b64 v[5:6], 1, v[5:6]
	v_ashrrev_i32_e32 v10, 31, v9
	v_add3_u32 v8, v8, v12, v11
	s_delay_alu instid0(VALU_DEP_3) | instskip(NEXT) | instid1(VALU_DEP_2)
	v_add_co_u32 v5, vcc_lo, s5, v5
	v_lshlrev_b64 v[7:8], 1, v[7:8]
	v_add_co_ci_u32_e32 v6, vcc_lo, s21, v6, vcc_lo
	s_delay_alu instid0(VALU_DEP_3) | instskip(SKIP_1) | instid1(VALU_DEP_3)
	v_add_co_u32 v11, vcc_lo, v5, s16
	v_lshlrev_b64 v[9:10], 1, v[9:10]
	v_add_co_ci_u32_e32 v12, vcc_lo, s17, v6, vcc_lo
	v_add_co_u32 v7, vcc_lo, s33, v7
	v_add_co_ci_u32_e32 v8, vcc_lo, s34, v8, vcc_lo
	global_load_u16 v13, v[5:6], off
	v_add_co_u32 v5, vcc_lo, v7, v9
	v_add_co_ci_u32_e32 v6, vcc_lo, v8, v10, vcc_lo
	global_load_u16 v7, v[11:12], off
	global_load_b32 v8, v[5:6], off
	s_waitcnt vmcnt(2)
	v_lshlrev_b32_e32 v9, 16, v13
	s_waitcnt vmcnt(1)
	v_lshlrev_b32_e32 v7, 16, v7
	s_waitcnt vmcnt(0)
	v_and_b32_e32 v10, 0xffff0000, v8
	s_delay_alu instid0(VALU_DEP_1) | instskip(NEXT) | instid1(VALU_DEP_1)
	v_dual_mul_f32 v11, v7, v10 :: v_dual_lshlrev_b32 v8, 16, v8
	v_dual_mul_f32 v7, v8, v7 :: v_dual_mul_f32 v10, v9, v10
	s_delay_alu instid0(VALU_DEP_2) | instskip(NEXT) | instid1(VALU_DEP_2)
	v_cmp_o_f32_e32 vcc_lo, v11, v11
	v_bfe_u32 v14, v7, 16, 1
	s_delay_alu instid0(VALU_DEP_3) | instskip(SKIP_1) | instid1(VALU_DEP_3)
	v_bfe_u32 v12, v10, 16, 1
	v_cmp_o_f32_e64 s4, v10, v10
	v_add3_u32 v14, v7, v14, 0x7fff
	v_mul_f32_e32 v9, v9, v8
	v_bfe_u32 v8, v11, 16, 1
	v_add3_u32 v12, v10, v12, 0x7fff
	s_delay_alu instid0(VALU_DEP_4) | instskip(NEXT) | instid1(VALU_DEP_4)
	v_and_b32_e32 v14, 0xffff0000, v14
	v_bfe_u32 v13, v9, 16, 1
	s_delay_alu instid0(VALU_DEP_4) | instskip(SKIP_1) | instid1(VALU_DEP_3)
	v_add3_u32 v8, v11, v8, 0x7fff
	v_cmp_o_f32_e64 s3, v9, v9
	v_add3_u32 v13, v9, v13, 0x7fff
	s_delay_alu instid0(VALU_DEP_3) | instskip(SKIP_1) | instid1(VALU_DEP_3)
	v_and_b32_e32 v8, 0xffff0000, v8
	v_cmp_o_f32_e64 s2, v7, v7
	v_and_b32_e32 v13, 0xffff0000, v13
	s_delay_alu instid0(VALU_DEP_3) | instskip(NEXT) | instid1(VALU_DEP_3)
	v_cndmask_b32_e32 v8, 0x7fc00000, v8, vcc_lo
	v_cndmask_b32_e64 v10, 0x7fc00000, v14, s2
	v_and_b32_e32 v12, 0xffff0000, v12
	s_delay_alu instid0(VALU_DEP_4) | instskip(NEXT) | instid1(VALU_DEP_2)
	v_cndmask_b32_e64 v9, 0x7fc00000, v13, s3
	v_cndmask_b32_e64 v7, 0x7fc00000, v12, s4
	s_delay_alu instid0(VALU_DEP_1) | instskip(NEXT) | instid1(VALU_DEP_1)
	v_dual_sub_f32 v8, v9, v8 :: v_dual_add_f32 v7, v10, v7
	v_bfe_u32 v9, v8, 16, 1
	v_cmp_o_f32_e64 s2, v8, v8
	s_delay_alu instid0(VALU_DEP_3) | instskip(SKIP_1) | instid1(VALU_DEP_4)
	v_bfe_u32 v10, v7, 16, 1
	v_cmp_o_f32_e32 vcc_lo, v7, v7
	v_add3_u32 v9, v8, v9, 0x7fff
	s_delay_alu instid0(VALU_DEP_3) | instskip(NEXT) | instid1(VALU_DEP_2)
	v_add3_u32 v10, v7, v10, 0x7fff
	v_lshrrev_b32_e32 v9, 16, v9
	s_delay_alu instid0(VALU_DEP_2) | instskip(NEXT) | instid1(VALU_DEP_2)
	v_lshrrev_b32_e32 v10, 16, v10
	v_cndmask_b32_e64 v7, 0x7fc0, v9, s2
	s_delay_alu instid0(VALU_DEP_2) | instskip(SKIP_1) | instid1(VALU_DEP_2)
	v_cndmask_b32_e32 v8, 0x7fc0, v10, vcc_lo
	v_cmp_le_i32_e32 vcc_lo, s18, v2
	v_perm_b32 v7, v8, v7, 0x5040100
	s_or_b32 s36, vcc_lo, s36
	global_store_b32 v[5:6], v7, off
	s_and_not1_b32 exec_lo, exec_lo, s36
	s_cbranch_execnz .LBB53_3
.LBB53_4:
	s_or_b32 exec_lo, exec_lo, s19
	s_load_b128 s[16:19], s[0:1], 0x68
	s_waitcnt lgkmcnt(0)
	s_ashr_i32 s3, s19, 31
	s_mov_b32 s2, s19
	s_delay_alu instid0(SALU_CYCLE_1) | instskip(SKIP_1) | instid1(SALU_CYCLE_1)
	s_or_b64 s[4:5], s[28:29], s[2:3]
	s_mov_b32 s4, 0
	s_cmp_lg_u64 s[4:5], 0
	s_cbranch_scc0 .LBB53_14
; %bb.5:
	s_add_u32 s34, s2, s3
	s_mov_b32 s6, s3
	s_mov_b32 s7, s3
	s_addc_u32 s35, s3, s3
	s_delay_alu instid0(SALU_CYCLE_1) | instskip(NEXT) | instid1(SALU_CYCLE_1)
	s_xor_b64 s[34:35], s[34:35], s[6:7]
	v_cvt_f32_u32_e32 v1, s34
	v_cvt_f32_u32_e32 v2, s35
	s_sub_u32 s21, 0, s34
	s_subb_u32 s25, 0, s35
	s_delay_alu instid0(VALU_DEP_1) | instskip(NEXT) | instid1(VALU_DEP_1)
	v_fmamk_f32 v1, v2, 0x4f800000, v1
	v_rcp_f32_e32 v1, v1
	s_waitcnt_depctr 0xfff
	v_mul_f32_e32 v1, 0x5f7ffffc, v1
	s_delay_alu instid0(VALU_DEP_1) | instskip(NEXT) | instid1(VALU_DEP_1)
	v_mul_f32_e32 v2, 0x2f800000, v1
	v_trunc_f32_e32 v2, v2
	s_delay_alu instid0(VALU_DEP_1) | instskip(SKIP_1) | instid1(VALU_DEP_2)
	v_fmamk_f32 v1, v2, 0xcf800000, v1
	v_cvt_u32_f32_e32 v2, v2
	v_cvt_u32_f32_e32 v1, v1
	s_delay_alu instid0(VALU_DEP_2) | instskip(NEXT) | instid1(VALU_DEP_2)
	v_readfirstlane_b32 s5, v2
	v_readfirstlane_b32 s19, v1
	s_delay_alu instid0(VALU_DEP_2) | instskip(NEXT) | instid1(VALU_DEP_1)
	s_mul_i32 s33, s21, s5
	s_mul_hi_u32 s37, s21, s19
	s_mul_i32 s36, s25, s19
	s_add_i32 s33, s37, s33
	s_mul_i32 s38, s21, s19
	s_add_i32 s33, s33, s36
	s_mul_hi_u32 s37, s19, s38
	s_mul_hi_u32 s39, s5, s38
	s_mul_i32 s36, s5, s38
	s_mul_hi_u32 s38, s19, s33
	s_mul_i32 s19, s19, s33
	s_mul_hi_u32 s40, s5, s33
	s_add_u32 s19, s37, s19
	s_addc_u32 s37, 0, s38
	s_add_u32 s19, s19, s36
	s_mul_i32 s33, s5, s33
	s_addc_u32 s19, s37, s39
	s_addc_u32 s36, s40, 0
	s_add_u32 s19, s19, s33
	s_addc_u32 s33, 0, s36
	v_add_co_u32 v1, s19, v1, s19
	s_delay_alu instid0(VALU_DEP_1) | instskip(SKIP_1) | instid1(VALU_DEP_1)
	s_cmp_lg_u32 s19, 0
	s_addc_u32 s5, s5, s33
	v_readfirstlane_b32 s19, v1
	s_mul_i32 s33, s21, s5
	s_delay_alu instid0(VALU_DEP_1)
	s_mul_hi_u32 s36, s21, s19
	s_mul_i32 s25, s25, s19
	s_add_i32 s33, s36, s33
	s_mul_i32 s21, s21, s19
	s_add_i32 s33, s33, s25
	s_mul_hi_u32 s36, s5, s21
	s_mul_i32 s37, s5, s21
	s_mul_hi_u32 s21, s19, s21
	s_mul_hi_u32 s38, s19, s33
	s_mul_i32 s19, s19, s33
	s_mul_hi_u32 s25, s5, s33
	s_add_u32 s19, s21, s19
	s_addc_u32 s21, 0, s38
	s_add_u32 s19, s19, s37
	s_mul_i32 s33, s5, s33
	s_addc_u32 s19, s21, s36
	s_addc_u32 s21, s25, 0
	s_add_u32 s19, s19, s33
	s_addc_u32 s21, 0, s21
	v_add_co_u32 v1, s19, v1, s19
	s_delay_alu instid0(VALU_DEP_1) | instskip(SKIP_2) | instid1(VALU_DEP_1)
	s_cmp_lg_u32 s19, 0
	s_addc_u32 s5, s5, s21
	s_ashr_i32 s36, s29, 31
	v_readfirstlane_b32 s19, v1
	s_add_u32 s38, s28, s36
	s_mov_b32 s37, s36
	s_addc_u32 s39, s29, s36
	s_delay_alu instid0(SALU_CYCLE_1) | instskip(NEXT) | instid1(SALU_CYCLE_1)
	s_xor_b64 s[38:39], s[38:39], s[36:37]
	s_mul_i32 s25, s38, s5
	s_mul_hi_u32 s33, s38, s19
	s_mul_hi_u32 s21, s38, s5
	;; [unrolled: 1-line block ×3, first 2 shown]
	s_mul_i32 s19, s39, s19
	s_add_u32 s25, s33, s25
	s_addc_u32 s21, 0, s21
	s_mul_hi_u32 s40, s39, s5
	s_add_u32 s19, s25, s19
	s_mul_i32 s5, s39, s5
	s_addc_u32 s19, s21, s41
	s_addc_u32 s21, s40, 0
	s_add_u32 s5, s19, s5
	s_addc_u32 s19, 0, s21
	s_mul_hi_u32 s21, s34, s5
	s_mul_i32 s33, s34, s19
	s_mul_i32 s40, s34, s5
	s_add_i32 s21, s21, s33
	v_sub_co_u32 v1, s33, s38, s40
	s_mul_i32 s25, s35, s5
	s_delay_alu instid0(SALU_CYCLE_1) | instskip(NEXT) | instid1(VALU_DEP_1)
	s_add_i32 s21, s21, s25
	v_sub_co_u32 v2, s38, v1, s34
	s_sub_i32 s25, s39, s21
	s_cmp_lg_u32 s33, 0
	s_subb_u32 s25, s25, s35
	s_cmp_lg_u32 s38, 0
	v_readfirstlane_b32 s38, v2
	s_subb_u32 s25, s25, 0
	s_delay_alu instid0(SALU_CYCLE_1) | instskip(SKIP_1) | instid1(VALU_DEP_1)
	s_cmp_ge_u32 s25, s35
	s_cselect_b32 s40, -1, 0
	s_cmp_ge_u32 s38, s34
	s_cselect_b32 s38, -1, 0
	s_cmp_eq_u32 s25, s35
	s_cselect_b32 s25, s38, s40
	s_add_u32 s38, s5, 1
	s_addc_u32 s40, s19, 0
	s_add_u32 s41, s5, 2
	s_addc_u32 s42, s19, 0
	s_cmp_lg_u32 s25, 0
	s_cselect_b32 s25, s41, s38
	s_cselect_b32 s38, s42, s40
	s_cmp_lg_u32 s33, 0
	v_readfirstlane_b32 s33, v1
	s_subb_u32 s21, s39, s21
	s_delay_alu instid0(SALU_CYCLE_1) | instskip(SKIP_1) | instid1(VALU_DEP_1)
	s_cmp_ge_u32 s21, s35
	s_cselect_b32 s39, -1, 0
	s_cmp_ge_u32 s33, s34
	s_cselect_b32 s33, -1, 0
	s_cmp_eq_u32 s21, s35
	s_cselect_b32 s21, s33, s39
	s_delay_alu instid0(SALU_CYCLE_1) | instskip(SKIP_3) | instid1(SALU_CYCLE_1)
	s_cmp_lg_u32 s21, 0
	s_cselect_b32 s35, s38, s19
	s_cselect_b32 s34, s25, s5
	s_xor_b64 s[6:7], s[36:37], s[6:7]
	s_xor_b64 s[34:35], s[34:35], s[6:7]
	s_delay_alu instid0(SALU_CYCLE_1)
	s_sub_u32 s6, s34, s6
	s_subb_u32 s7, s35, s7
	s_and_not1_b32 vcc_lo, exec_lo, s4
	s_cbranch_vccnz .LBB53_7
.LBB53_6:
	v_cvt_f32_u32_e32 v1, s2
	s_sub_i32 s5, 0, s2
	s_delay_alu instid0(VALU_DEP_1) | instskip(SKIP_2) | instid1(VALU_DEP_1)
	v_rcp_iflag_f32_e32 v1, v1
	s_waitcnt_depctr 0xfff
	v_mul_f32_e32 v1, 0x4f7ffffe, v1
	v_cvt_u32_f32_e32 v1, v1
	s_delay_alu instid0(VALU_DEP_1) | instskip(NEXT) | instid1(VALU_DEP_1)
	v_readfirstlane_b32 s4, v1
	s_mul_i32 s5, s5, s4
	s_delay_alu instid0(SALU_CYCLE_1) | instskip(NEXT) | instid1(SALU_CYCLE_1)
	s_mul_hi_u32 s5, s4, s5
	s_add_i32 s4, s4, s5
	s_delay_alu instid0(SALU_CYCLE_1) | instskip(NEXT) | instid1(SALU_CYCLE_1)
	s_mul_hi_u32 s4, s28, s4
	s_mul_i32 s5, s4, s2
	s_add_i32 s6, s4, 1
	s_sub_i32 s5, s28, s5
	s_delay_alu instid0(SALU_CYCLE_1)
	s_sub_i32 s7, s5, s2
	s_cmp_ge_u32 s5, s2
	s_cselect_b32 s4, s6, s4
	s_cselect_b32 s5, s7, s5
	s_add_i32 s6, s4, 1
	s_cmp_ge_u32 s5, s2
	s_mov_b32 s7, 0
	s_cselect_b32 s6, s6, s4
.LBB53_7:
	s_delay_alu instid0(SALU_CYCLE_1)
	s_mul_i32 s3, s6, s3
	s_mul_hi_u32 s4, s6, s2
	s_mul_hi_u32 s33, s6, s16
	s_add_i32 s3, s4, s3
	s_mul_i32 s4, s7, s2
	s_mul_i32 s2, s6, s2
	s_add_i32 s3, s3, s4
	s_sub_u32 s5, s28, s2
	s_subb_u32 s21, s29, s3
	s_mul_i32 s36, s7, s16
	s_mul_i32 s34, s6, s16
	s_mul_hi_u32 s7, s5, s17
	s_mul_i32 s21, s21, s17
	s_mul_i32 s28, s5, s17
	s_mov_b32 s37, exec_lo
	v_cmpx_gt_i32_e64 s24, v0
	s_cbranch_execz .LBB53_10
; %bb.8:
	s_load_b32 s4, s[0:1], 0x8c
	s_lshl_b64 s[2:3], s[30:31], 1
	s_ashr_i32 s25, s24, 31
	s_ashr_i32 s29, s16, 31
	;; [unrolled: 1-line block ×4, first 2 shown]
	s_mul_i32 s9, s9, s20
	s_mul_hi_u32 s31, s8, s20
	s_mul_i32 s38, s8, s20
	s_mul_i32 s29, s6, s29
	;; [unrolled: 1-line block ×3, first 2 shown]
	v_lshlrev_b32_e32 v5, 2, v0
	v_mov_b32_e32 v7, v0
	s_waitcnt lgkmcnt(0)
	s_and_b32 s30, s4, 0xffff
	s_add_u32 s4, s26, s2
	s_addc_u32 s27, s27, s3
	s_add_i32 s39, s31, s9
	v_add_co_u32 v1, s4, s4, v3
	s_lshl_b64 s[2:3], s[38:39], 1
	s_lshl_b32 s26, s30, 1
	s_lshl_b64 s[8:9], s[24:25], 1
	v_add_co_ci_u32_e64 v2, null, s27, 0, s4
	s_add_u32 s4, s12, s2
	s_addc_u32 s27, s13, s3
	s_add_i32 s2, s33, s29
	s_add_i32 s3, s7, s35
	;; [unrolled: 1-line block ×4, first 2 shown]
	s_lshl_b64 s[2:3], s[34:35], 1
	s_lshl_b64 s[12:13], s[28:29], 1
	s_lshl_b32 s25, s30, 2
	s_add_u32 s12, s2, s12
	s_addc_u32 s13, s3, s13
	s_lshl_b64 s[2:3], s[18:19], 1
	v_add_co_u32 v3, s4, s4, v5
	s_add_u32 s2, s22, s2
	s_addc_u32 s3, s23, s3
	s_add_u32 s2, s2, s12
	s_addc_u32 s3, s3, s13
	v_add_co_u32 v5, s2, s2, v5
	v_add_co_ci_u32_e64 v4, null, s27, 0, s4
	v_add_co_ci_u32_e64 v6, null, s3, 0, s2
	s_mov_b32 s19, 0
	s_mov_b64 s[12:13], 0
.LBB53_9:                               ; =>This Inner Loop Header: Depth=1
	s_delay_alu instid0(SALU_CYCLE_1)
	v_add_co_u32 v8, vcc_lo, v3, s12
	v_add_co_ci_u32_e32 v9, vcc_lo, s13, v4, vcc_lo
	v_add_co_u32 v10, vcc_lo, v1, s8
	v_add_co_ci_u32_e32 v11, vcc_lo, s9, v2, vcc_lo
	global_load_u16 v12, v[1:2], off
	global_load_b32 v13, v[8:9], off
	global_load_u16 v10, v[10:11], off
	v_add_nc_u32_e32 v7, s30, v7
	s_waitcnt vmcnt(0)
	v_lshlrev_b32_e32 v10, 16, v10
	v_lshlrev_b32_e32 v11, 16, v12
	v_and_b32_e32 v12, 0xffff0000, v13
	s_delay_alu instid0(VALU_DEP_1) | instskip(NEXT) | instid1(VALU_DEP_1)
	v_dual_mul_f32 v14, v10, v12 :: v_dual_lshlrev_b32 v13, 16, v13
	v_mul_f32_e32 v10, v13, v10
	s_delay_alu instid0(VALU_DEP_4) | instskip(SKIP_1) | instid1(VALU_DEP_4)
	v_mul_f32_e32 v12, v11, v12
	v_mul_f32_e32 v11, v11, v13
	v_bfe_u32 v13, v14, 16, 1
	s_delay_alu instid0(VALU_DEP_4) | instskip(SKIP_1) | instid1(VALU_DEP_4)
	v_bfe_u32 v17, v10, 16, 1
	v_cmp_o_f32_e32 vcc_lo, v14, v14
	v_bfe_u32 v16, v11, 16, 1
	v_cmp_o_f32_e64 s3, v11, v11
	v_add3_u32 v13, v14, v13, 0x7fff
	v_add3_u32 v17, v10, v17, 0x7fff
	v_cmp_o_f32_e64 s2, v10, v10
	v_add3_u32 v16, v11, v16, 0x7fff
	s_delay_alu instid0(VALU_DEP_4) | instskip(SKIP_2) | instid1(VALU_DEP_4)
	v_and_b32_e32 v13, 0xffff0000, v13
	v_bfe_u32 v15, v12, 16, 1
	v_cmp_o_f32_e64 s4, v12, v12
	v_and_b32_e32 v16, 0xffff0000, v16
	s_delay_alu instid0(VALU_DEP_4) | instskip(NEXT) | instid1(VALU_DEP_4)
	v_cndmask_b32_e32 v11, 0x7fc00000, v13, vcc_lo
	v_add3_u32 v15, v12, v15, 0x7fff
	s_delay_alu instid0(VALU_DEP_3) | instskip(SKIP_1) | instid1(VALU_DEP_3)
	v_cndmask_b32_e64 v12, 0x7fc00000, v16, s3
	v_and_b32_e32 v17, 0xffff0000, v17
	v_and_b32_e32 v15, 0xffff0000, v15
	s_delay_alu instid0(VALU_DEP_3) | instskip(NEXT) | instid1(VALU_DEP_3)
	v_sub_f32_e32 v12, v12, v11
	v_cndmask_b32_e64 v13, 0x7fc00000, v17, s2
	s_delay_alu instid0(VALU_DEP_3) | instskip(NEXT) | instid1(VALU_DEP_3)
	v_cndmask_b32_e64 v10, 0x7fc00000, v15, s4
	v_bfe_u32 v14, v12, 16, 1
	v_cmp_o_f32_e64 s3, v12, v12
	s_delay_alu instid0(VALU_DEP_3) | instskip(SKIP_1) | instid1(VALU_DEP_4)
	v_add_f32_e32 v13, v13, v10
	v_add_co_u32 v10, vcc_lo, v5, s12
	v_add3_u32 v14, v12, v14, 0x7fff
	v_add_co_ci_u32_e32 v11, vcc_lo, s13, v6, vcc_lo
	s_delay_alu instid0(VALU_DEP_4) | instskip(SKIP_1) | instid1(VALU_DEP_4)
	v_bfe_u32 v15, v13, 16, 1
	v_cmp_o_f32_e64 s2, v13, v13
	v_lshrrev_b32_e32 v14, 16, v14
	v_add_co_u32 v1, vcc_lo, v1, s26
	s_delay_alu instid0(VALU_DEP_4) | instskip(SKIP_1) | instid1(VALU_DEP_4)
	v_add3_u32 v15, v13, v15, 0x7fff
	v_add_co_ci_u32_e32 v2, vcc_lo, 0, v2, vcc_lo
	v_cndmask_b32_e64 v12, 0x7fc0, v14, s3
	v_cmp_le_i32_e32 vcc_lo, s24, v7
	s_delay_alu instid0(VALU_DEP_4) | instskip(SKIP_3) | instid1(VALU_DEP_1)
	v_lshrrev_b32_e32 v15, 16, v15
	s_add_u32 s12, s12, s25
	s_addc_u32 s13, s13, 0
	s_or_b32 s19, vcc_lo, s19
	v_cndmask_b32_e64 v13, 0x7fc0, v15, s2
	s_delay_alu instid0(VALU_DEP_1)
	v_perm_b32 v12, v13, v12, 0x5040100
	global_store_b32 v[8:9], v12, off
	global_store_b32 v[10:11], v12, off
	s_and_not1_b32 exec_lo, exec_lo, s19
	s_cbranch_execnz .LBB53_9
.LBB53_10:
	s_or_b32 exec_lo, exec_lo, s37
	s_delay_alu instid0(SALU_CYCLE_1)
	s_mov_b32 s2, exec_lo
	v_cmpx_gt_i32_e64 s18, v0
	s_cbranch_execz .LBB53_13
; %bb.11:
	s_mul_i32 s3, s20, s11
	s_mul_hi_u32 s4, s20, s10
	s_mul_i32 s2, s20, s10
	s_add_i32 s3, s4, s3
	s_delay_alu instid0(SALU_CYCLE_1) | instskip(NEXT) | instid1(SALU_CYCLE_1)
	s_lshl_b64 s[2:3], s[2:3], 1
	s_add_u32 s2, s14, s2
	s_addc_u32 s3, s15, s3
	s_ashr_i32 s4, s16, 31
	s_delay_alu instid0(SALU_CYCLE_1) | instskip(SKIP_2) | instid1(SALU_CYCLE_1)
	s_mul_i32 s4, s6, s4
	s_load_b32 s6, s[0:1], 0x8c
	s_add_i32 s0, s33, s4
	s_add_i32 s35, s0, s36
	s_delay_alu instid0(SALU_CYCLE_1) | instskip(NEXT) | instid1(SALU_CYCLE_1)
	s_lshl_b64 s[0:1], s[34:35], 1
	s_add_u32 s0, s22, s0
	s_addc_u32 s8, s23, s1
	s_ashr_i32 s1, s17, 31
	s_delay_alu instid0(SALU_CYCLE_1) | instskip(NEXT) | instid1(SALU_CYCLE_1)
	s_mul_i32 s5, s5, s1
	s_add_i32 s1, s7, s5
	s_delay_alu instid0(SALU_CYCLE_1) | instskip(NEXT) | instid1(SALU_CYCLE_1)
	s_add_i32 s29, s1, s21
	s_lshl_b64 s[4:5], s[28:29], 1
	s_delay_alu instid0(SALU_CYCLE_1)
	s_add_u32 s1, s0, s4
	s_addc_u32 s4, s8, s5
	s_waitcnt lgkmcnt(0)
	s_and_b32 s5, s6, 0xffff
	s_mov_b32 s6, 0
	.p2align	6
.LBB53_12:                              ; =>This Inner Loop Header: Depth=1
	v_ashrrev_i32_e32 v1, 31, v0
	s_delay_alu instid0(VALU_DEP_1) | instskip(SKIP_1) | instid1(VALU_DEP_2)
	v_lshlrev_b64 v[1:2], 1, v[0:1]
	v_add_nc_u32_e32 v0, s5, v0
	v_add_co_u32 v3, vcc_lo, s2, v1
	s_delay_alu instid0(VALU_DEP_3) | instskip(NEXT) | instid1(VALU_DEP_3)
	v_add_co_ci_u32_e32 v4, vcc_lo, s3, v2, vcc_lo
	v_cmp_le_i32_e32 vcc_lo, s18, v0
	v_add_co_u32 v1, s0, s1, v1
	global_load_u16 v3, v[3:4], off
	v_add_co_ci_u32_e64 v2, s0, s4, v2, s0
	s_or_b32 s6, vcc_lo, s6
	s_waitcnt vmcnt(0)
	global_store_b16 v[1:2], v3, off
	s_and_not1_b32 exec_lo, exec_lo, s6
	s_cbranch_execnz .LBB53_12
.LBB53_13:
	s_nop 0
	s_sendmsg sendmsg(MSG_DEALLOC_VGPRS)
	s_endpgm
.LBB53_14:
                                        ; implicit-def: $sgpr6_sgpr7
	s_branch .LBB53_6
	.section	.rodata,"a",@progbits
	.p2align	6, 0x0
	.amdhsa_kernel _ZN4vllm38concat_and_cache_mla_rope_fused_kernelIN3c108BFloat16ES2_Lb0E14__hip_bfloat16S3_LNS_18Fp8KVCacheDataTypeE0EEEvPKlPT_S8_PKS7_PKT0_illlliPT3_S6_iiiiPKf
		.amdhsa_group_segment_fixed_size 0
		.amdhsa_private_segment_fixed_size 0
		.amdhsa_kernarg_size 384
		.amdhsa_user_sgpr_count 15
		.amdhsa_user_sgpr_dispatch_ptr 0
		.amdhsa_user_sgpr_queue_ptr 0
		.amdhsa_user_sgpr_kernarg_segment_ptr 1
		.amdhsa_user_sgpr_dispatch_id 0
		.amdhsa_user_sgpr_private_segment_size 0
		.amdhsa_wavefront_size32 1
		.amdhsa_uses_dynamic_stack 0
		.amdhsa_enable_private_segment 0
		.amdhsa_system_sgpr_workgroup_id_x 1
		.amdhsa_system_sgpr_workgroup_id_y 0
		.amdhsa_system_sgpr_workgroup_id_z 0
		.amdhsa_system_sgpr_workgroup_info 0
		.amdhsa_system_vgpr_workitem_id 0
		.amdhsa_next_free_vgpr 18
		.amdhsa_next_free_sgpr 43
		.amdhsa_reserve_vcc 1
		.amdhsa_float_round_mode_32 0
		.amdhsa_float_round_mode_16_64 0
		.amdhsa_float_denorm_mode_32 3
		.amdhsa_float_denorm_mode_16_64 3
		.amdhsa_dx10_clamp 1
		.amdhsa_ieee_mode 1
		.amdhsa_fp16_overflow 0
		.amdhsa_workgroup_processor_mode 1
		.amdhsa_memory_ordered 1
		.amdhsa_forward_progress 0
		.amdhsa_shared_vgpr_count 0
		.amdhsa_exception_fp_ieee_invalid_op 0
		.amdhsa_exception_fp_denorm_src 0
		.amdhsa_exception_fp_ieee_div_zero 0
		.amdhsa_exception_fp_ieee_overflow 0
		.amdhsa_exception_fp_ieee_underflow 0
		.amdhsa_exception_fp_ieee_inexact 0
		.amdhsa_exception_int_div_zero 0
	.end_amdhsa_kernel
	.section	.text._ZN4vllm38concat_and_cache_mla_rope_fused_kernelIN3c108BFloat16ES2_Lb0E14__hip_bfloat16S3_LNS_18Fp8KVCacheDataTypeE0EEEvPKlPT_S8_PKS7_PKT0_illlliPT3_S6_iiiiPKf,"axG",@progbits,_ZN4vllm38concat_and_cache_mla_rope_fused_kernelIN3c108BFloat16ES2_Lb0E14__hip_bfloat16S3_LNS_18Fp8KVCacheDataTypeE0EEEvPKlPT_S8_PKS7_PKT0_illlliPT3_S6_iiiiPKf,comdat
.Lfunc_end53:
	.size	_ZN4vllm38concat_and_cache_mla_rope_fused_kernelIN3c108BFloat16ES2_Lb0E14__hip_bfloat16S3_LNS_18Fp8KVCacheDataTypeE0EEEvPKlPT_S8_PKS7_PKT0_illlliPT3_S6_iiiiPKf, .Lfunc_end53-_ZN4vllm38concat_and_cache_mla_rope_fused_kernelIN3c108BFloat16ES2_Lb0E14__hip_bfloat16S3_LNS_18Fp8KVCacheDataTypeE0EEEvPKlPT_S8_PKS7_PKT0_illlliPT3_S6_iiiiPKf
                                        ; -- End function
	.section	.AMDGPU.csdata,"",@progbits
; Kernel info:
; codeLenInByte = 2908
; NumSgprs: 45
; NumVgprs: 18
; ScratchSize: 0
; MemoryBound: 0
; FloatMode: 240
; IeeeMode: 1
; LDSByteSize: 0 bytes/workgroup (compile time only)
; SGPRBlocks: 5
; VGPRBlocks: 2
; NumSGPRsForWavesPerEU: 45
; NumVGPRsForWavesPerEU: 18
; Occupancy: 16
; WaveLimiterHint : 1
; COMPUTE_PGM_RSRC2:SCRATCH_EN: 0
; COMPUTE_PGM_RSRC2:USER_SGPR: 15
; COMPUTE_PGM_RSRC2:TRAP_HANDLER: 0
; COMPUTE_PGM_RSRC2:TGID_X_EN: 1
; COMPUTE_PGM_RSRC2:TGID_Y_EN: 0
; COMPUTE_PGM_RSRC2:TGID_Z_EN: 0
; COMPUTE_PGM_RSRC2:TIDIG_COMP_CNT: 0
	.section	.text._ZN4vllm38concat_and_cache_mla_rope_fused_kernelIffLb1EfhLNS_18Fp8KVCacheDataTypeE1EEEvPKlPT_S5_PKS4_PKT0_illlliPT3_S3_iiiiPKf,"axG",@progbits,_ZN4vllm38concat_and_cache_mla_rope_fused_kernelIffLb1EfhLNS_18Fp8KVCacheDataTypeE1EEEvPKlPT_S5_PKS4_PKT0_illlliPT3_S3_iiiiPKf,comdat
	.protected	_ZN4vllm38concat_and_cache_mla_rope_fused_kernelIffLb1EfhLNS_18Fp8KVCacheDataTypeE1EEEvPKlPT_S5_PKS4_PKT0_illlliPT3_S3_iiiiPKf ; -- Begin function _ZN4vllm38concat_and_cache_mla_rope_fused_kernelIffLb1EfhLNS_18Fp8KVCacheDataTypeE1EEEvPKlPT_S5_PKS4_PKT0_illlliPT3_S3_iiiiPKf
	.globl	_ZN4vllm38concat_and_cache_mla_rope_fused_kernelIffLb1EfhLNS_18Fp8KVCacheDataTypeE1EEEvPKlPT_S5_PKS4_PKT0_illlliPT3_S3_iiiiPKf
	.p2align	8
	.type	_ZN4vllm38concat_and_cache_mla_rope_fused_kernelIffLb1EfhLNS_18Fp8KVCacheDataTypeE1EEEvPKlPT_S5_PKS4_PKT0_illlliPT3_S3_iiiiPKf,@function
_ZN4vllm38concat_and_cache_mla_rope_fused_kernelIffLb1EfhLNS_18Fp8KVCacheDataTypeE1EEEvPKlPT_S5_PKS4_PKT0_illlliPT3_S3_iiiiPKf: ; @_ZN4vllm38concat_and_cache_mla_rope_fused_kernelIffLb1EfhLNS_18Fp8KVCacheDataTypeE1EEEvPKlPT_S5_PKS4_PKT0_illlliPT3_S3_iiiiPKf
; %bb.0:
	s_load_b64 s[4:5], s[0:1], 0x60
	s_mov_b32 s16, s15
	s_mov_b32 s17, 0
	s_delay_alu instid0(SALU_CYCLE_1)
	s_lshl_b64 s[2:3], s[16:17], 3
	s_waitcnt lgkmcnt(0)
	s_add_u32 s4, s4, s2
	s_addc_u32 s5, s5, s3
	s_load_b64 s[28:29], s[4:5], 0x0
	s_waitcnt lgkmcnt(0)
	v_cmp_lt_i64_e64 s4, s[28:29], 0
	s_delay_alu instid0(VALU_DEP_1)
	s_and_b32 vcc_lo, exec_lo, s4
	s_cbranch_vccnz .LBB54_67
; %bb.1:
	s_clause 0x2
	s_load_b32 s22, s[0:1], 0x28
	s_load_b64 s[4:5], s[0:1], 0x0
	s_load_b128 s[12:15], s[0:1], 0x10
	s_waitcnt lgkmcnt(0)
	s_ashr_i32 s17, s22, 31
	s_add_u32 s2, s4, s2
	s_addc_u32 s3, s5, s3
	s_load_b64 s[20:21], s[2:3], 0x0
	s_clause 0x3
	s_load_b64 s[2:3], s[0:1], 0x20
	s_load_b32 s23, s[0:1], 0x50
	s_load_b64 s[18:19], s[0:1], 0x58
	s_load_b256 s[4:11], s[0:1], 0x30
	s_waitcnt lgkmcnt(0)
	s_mul_i32 s17, s20, s17
	s_mul_hi_u32 s24, s20, s22
	s_mul_i32 s21, s21, s22
	s_add_i32 s17, s24, s17
	s_mul_i32 s20, s20, s22
	s_add_i32 s21, s17, s21
	s_delay_alu instid0(SALU_CYCLE_1) | instskip(NEXT) | instid1(SALU_CYCLE_1)
	s_lshl_b64 s[26:27], s[20:21], 2
	s_add_u32 s17, s2, s26
	s_addc_u32 s33, s3, s27
	s_lshr_b32 s20, s22, 31
	s_delay_alu instid0(SALU_CYCLE_1) | instskip(NEXT) | instid1(SALU_CYCLE_1)
	s_add_i32 s22, s22, s20
	s_ashr_i32 s20, s22, 1
	s_delay_alu instid0(SALU_CYCLE_1)
	s_mul_i32 s22, s20, s23
	s_mov_b32 s23, exec_lo
	v_cmpx_gt_i32_e64 s22, v0
	s_cbranch_execz .LBB54_4
; %bb.2:
	s_clause 0x1
	s_load_b64 s[24:25], s[0:1], 0x8
	s_load_b32 s31, s[0:1], 0x8c
	s_mul_i32 s5, s16, s5
	s_mul_hi_u32 s21, s16, s4
	s_mul_i32 s4, s16, s4
	s_add_i32 s5, s21, s5
	s_ashr_i32 s21, s20, 31
	s_lshl_b64 s[4:5], s[4:5], 2
	s_mov_b32 s34, 0
	s_waitcnt lgkmcnt(0)
	s_add_u32 s24, s24, s4
	s_addc_u32 s25, s25, s5
	s_abs_i32 s30, s20
	s_and_b32 s31, s31, 0xffff
	v_cvt_f32_u32_e32 v1, s30
	s_sub_i32 s4, 0, s30
	s_sub_i32 s35, 0, s20
	s_delay_alu instid0(VALU_DEP_1) | instskip(SKIP_2) | instid1(VALU_DEP_1)
	v_rcp_iflag_f32_e32 v1, v1
	s_waitcnt_depctr 0xfff
	v_mul_f32_e32 v1, 0x4f7ffffe, v1
	v_cvt_u32_f32_e32 v1, v1
	s_delay_alu instid0(VALU_DEP_1) | instskip(SKIP_1) | instid1(VALU_DEP_1)
	v_mul_lo_u32 v2, s4, v1
	s_lshl_b64 s[4:5], s[20:21], 2
	v_mul_hi_u32 v2, v1, v2
	s_delay_alu instid0(VALU_DEP_1)
	v_dual_mov_b32 v1, v0 :: v_dual_add_nc_u32 v2, v1, v2
.LBB54_3:                               ; =>This Inner Loop Header: Depth=1
	s_delay_alu instid0(VALU_DEP_1) | instskip(SKIP_1) | instid1(VALU_DEP_2)
	v_sub_nc_u32_e32 v3, 0, v1
	v_ashrrev_i32_e32 v4, 31, v1
	v_max_i32_e32 v3, v1, v3
	s_delay_alu instid0(VALU_DEP_2) | instskip(NEXT) | instid1(VALU_DEP_2)
	v_xor_b32_e32 v4, s21, v4
	v_mul_hi_u32 v5, v3, v2
	s_delay_alu instid0(VALU_DEP_1) | instskip(SKIP_1) | instid1(VALU_DEP_2)
	v_mul_lo_u32 v6, v5, s30
	v_add_nc_u32_e32 v7, 1, v5
	v_sub_nc_u32_e32 v3, v3, v6
	s_delay_alu instid0(VALU_DEP_1) | instskip(SKIP_1) | instid1(VALU_DEP_4)
	v_subrev_nc_u32_e32 v6, s30, v3
	v_cmp_le_u32_e32 vcc_lo, s30, v3
	v_cndmask_b32_e32 v5, v5, v7, vcc_lo
	s_delay_alu instid0(VALU_DEP_1) | instskip(NEXT) | instid1(VALU_DEP_1)
	v_dual_cndmask_b32 v3, v3, v6 :: v_dual_add_nc_u32 v6, 1, v5
	v_cmp_le_u32_e32 vcc_lo, s30, v3
	s_delay_alu instid0(VALU_DEP_2) | instskip(NEXT) | instid1(VALU_DEP_1)
	v_cndmask_b32_e32 v3, v5, v6, vcc_lo
	v_xor_b32_e32 v3, v3, v4
	s_delay_alu instid0(VALU_DEP_1) | instskip(NEXT) | instid1(VALU_DEP_1)
	v_sub_nc_u32_e32 v7, v3, v4
	v_ashrrev_i32_e32 v8, 31, v7
	v_mad_u64_u32 v[3:4], null, s35, v7, v[1:2]
	v_mul_lo_u32 v9, v7, s7
	v_mad_u64_u32 v[5:6], null, v7, s6, 0
	s_delay_alu instid0(VALU_DEP_4) | instskip(SKIP_2) | instid1(VALU_DEP_3)
	v_mul_lo_u32 v7, v8, s6
	v_add_nc_u32_e32 v1, s31, v1
	v_ashrrev_i32_e32 v4, 31, v3
	v_add3_u32 v6, v6, v9, v7
	s_delay_alu instid0(VALU_DEP_2) | instskip(NEXT) | instid1(VALU_DEP_2)
	v_lshlrev_b64 v[3:4], 2, v[3:4]
	v_lshlrev_b64 v[5:6], 2, v[5:6]
	s_delay_alu instid0(VALU_DEP_2) | instskip(NEXT) | instid1(VALU_DEP_3)
	v_add_co_u32 v7, vcc_lo, s17, v3
	v_add_co_ci_u32_e32 v8, vcc_lo, s33, v4, vcc_lo
	s_delay_alu instid0(VALU_DEP_3) | instskip(NEXT) | instid1(VALU_DEP_4)
	v_add_co_u32 v9, vcc_lo, s24, v5
	v_add_co_ci_u32_e32 v10, vcc_lo, s25, v6, vcc_lo
	s_delay_alu instid0(VALU_DEP_4) | instskip(NEXT) | instid1(VALU_DEP_4)
	v_add_co_u32 v5, vcc_lo, v7, s4
	v_add_co_ci_u32_e32 v6, vcc_lo, s5, v8, vcc_lo
	s_delay_alu instid0(VALU_DEP_4) | instskip(NEXT) | instid1(VALU_DEP_4)
	v_add_co_u32 v3, vcc_lo, v9, v3
	v_add_co_ci_u32_e32 v4, vcc_lo, v10, v4, vcc_lo
	s_delay_alu instid0(VALU_DEP_2) | instskip(NEXT) | instid1(VALU_DEP_2)
	v_add_co_u32 v9, vcc_lo, v3, s4
	v_add_co_ci_u32_e32 v10, vcc_lo, s5, v4, vcc_lo
	s_clause 0x1
	global_load_b32 v7, v[7:8], off
	global_load_b32 v5, v[5:6], off
	s_clause 0x1
	global_load_b32 v6, v[3:4], off
	global_load_b32 v8, v[9:10], off
	v_cmp_le_i32_e32 vcc_lo, s22, v1
	s_or_b32 s34, vcc_lo, s34
	s_waitcnt vmcnt(0)
	v_mul_f32_e32 v11, v5, v8
	v_mul_f32_e32 v8, v7, v8
	s_delay_alu instid0(VALU_DEP_2) | instskip(NEXT) | instid1(VALU_DEP_2)
	v_fma_f32 v7, v7, v6, -v11
	v_fmac_f32_e32 v8, v5, v6
	s_clause 0x1
	global_store_b32 v[3:4], v7, off
	global_store_b32 v[9:10], v8, off
	s_and_not1_b32 exec_lo, exec_lo, s34
	s_cbranch_execnz .LBB54_3
.LBB54_4:
	s_or_b32 exec_lo, exec_lo, s23
	s_load_b128 s[4:7], s[0:1], 0x68
	s_waitcnt lgkmcnt(0)
	s_ashr_i32 s31, s7, 31
	s_mov_b32 s30, s7
	s_delay_alu instid0(SALU_CYCLE_1) | instskip(SKIP_1) | instid1(SALU_CYCLE_1)
	s_or_b64 s[24:25], s[28:29], s[30:31]
	s_mov_b32 s24, 0
	s_cmp_lg_u64 s[24:25], 0
	s_cbranch_scc0 .LBB54_68
; %bb.5:
	s_add_u32 s34, s30, s31
	s_mov_b32 s22, s31
	s_mov_b32 s23, s31
	s_addc_u32 s35, s31, s31
	s_delay_alu instid0(SALU_CYCLE_1) | instskip(NEXT) | instid1(SALU_CYCLE_1)
	s_xor_b64 s[34:35], s[34:35], s[22:23]
	v_cvt_f32_u32_e32 v1, s34
	v_cvt_f32_u32_e32 v2, s35
	s_sub_u32 s25, 0, s34
	s_subb_u32 s36, 0, s35
	s_delay_alu instid0(VALU_DEP_1) | instskip(NEXT) | instid1(VALU_DEP_1)
	v_fmamk_f32 v1, v2, 0x4f800000, v1
	v_rcp_f32_e32 v1, v1
	s_waitcnt_depctr 0xfff
	v_mul_f32_e32 v1, 0x5f7ffffc, v1
	s_delay_alu instid0(VALU_DEP_1) | instskip(NEXT) | instid1(VALU_DEP_1)
	v_mul_f32_e32 v2, 0x2f800000, v1
	v_trunc_f32_e32 v2, v2
	s_delay_alu instid0(VALU_DEP_1) | instskip(SKIP_1) | instid1(VALU_DEP_2)
	v_fmamk_f32 v1, v2, 0xcf800000, v1
	v_cvt_u32_f32_e32 v2, v2
	v_cvt_u32_f32_e32 v1, v1
	s_delay_alu instid0(VALU_DEP_2) | instskip(NEXT) | instid1(VALU_DEP_2)
	v_readfirstlane_b32 s7, v2
	v_readfirstlane_b32 s21, v1
	s_delay_alu instid0(VALU_DEP_2) | instskip(NEXT) | instid1(VALU_DEP_1)
	s_mul_i32 s37, s25, s7
	s_mul_hi_u32 s39, s25, s21
	s_mul_i32 s38, s36, s21
	s_add_i32 s37, s39, s37
	s_mul_i32 s40, s25, s21
	s_add_i32 s37, s37, s38
	s_mul_hi_u32 s39, s21, s40
	s_mul_hi_u32 s41, s7, s40
	s_mul_i32 s38, s7, s40
	s_mul_hi_u32 s40, s21, s37
	s_mul_i32 s21, s21, s37
	s_mul_hi_u32 s42, s7, s37
	s_add_u32 s21, s39, s21
	s_addc_u32 s39, 0, s40
	s_add_u32 s21, s21, s38
	s_mul_i32 s37, s7, s37
	s_addc_u32 s21, s39, s41
	s_addc_u32 s38, s42, 0
	s_add_u32 s21, s21, s37
	s_addc_u32 s37, 0, s38
	v_add_co_u32 v1, s21, v1, s21
	s_delay_alu instid0(VALU_DEP_1) | instskip(SKIP_1) | instid1(VALU_DEP_1)
	s_cmp_lg_u32 s21, 0
	s_addc_u32 s7, s7, s37
	v_readfirstlane_b32 s21, v1
	s_mul_i32 s37, s25, s7
	s_delay_alu instid0(VALU_DEP_1)
	s_mul_hi_u32 s38, s25, s21
	s_mul_i32 s36, s36, s21
	s_add_i32 s37, s38, s37
	s_mul_i32 s25, s25, s21
	s_add_i32 s37, s37, s36
	s_mul_hi_u32 s38, s7, s25
	s_mul_i32 s39, s7, s25
	s_mul_hi_u32 s25, s21, s25
	s_mul_hi_u32 s40, s21, s37
	s_mul_i32 s21, s21, s37
	s_mul_hi_u32 s36, s7, s37
	s_add_u32 s21, s25, s21
	s_addc_u32 s25, 0, s40
	s_add_u32 s21, s21, s39
	s_mul_i32 s37, s7, s37
	s_addc_u32 s21, s25, s38
	s_addc_u32 s25, s36, 0
	s_add_u32 s21, s21, s37
	s_addc_u32 s25, 0, s25
	v_add_co_u32 v1, s21, v1, s21
	s_delay_alu instid0(VALU_DEP_1) | instskip(SKIP_2) | instid1(VALU_DEP_1)
	s_cmp_lg_u32 s21, 0
	s_addc_u32 s7, s7, s25
	s_ashr_i32 s36, s29, 31
	v_readfirstlane_b32 s21, v1
	s_add_u32 s38, s28, s36
	s_mov_b32 s37, s36
	s_addc_u32 s39, s29, s36
	s_delay_alu instid0(SALU_CYCLE_1) | instskip(NEXT) | instid1(SALU_CYCLE_1)
	s_xor_b64 s[38:39], s[38:39], s[36:37]
	s_mul_i32 s40, s38, s7
	s_mul_hi_u32 s41, s38, s21
	s_mul_hi_u32 s25, s38, s7
	;; [unrolled: 1-line block ×3, first 2 shown]
	s_mul_i32 s21, s39, s21
	s_add_u32 s40, s41, s40
	s_addc_u32 s25, 0, s25
	s_mul_hi_u32 s42, s39, s7
	s_add_u32 s21, s40, s21
	s_mul_i32 s7, s39, s7
	s_addc_u32 s21, s25, s43
	s_addc_u32 s25, s42, 0
	s_add_u32 s7, s21, s7
	s_addc_u32 s21, 0, s25
	s_mul_i32 s42, s34, s7
	s_mul_hi_u32 s25, s34, s7
	s_mul_i32 s41, s34, s21
	v_sub_co_u32 v1, s38, s38, s42
	s_mul_i32 s40, s35, s7
	s_add_i32 s25, s25, s41
	s_delay_alu instid0(SALU_CYCLE_1) | instskip(NEXT) | instid1(VALU_DEP_1)
	s_add_i32 s25, s25, s40
	v_sub_co_u32 v2, s41, v1, s34
	s_sub_i32 s40, s39, s25
	s_cmp_lg_u32 s38, 0
	s_subb_u32 s40, s40, s35
	s_cmp_lg_u32 s41, 0
	v_readfirstlane_b32 s41, v2
	s_subb_u32 s40, s40, 0
	s_delay_alu instid0(SALU_CYCLE_1) | instskip(SKIP_1) | instid1(VALU_DEP_1)
	s_cmp_ge_u32 s40, s35
	s_cselect_b32 s42, -1, 0
	s_cmp_ge_u32 s41, s34
	s_cselect_b32 s41, -1, 0
	s_cmp_eq_u32 s40, s35
	s_cselect_b32 s40, s41, s42
	s_add_u32 s41, s7, 1
	s_addc_u32 s42, s21, 0
	s_add_u32 s43, s7, 2
	s_addc_u32 s44, s21, 0
	s_cmp_lg_u32 s40, 0
	s_cselect_b32 s40, s43, s41
	s_cselect_b32 s41, s44, s42
	s_cmp_lg_u32 s38, 0
	v_readfirstlane_b32 s38, v1
	s_subb_u32 s25, s39, s25
	s_delay_alu instid0(SALU_CYCLE_1) | instskip(SKIP_1) | instid1(VALU_DEP_1)
	s_cmp_ge_u32 s25, s35
	s_cselect_b32 s39, -1, 0
	s_cmp_ge_u32 s38, s34
	s_cselect_b32 s34, -1, 0
	s_cmp_eq_u32 s25, s35
	s_cselect_b32 s25, s34, s39
	s_delay_alu instid0(SALU_CYCLE_1) | instskip(SKIP_3) | instid1(SALU_CYCLE_1)
	s_cmp_lg_u32 s25, 0
	s_cselect_b32 s35, s41, s21
	s_cselect_b32 s34, s40, s7
	s_xor_b64 s[22:23], s[36:37], s[22:23]
	s_xor_b64 s[34:35], s[34:35], s[22:23]
	s_delay_alu instid0(SALU_CYCLE_1)
	s_sub_u32 s22, s34, s22
	s_subb_u32 s23, s35, s23
	s_and_not1_b32 vcc_lo, exec_lo, s24
	s_cbranch_vccnz .LBB54_7
.LBB54_6:
	v_cvt_f32_u32_e32 v1, s30
	s_sub_i32 s21, 0, s30
	s_delay_alu instid0(VALU_DEP_1) | instskip(SKIP_2) | instid1(VALU_DEP_1)
	v_rcp_iflag_f32_e32 v1, v1
	s_waitcnt_depctr 0xfff
	v_mul_f32_e32 v1, 0x4f7ffffe, v1
	v_cvt_u32_f32_e32 v1, v1
	s_delay_alu instid0(VALU_DEP_1) | instskip(NEXT) | instid1(VALU_DEP_1)
	v_readfirstlane_b32 s7, v1
	s_mul_i32 s21, s21, s7
	s_delay_alu instid0(SALU_CYCLE_1) | instskip(NEXT) | instid1(SALU_CYCLE_1)
	s_mul_hi_u32 s21, s7, s21
	s_add_i32 s7, s7, s21
	s_delay_alu instid0(SALU_CYCLE_1) | instskip(NEXT) | instid1(SALU_CYCLE_1)
	s_mul_hi_u32 s7, s28, s7
	s_mul_i32 s21, s7, s30
	s_add_i32 s22, s7, 1
	s_sub_i32 s21, s28, s21
	s_delay_alu instid0(SALU_CYCLE_1)
	s_sub_i32 s23, s21, s30
	s_cmp_ge_u32 s21, s30
	s_cselect_b32 s7, s22, s7
	s_cselect_b32 s21, s23, s21
	s_add_i32 s22, s7, 1
	s_cmp_ge_u32 s21, s30
	s_mov_b32 s23, 0
	s_cselect_b32 s22, s22, s7
.LBB54_7:
	s_load_b64 s[24:25], s[0:1], 0x78
	s_mul_i32 s7, s22, s31
	s_mul_hi_u32 s21, s22, s30
	s_mul_i32 s31, s23, s4
	s_add_i32 s7, s21, s7
	s_mul_i32 s21, s23, s30
	s_mul_i32 s30, s22, s30
	s_add_i32 s21, s7, s21
	s_sub_u32 s7, s28, s30
	s_subb_u32 s21, s29, s21
	s_mul_hi_u32 s30, s22, s4
	s_mul_i32 s34, s22, s4
	s_mul_hi_u32 s29, s7, s5
	s_mul_i32 s23, s21, s5
	s_mul_i32 s28, s7, s5
	s_mov_b32 s35, exec_lo
	v_cmpx_gt_i32_e64 s20, v0
	s_cbranch_execz .LBB54_46
; %bb.8:
	s_load_b32 s38, s[0:1], 0x8c
	s_mul_i32 s9, s16, s9
	s_mul_hi_u32 s37, s16, s8
	s_mul_i32 s36, s16, s8
	s_add_i32 s37, s37, s9
	s_ashr_i32 s21, s20, 31
	s_lshl_b64 s[40:41], s[36:37], 2
	s_waitcnt lgkmcnt(0)
	s_load_b32 s8, s[24:25], 0x0
	s_add_u32 s9, s12, s40
	s_addc_u32 s36, s13, s41
	s_ashr_i32 s37, s4, 31
	s_ashr_i32 s39, s5, 31
	s_mul_i32 s37, s22, s37
	s_mul_i32 s39, s7, s39
	s_add_i32 s37, s30, s37
	s_add_i32 s39, s29, s39
	;; [unrolled: 1-line block ×3, first 2 shown]
	s_lshl_b64 s[42:43], s[20:21], 2
	s_ashr_i32 s44, s6, 31
	s_add_i32 s39, s39, s23
	s_and_b32 s37, s38, 0xffff
	v_dual_mov_b32 v2, 0 :: v_dual_lshlrev_b32 v9, 2, v0
	s_lshl_b32 s38, s37, 2
	s_add_u32 s26, s26, s42
	s_addc_u32 s27, s27, s43
	s_add_u32 s26, s2, s26
	s_addc_u32 s3, s3, s27
	s_add_u32 s2, s40, s42
	s_addc_u32 s27, s41, s43
	s_add_u32 s12, s12, s2
	s_addc_u32 s13, s13, s27
	s_add_u32 s2, s34, s28
	s_addc_u32 s27, s45, s39
	s_add_u32 s2, s2, s6
	s_addc_u32 s27, s27, s44
	s_add_u32 s2, s18, s2
	s_addc_u32 s27, s19, s27
	v_add_co_u32 v3, s2, s2, v0
	s_delay_alu instid0(VALU_DEP_1)
	v_add_co_ci_u32_e64 v4, null, s27, 0, s2
	v_mov_b32_e32 v10, v0
	s_mov_b32 s27, 0
	s_branch .LBB54_10
.LBB54_9:                               ;   in Loop: Header=BB54_10 Depth=1
	s_or_b32 exec_lo, exec_lo, s2
	v_add_nc_u32_e32 v10, s37, v10
	v_add_co_u32 v7, vcc_lo, v3, s20
	s_add_u32 s17, s17, s38
	s_addc_u32 s33, s33, 0
	v_add_co_ci_u32_e32 v8, vcc_lo, s21, v4, vcc_lo
	s_add_u32 s26, s26, s38
	s_addc_u32 s3, s3, 0
	v_cmp_le_i32_e32 vcc_lo, s20, v10
	v_add_co_u32 v3, s2, v3, s37
	s_add_u32 s12, s12, s38
	s_addc_u32 s13, s13, 0
	v_add_co_ci_u32_e64 v4, s2, 0, v4, s2
	s_add_u32 s9, s9, s38
	s_addc_u32 s36, s36, 0
	s_or_b32 s27, vcc_lo, s27
	global_store_b8 v[7:8], v6, off
	s_and_not1_b32 exec_lo, exec_lo, s27
	s_cbranch_execz .LBB54_46
.LBB54_10:                              ; =>This Inner Loop Header: Depth=1
	v_add_co_u32 v5, s2, s26, v9
	s_delay_alu instid0(VALU_DEP_1) | instskip(SKIP_1) | instid1(VALU_DEP_1)
	v_add_co_ci_u32_e64 v6, null, s3, 0, s2
	v_add_co_u32 v7, s2, s17, v9
	v_add_co_ci_u32_e64 v8, null, s33, 0, s2
	v_add_co_u32 v13, s2, s12, v9
	s_delay_alu instid0(VALU_DEP_1) | instskip(SKIP_1) | instid1(VALU_DEP_1)
	v_add_co_ci_u32_e64 v14, null, s13, 0, s2
	v_add_co_u32 v15, s2, s9, v9
	v_add_co_ci_u32_e64 v16, null, s36, 0, s2
	global_load_b32 v1, v[5:6], off
	global_load_b32 v11, v[13:14], off
	;; [unrolled: 1-line block ×4, first 2 shown]
	s_waitcnt vmcnt(2)
	v_mul_f32_e32 v5, v1, v11
	s_waitcnt vmcnt(1)
	v_mul_f32_e32 v11, v7, v11
	s_waitcnt vmcnt(0)
	s_delay_alu instid0(VALU_DEP_2) | instskip(NEXT) | instid1(VALU_DEP_2)
	v_fma_f32 v18, v7, v17, -v5
	v_fmac_f32_e32 v11, v1, v17
	global_store_b32 v[15:16], v18, off
	global_store_b32 v[13:14], v11, off
	s_waitcnt lgkmcnt(0)
	v_div_scale_f32 v5, null, s8, s8, v18
	s_delay_alu instid0(VALU_DEP_1) | instskip(SKIP_2) | instid1(VALU_DEP_1)
	v_rcp_f32_e32 v6, v5
	s_waitcnt_depctr 0xfff
	v_fma_f32 v8, -v5, v6, 1.0
	v_fmac_f32_e32 v6, v8, v6
	v_div_scale_f32 v8, vcc_lo, v18, s8, v18
	s_delay_alu instid0(VALU_DEP_1) | instskip(NEXT) | instid1(VALU_DEP_1)
	v_mul_f32_e32 v12, v8, v6
	v_fma_f32 v19, -v5, v12, v8
	s_delay_alu instid0(VALU_DEP_1) | instskip(NEXT) | instid1(VALU_DEP_1)
	v_fmac_f32_e32 v12, v19, v6
	v_fma_f32 v5, -v5, v12, v8
	v_mov_b32_e32 v8, v2
	s_delay_alu instid0(VALU_DEP_2) | instskip(NEXT) | instid1(VALU_DEP_1)
	v_div_fmas_f32 v5, v5, v6, v12
	v_div_fixup_f32 v5, v5, s8, v18
	s_delay_alu instid0(VALU_DEP_1) | instskip(SKIP_2) | instid1(VALU_DEP_3)
	v_lshrrev_b32_e32 v6, 24, v5
	v_and_b32_e32 v7, 0x7f800000, v5
	v_and_b32_e32 v1, 0x7fffff, v5
	;; [unrolled: 1-line block ×3, first 2 shown]
	s_delay_alu instid0(VALU_DEP_3) | instskip(NEXT) | instid1(VALU_DEP_2)
	v_cmp_ne_u64_e32 vcc_lo, 0x7f800000, v[7:8]
	v_or_b32_e32 v7, 0x7e, v12
	s_and_saveexec_b32 s2, vcc_lo
	s_delay_alu instid0(SALU_CYCLE_1)
	s_xor_b32 s39, exec_lo, s2
	s_cbranch_execz .LBB54_26
; %bb.11:                               ;   in Loop: Header=BB54_10 Depth=1
	v_dual_mov_b32 v14, v2 :: v_dual_and_b32 v13, 0x7fffffff, v5
	s_mov_b32 s2, exec_lo
	s_delay_alu instid0(VALU_DEP_1)
	v_cmpx_gt_u64_e32 0x43e00001, v[13:14]
	s_xor_b32 s40, exec_lo, s2
	s_cbranch_execz .LBB54_25
; %bb.12:                               ;   in Loop: Header=BB54_10 Depth=1
	v_mov_b32_e32 v7, 0
	s_mov_b32 s41, exec_lo
	v_cmpx_ne_u32_e32 0, v5
	s_cbranch_execz .LBB54_24
; %bb.13:                               ;   in Loop: Header=BB54_10 Depth=1
	v_bfe_u32 v13, v5, 23, 8
	v_or_b32_e32 v7, 0x800000, v1
	s_delay_alu instid0(VALU_DEP_2) | instskip(SKIP_1) | instid1(VALU_DEP_2)
	v_sub_nc_u32_e32 v5, 0x79, v13
	v_cmp_gt_u32_e32 vcc_lo, 0x7a, v13
	v_cndmask_b32_e32 v5, 0, v5, vcc_lo
	v_cmp_eq_u32_e32 vcc_lo, 0, v13
	s_delay_alu instid0(VALU_DEP_2) | instskip(SKIP_1) | instid1(VALU_DEP_2)
	v_cndmask_b32_e64 v14, v5, 0x78, vcc_lo
	v_cndmask_b32_e32 v1, v7, v1, vcc_lo
	v_add_nc_u32_e32 v5, 20, v14
	v_add_nc_u32_e32 v7, 19, v14
	s_delay_alu instid0(VALU_DEP_2) | instskip(NEXT) | instid1(VALU_DEP_2)
	v_lshlrev_b64 v[5:6], v5, -1
	v_lshlrev_b64 v[7:8], v7, 1
	s_delay_alu instid0(VALU_DEP_2) | instskip(NEXT) | instid1(VALU_DEP_3)
	v_not_b32_e32 v6, v6
	v_not_b32_e32 v5, v5
	s_delay_alu instid0(VALU_DEP_2) | instskip(NEXT) | instid1(VALU_DEP_2)
	v_and_b32_e32 v16, 0, v6
	v_and_b32_e32 v15, v1, v5
	v_lshrrev_b64 v[5:6], v14, v[1:2]
	s_delay_alu instid0(VALU_DEP_2) | instskip(NEXT) | instid1(VALU_DEP_2)
	v_cmp_eq_u64_e64 s2, v[15:16], v[7:8]
	v_dual_mov_b32 v8, v6 :: v_dual_mov_b32 v7, v5
	s_delay_alu instid0(VALU_DEP_2)
	s_and_saveexec_b32 s42, s2
; %bb.14:                               ;   in Loop: Header=BB54_10 Depth=1
	v_bfe_u32 v1, v5, 20, 1
	s_delay_alu instid0(VALU_DEP_1) | instskip(NEXT) | instid1(VALU_DEP_1)
	v_add_co_u32 v1, s2, v5, v1
	v_add_co_u32 v7, s2, v1, -1
; %bb.15:                               ;   in Loop: Header=BB54_10 Depth=1
	s_or_b32 exec_lo, exec_lo, s42
	v_add_nc_u32_e32 v1, 0xffffff81, v13
	v_lshrrev_b32_e32 v8, 23, v5
	s_mov_b32 s2, exec_lo
	s_delay_alu instid0(VALU_DEP_2) | instskip(NEXT) | instid1(VALU_DEP_1)
	v_cndmask_b32_e64 v1, v1, 0xffffff82, vcc_lo
	v_add3_u32 v8, v14, v1, v8
	v_and_b32_e32 v1, 0xfffff, v7
	s_delay_alu instid0(VALU_DEP_2) | instskip(NEXT) | instid1(VALU_DEP_2)
	v_add_nc_u32_e32 v7, 6, v8
	v_add_co_u32 v5, vcc_lo, v1, v5
	v_add_co_ci_u32_e32 v6, vcc_lo, 0, v6, vcc_lo
                                        ; implicit-def: $vgpr1
	s_delay_alu instid0(VALU_DEP_3)
	v_cmpx_ne_u32_e32 0, v7
	s_xor_b32 s2, exec_lo, s2
; %bb.16:                               ;   in Loop: Header=BB54_10 Depth=1
	s_delay_alu instid0(VALU_DEP_2) | instskip(SKIP_1) | instid1(VALU_DEP_1)
	v_cmp_lt_u64_e32 vcc_lo, 0xffffff, v[5:6]
	v_add_nc_u32_e32 v1, 7, v8
	v_cndmask_b32_e32 v1, v7, v1, vcc_lo
	v_cndmask_b32_e64 v7, 0, 1, vcc_lo
	s_delay_alu instid0(VALU_DEP_1)
	v_lshrrev_b64 v[5:6], v7, v[5:6]
; %bb.17:                               ;   in Loop: Header=BB54_10 Depth=1
	s_and_not1_saveexec_b32 s2, s2
; %bb.18:                               ;   in Loop: Header=BB54_10 Depth=1
	s_delay_alu instid0(VALU_DEP_1)
	v_bfe_u32 v1, v5, 23, 1
; %bb.19:                               ;   in Loop: Header=BB54_10 Depth=1
	s_or_b32 exec_lo, exec_lo, s2
	s_delay_alu instid0(VALU_DEP_2) | instskip(NEXT) | instid1(VALU_DEP_2)
	v_lshrrev_b64 v[5:6], 20, v[5:6]
	v_cmp_gt_i32_e32 vcc_lo, 16, v1
	v_cmp_ne_u32_e64 s2, 0, v1
                                        ; implicit-def: $vgpr7
	s_delay_alu instid0(VALU_DEP_3) | instskip(NEXT) | instid1(VALU_DEP_1)
	v_dual_cndmask_b32 v6, 0, v6 :: v_dual_cndmask_b32 v5, 7, v5
	v_cmp_ne_u64_e32 vcc_lo, 0, v[5:6]
	s_delay_alu instid0(VALU_DEP_3) | instskip(NEXT) | instid1(SALU_CYCLE_1)
	s_or_b32 s2, s2, vcc_lo
	s_and_saveexec_b32 s42, s2
	s_delay_alu instid0(SALU_CYCLE_1)
	s_xor_b32 s2, exec_lo, s42
; %bb.20:                               ;   in Loop: Header=BB54_10 Depth=1
	v_min_i32_e32 v1, 15, v1
	s_delay_alu instid0(VALU_DEP_1) | instskip(NEXT) | instid1(VALU_DEP_1)
	v_lshl_or_b32 v1, v1, 3, v12
                                        ; implicit-def: $vgpr12
	v_and_or_b32 v7, v5, 7, v1
; %bb.21:                               ;   in Loop: Header=BB54_10 Depth=1
	s_and_not1_saveexec_b32 s2, s2
; %bb.22:                               ;   in Loop: Header=BB54_10 Depth=1
	v_mov_b32_e32 v7, v12
; %bb.23:                               ;   in Loop: Header=BB54_10 Depth=1
	s_or_b32 exec_lo, exec_lo, s2
.LBB54_24:                              ;   in Loop: Header=BB54_10 Depth=1
	s_delay_alu instid0(SALU_CYCLE_1)
	s_or_b32 exec_lo, exec_lo, s41
.LBB54_25:                              ;   in Loop: Header=BB54_10 Depth=1
	s_and_not1_saveexec_b32 s2, s40
	s_delay_alu instid0(SALU_CYCLE_1)
	s_or_b32 exec_lo, exec_lo, s2
                                        ; implicit-def: $vgpr6
.LBB54_26:                              ;   in Loop: Header=BB54_10 Depth=1
	s_and_not1_saveexec_b32 s2, s39
; %bb.27:                               ;   in Loop: Header=BB54_10 Depth=1
	v_cmp_eq_u64_e32 vcc_lo, 0, v[1:2]
	v_or_b32_e32 v5, 0x7f, v6
	s_delay_alu instid0(VALU_DEP_1)
	v_cndmask_b32_e32 v7, v5, v7, vcc_lo
; %bb.28:                               ;   in Loop: Header=BB54_10 Depth=1
	s_or_b32 exec_lo, exec_lo, s2
	v_div_scale_f32 v1, null, s8, s8, v11
	global_store_b8 v[3:4], v7, off
	s_mov_b32 s2, exec_lo
	v_mov_b32_e32 v13, v2
	v_rcp_f32_e32 v5, v1
	s_waitcnt_depctr 0xfff
	v_fma_f32 v6, -v1, v5, 1.0
	s_delay_alu instid0(VALU_DEP_1) | instskip(SKIP_1) | instid1(VALU_DEP_1)
	v_fmac_f32_e32 v5, v6, v5
	v_div_scale_f32 v6, vcc_lo, v11, s8, v11
	v_mul_f32_e32 v8, v6, v5
	s_delay_alu instid0(VALU_DEP_1) | instskip(NEXT) | instid1(VALU_DEP_1)
	v_fma_f32 v12, -v1, v8, v6
	v_fmac_f32_e32 v8, v12, v5
	s_delay_alu instid0(VALU_DEP_1) | instskip(NEXT) | instid1(VALU_DEP_1)
	v_fma_f32 v1, -v1, v8, v6
	v_div_fmas_f32 v1, v1, v5, v8
	s_delay_alu instid0(VALU_DEP_1) | instskip(NEXT) | instid1(VALU_DEP_1)
	v_div_fixup_f32 v5, v1, s8, v11
	v_lshrrev_b32_e32 v8, 24, v5
	v_and_b32_e32 v12, 0x7f800000, v5
	v_and_b32_e32 v1, 0x7fffff, v5
	s_delay_alu instid0(VALU_DEP_3) | instskip(NEXT) | instid1(VALU_DEP_1)
	v_and_b32_e32 v11, 0x80, v8
	v_or_b32_e32 v6, 0x7e, v11
	s_delay_alu instid0(VALU_DEP_4)
	v_cmpx_ne_u64_e32 0x7f800000, v[12:13]
	s_xor_b32 s39, exec_lo, s2
	s_cbranch_execz .LBB54_44
; %bb.29:                               ;   in Loop: Header=BB54_10 Depth=1
	v_dual_mov_b32 v8, v2 :: v_dual_and_b32 v7, 0x7fffffff, v5
	s_mov_b32 s2, exec_lo
	s_delay_alu instid0(VALU_DEP_1)
	v_cmpx_gt_u64_e32 0x43e00001, v[7:8]
	s_xor_b32 s40, exec_lo, s2
	s_cbranch_execz .LBB54_43
; %bb.30:                               ;   in Loop: Header=BB54_10 Depth=1
	v_mov_b32_e32 v6, 0
	s_mov_b32 s41, exec_lo
	v_cmpx_ne_u32_e32 0, v5
	s_cbranch_execz .LBB54_42
; %bb.31:                               ;   in Loop: Header=BB54_10 Depth=1
	v_bfe_u32 v12, v5, 23, 8
	v_or_b32_e32 v7, 0x800000, v1
	s_delay_alu instid0(VALU_DEP_2) | instskip(SKIP_1) | instid1(VALU_DEP_2)
	v_sub_nc_u32_e32 v5, 0x79, v12
	v_cmp_gt_u32_e32 vcc_lo, 0x7a, v12
	v_cndmask_b32_e32 v5, 0, v5, vcc_lo
	v_cmp_eq_u32_e32 vcc_lo, 0, v12
	s_delay_alu instid0(VALU_DEP_2) | instskip(SKIP_1) | instid1(VALU_DEP_2)
	v_cndmask_b32_e64 v13, v5, 0x78, vcc_lo
	v_cndmask_b32_e32 v1, v7, v1, vcc_lo
	v_add_nc_u32_e32 v5, 20, v13
	v_add_nc_u32_e32 v7, 19, v13
	s_delay_alu instid0(VALU_DEP_2) | instskip(NEXT) | instid1(VALU_DEP_2)
	v_lshlrev_b64 v[5:6], v5, -1
	v_lshlrev_b64 v[7:8], v7, 1
	s_delay_alu instid0(VALU_DEP_2) | instskip(NEXT) | instid1(VALU_DEP_3)
	v_not_b32_e32 v6, v6
	v_not_b32_e32 v5, v5
	s_delay_alu instid0(VALU_DEP_2) | instskip(NEXT) | instid1(VALU_DEP_2)
	v_and_b32_e32 v15, 0, v6
	v_and_b32_e32 v14, v1, v5
	v_lshrrev_b64 v[5:6], v13, v[1:2]
	s_delay_alu instid0(VALU_DEP_2) | instskip(NEXT) | instid1(VALU_DEP_2)
	v_cmp_eq_u64_e64 s2, v[14:15], v[7:8]
	v_dual_mov_b32 v8, v6 :: v_dual_mov_b32 v7, v5
	s_delay_alu instid0(VALU_DEP_2)
	s_and_saveexec_b32 s42, s2
; %bb.32:                               ;   in Loop: Header=BB54_10 Depth=1
	v_bfe_u32 v1, v5, 20, 1
	s_delay_alu instid0(VALU_DEP_1) | instskip(NEXT) | instid1(VALU_DEP_1)
	v_add_co_u32 v1, s2, v5, v1
	v_add_co_u32 v7, s2, v1, -1
; %bb.33:                               ;   in Loop: Header=BB54_10 Depth=1
	s_or_b32 exec_lo, exec_lo, s42
	v_add_nc_u32_e32 v1, 0xffffff81, v12
	v_lshrrev_b32_e32 v8, 23, v5
	s_mov_b32 s2, exec_lo
	s_delay_alu instid0(VALU_DEP_2) | instskip(NEXT) | instid1(VALU_DEP_1)
	v_cndmask_b32_e64 v1, v1, 0xffffff82, vcc_lo
	v_add3_u32 v8, v13, v1, v8
	v_and_b32_e32 v1, 0xfffff, v7
	s_delay_alu instid0(VALU_DEP_2) | instskip(NEXT) | instid1(VALU_DEP_2)
	v_add_nc_u32_e32 v7, 6, v8
	v_add_co_u32 v5, vcc_lo, v1, v5
	v_add_co_ci_u32_e32 v6, vcc_lo, 0, v6, vcc_lo
                                        ; implicit-def: $vgpr1
	s_delay_alu instid0(VALU_DEP_3)
	v_cmpx_ne_u32_e32 0, v7
	s_xor_b32 s2, exec_lo, s2
; %bb.34:                               ;   in Loop: Header=BB54_10 Depth=1
	s_delay_alu instid0(VALU_DEP_2) | instskip(SKIP_1) | instid1(VALU_DEP_1)
	v_cmp_lt_u64_e32 vcc_lo, 0xffffff, v[5:6]
	v_add_nc_u32_e32 v1, 7, v8
	v_cndmask_b32_e32 v1, v7, v1, vcc_lo
	v_cndmask_b32_e64 v7, 0, 1, vcc_lo
	s_delay_alu instid0(VALU_DEP_1)
	v_lshrrev_b64 v[5:6], v7, v[5:6]
; %bb.35:                               ;   in Loop: Header=BB54_10 Depth=1
	s_and_not1_saveexec_b32 s2, s2
; %bb.36:                               ;   in Loop: Header=BB54_10 Depth=1
	s_delay_alu instid0(VALU_DEP_1)
	v_bfe_u32 v1, v5, 23, 1
; %bb.37:                               ;   in Loop: Header=BB54_10 Depth=1
	s_or_b32 exec_lo, exec_lo, s2
	s_delay_alu instid0(VALU_DEP_2) | instskip(NEXT) | instid1(VALU_DEP_2)
	v_lshrrev_b64 v[5:6], 20, v[5:6]
	v_cmp_gt_i32_e32 vcc_lo, 16, v1
	v_cmp_ne_u32_e64 s2, 0, v1
	s_delay_alu instid0(VALU_DEP_3) | instskip(NEXT) | instid1(VALU_DEP_1)
	v_dual_cndmask_b32 v6, 0, v6 :: v_dual_cndmask_b32 v5, 7, v5
	v_cmp_ne_u64_e32 vcc_lo, 0, v[5:6]
                                        ; implicit-def: $vgpr6
	s_delay_alu instid0(VALU_DEP_3) | instskip(NEXT) | instid1(SALU_CYCLE_1)
	s_or_b32 s2, s2, vcc_lo
	s_and_saveexec_b32 s42, s2
	s_delay_alu instid0(SALU_CYCLE_1)
	s_xor_b32 s2, exec_lo, s42
; %bb.38:                               ;   in Loop: Header=BB54_10 Depth=1
	v_min_i32_e32 v1, 15, v1
	s_delay_alu instid0(VALU_DEP_1) | instskip(NEXT) | instid1(VALU_DEP_1)
	v_lshl_or_b32 v1, v1, 3, v11
                                        ; implicit-def: $vgpr11
	v_and_or_b32 v6, v5, 7, v1
; %bb.39:                               ;   in Loop: Header=BB54_10 Depth=1
	s_and_not1_saveexec_b32 s2, s2
; %bb.40:                               ;   in Loop: Header=BB54_10 Depth=1
	v_mov_b32_e32 v6, v11
; %bb.41:                               ;   in Loop: Header=BB54_10 Depth=1
	s_or_b32 exec_lo, exec_lo, s2
.LBB54_42:                              ;   in Loop: Header=BB54_10 Depth=1
	s_delay_alu instid0(SALU_CYCLE_1)
	s_or_b32 exec_lo, exec_lo, s41
.LBB54_43:                              ;   in Loop: Header=BB54_10 Depth=1
	s_and_not1_saveexec_b32 s2, s40
	s_delay_alu instid0(SALU_CYCLE_1)
	s_or_b32 exec_lo, exec_lo, s2
                                        ; implicit-def: $vgpr8
.LBB54_44:                              ;   in Loop: Header=BB54_10 Depth=1
	s_and_not1_saveexec_b32 s2, s39
	s_cbranch_execz .LBB54_9
; %bb.45:                               ;   in Loop: Header=BB54_10 Depth=1
	v_cmp_eq_u64_e32 vcc_lo, 0, v[1:2]
	v_or_b32_e32 v5, 0x7f, v8
	s_delay_alu instid0(VALU_DEP_1)
	v_cndmask_b32_e32 v6, v5, v6, vcc_lo
	s_branch .LBB54_9
.LBB54_46:
	s_or_b32 exec_lo, exec_lo, s35
	s_delay_alu instid0(SALU_CYCLE_1)
	s_mov_b32 s2, exec_lo
	v_cmpx_gt_i32_e64 s6, v0
	s_cbranch_execz .LBB54_67
; %bb.47:
	s_mul_i32 s3, s16, s11
	s_mul_hi_u32 s8, s16, s10
	s_mul_i32 s2, s16, s10
	s_add_i32 s3, s8, s3
	s_load_b32 s0, s[0:1], 0x8c
	s_lshl_b64 s[2:3], s[2:3], 2
	v_mov_b32_e32 v3, 0
	s_add_u32 s1, s14, s2
	s_addc_u32 s2, s15, s3
	s_waitcnt lgkmcnt(0)
	s_load_b32 s3, s[24:25], 0x0
	s_ashr_i32 s4, s4, 31
	s_delay_alu instid0(SALU_CYCLE_1) | instskip(NEXT) | instid1(SALU_CYCLE_1)
	s_mul_i32 s4, s22, s4
	s_add_i32 s4, s30, s4
	s_delay_alu instid0(SALU_CYCLE_1) | instskip(SKIP_3) | instid1(SALU_CYCLE_1)
	s_add_i32 s4, s4, s31
	s_add_u32 s8, s18, s34
	s_addc_u32 s9, s19, s4
	s_ashr_i32 s4, s5, 31
	s_mul_i32 s7, s7, s4
	s_delay_alu instid0(SALU_CYCLE_1) | instskip(NEXT) | instid1(SALU_CYCLE_1)
	s_add_i32 s4, s29, s7
	s_add_i32 s5, s4, s23
	s_add_u32 s4, s8, s28
	s_addc_u32 s5, s9, s5
	s_and_b32 s7, s0, 0xffff
	s_mov_b32 s8, 0
	s_branch .LBB54_49
.LBB54_48:                              ;   in Loop: Header=BB54_49 Depth=1
	s_or_b32 exec_lo, exec_lo, s0
	v_add_co_u32 v6, vcc_lo, s4, v0
	v_add_nc_u32_e32 v0, s7, v0
	v_add_co_ci_u32_e32 v7, vcc_lo, s5, v1, vcc_lo
	s_delay_alu instid0(VALU_DEP_2) | instskip(SKIP_2) | instid1(SALU_CYCLE_1)
	v_cmp_le_i32_e32 vcc_lo, s6, v0
	global_store_b8 v[6:7], v5, off
	s_or_b32 s8, vcc_lo, s8
	s_and_not1_b32 exec_lo, exec_lo, s8
	s_cbranch_execz .LBB54_67
.LBB54_49:                              ; =>This Inner Loop Header: Depth=1
	v_ashrrev_i32_e32 v1, 31, v0
	s_mov_b32 s0, exec_lo
	v_mov_b32_e32 v10, v3
	s_delay_alu instid0(VALU_DEP_2) | instskip(NEXT) | instid1(VALU_DEP_1)
	v_lshlrev_b64 v[4:5], 2, v[0:1]
	v_add_co_u32 v4, vcc_lo, s1, v4
	s_delay_alu instid0(VALU_DEP_2) | instskip(SKIP_3) | instid1(VALU_DEP_1)
	v_add_co_ci_u32_e32 v5, vcc_lo, s2, v5, vcc_lo
	global_load_b32 v2, v[4:5], off
	s_waitcnt vmcnt(0) lgkmcnt(0)
	v_div_scale_f32 v4, null, s3, s3, v2
	v_rcp_f32_e32 v5, v4
	s_waitcnt_depctr 0xfff
	v_fma_f32 v6, -v4, v5, 1.0
	s_delay_alu instid0(VALU_DEP_1) | instskip(SKIP_1) | instid1(VALU_DEP_1)
	v_fmac_f32_e32 v5, v6, v5
	v_div_scale_f32 v6, vcc_lo, v2, s3, v2
	v_mul_f32_e32 v7, v6, v5
	s_delay_alu instid0(VALU_DEP_1) | instskip(NEXT) | instid1(VALU_DEP_1)
	v_fma_f32 v8, -v4, v7, v6
	v_fmac_f32_e32 v7, v8, v5
	s_delay_alu instid0(VALU_DEP_1) | instskip(NEXT) | instid1(VALU_DEP_1)
	v_fma_f32 v4, -v4, v7, v6
	v_div_fmas_f32 v4, v4, v5, v7
	s_delay_alu instid0(VALU_DEP_1) | instskip(NEXT) | instid1(VALU_DEP_1)
	v_div_fixup_f32 v4, v4, s3, v2
	v_and_b32_e32 v2, 0x7fffff, v4
	v_lshrrev_b32_e32 v6, 24, v4
	v_and_b32_e32 v9, 0x7f800000, v4
	s_delay_alu instid0(VALU_DEP_2) | instskip(NEXT) | instid1(VALU_DEP_1)
	v_and_b32_e32 v8, 0x80, v6
	v_or_b32_e32 v5, 0x7e, v8
	s_delay_alu instid0(VALU_DEP_3)
	v_cmpx_ne_u64_e32 0x7f800000, v[9:10]
	s_xor_b32 s9, exec_lo, s0
	s_cbranch_execz .LBB54_65
; %bb.50:                               ;   in Loop: Header=BB54_49 Depth=1
	v_dual_mov_b32 v7, v3 :: v_dual_and_b32 v6, 0x7fffffff, v4
	s_mov_b32 s0, exec_lo
	s_delay_alu instid0(VALU_DEP_1)
	v_cmpx_gt_u64_e32 0x43e00001, v[6:7]
	s_xor_b32 s10, exec_lo, s0
	s_cbranch_execz .LBB54_64
; %bb.51:                               ;   in Loop: Header=BB54_49 Depth=1
	v_mov_b32_e32 v5, 0
	s_mov_b32 s11, exec_lo
	v_cmpx_ne_u32_e32 0, v4
	s_cbranch_execz .LBB54_63
; %bb.52:                               ;   in Loop: Header=BB54_49 Depth=1
	v_bfe_u32 v9, v4, 23, 8
	v_or_b32_e32 v6, 0x800000, v2
	s_delay_alu instid0(VALU_DEP_2) | instskip(SKIP_1) | instid1(VALU_DEP_2)
	v_sub_nc_u32_e32 v4, 0x79, v9
	v_cmp_gt_u32_e32 vcc_lo, 0x7a, v9
	v_cndmask_b32_e32 v4, 0, v4, vcc_lo
	v_cmp_eq_u32_e32 vcc_lo, 0, v9
	s_delay_alu instid0(VALU_DEP_2) | instskip(SKIP_1) | instid1(VALU_DEP_2)
	v_cndmask_b32_e64 v10, v4, 0x78, vcc_lo
	v_cndmask_b32_e32 v2, v6, v2, vcc_lo
	v_add_nc_u32_e32 v4, 20, v10
	v_add_nc_u32_e32 v6, 19, v10
	s_delay_alu instid0(VALU_DEP_2) | instskip(NEXT) | instid1(VALU_DEP_2)
	v_lshlrev_b64 v[4:5], v4, -1
	v_lshlrev_b64 v[6:7], v6, 1
	s_delay_alu instid0(VALU_DEP_2) | instskip(NEXT) | instid1(VALU_DEP_3)
	v_not_b32_e32 v5, v5
	v_not_b32_e32 v4, v4
	s_delay_alu instid0(VALU_DEP_2) | instskip(NEXT) | instid1(VALU_DEP_2)
	v_and_b32_e32 v12, 0, v5
	v_and_b32_e32 v11, v2, v4
	v_lshrrev_b64 v[4:5], v10, v[2:3]
	s_delay_alu instid0(VALU_DEP_2) | instskip(NEXT) | instid1(VALU_DEP_2)
	v_cmp_eq_u64_e64 s0, v[11:12], v[6:7]
	v_dual_mov_b32 v7, v5 :: v_dual_mov_b32 v6, v4
	s_delay_alu instid0(VALU_DEP_2)
	s_and_saveexec_b32 s12, s0
; %bb.53:                               ;   in Loop: Header=BB54_49 Depth=1
	v_bfe_u32 v2, v4, 20, 1
	s_delay_alu instid0(VALU_DEP_1) | instskip(NEXT) | instid1(VALU_DEP_1)
	v_add_co_u32 v2, s0, v4, v2
	v_add_co_u32 v6, s0, v2, -1
; %bb.54:                               ;   in Loop: Header=BB54_49 Depth=1
	s_or_b32 exec_lo, exec_lo, s12
	v_add_nc_u32_e32 v2, 0xffffff81, v9
	v_lshrrev_b32_e32 v7, 23, v4
	s_mov_b32 s0, exec_lo
	s_delay_alu instid0(VALU_DEP_2) | instskip(NEXT) | instid1(VALU_DEP_1)
	v_cndmask_b32_e64 v2, v2, 0xffffff82, vcc_lo
	v_add3_u32 v7, v10, v2, v7
	v_and_b32_e32 v2, 0xfffff, v6
	s_delay_alu instid0(VALU_DEP_2) | instskip(NEXT) | instid1(VALU_DEP_2)
	v_add_nc_u32_e32 v6, 6, v7
	v_add_co_u32 v4, vcc_lo, v2, v4
	v_add_co_ci_u32_e32 v5, vcc_lo, 0, v5, vcc_lo
                                        ; implicit-def: $vgpr2
	s_delay_alu instid0(VALU_DEP_3)
	v_cmpx_ne_u32_e32 0, v6
	s_xor_b32 s0, exec_lo, s0
; %bb.55:                               ;   in Loop: Header=BB54_49 Depth=1
	s_delay_alu instid0(VALU_DEP_2) | instskip(SKIP_1) | instid1(VALU_DEP_1)
	v_cmp_lt_u64_e32 vcc_lo, 0xffffff, v[4:5]
	v_add_nc_u32_e32 v2, 7, v7
	v_cndmask_b32_e32 v2, v6, v2, vcc_lo
	v_cndmask_b32_e64 v6, 0, 1, vcc_lo
	s_delay_alu instid0(VALU_DEP_1)
	v_lshrrev_b64 v[4:5], v6, v[4:5]
; %bb.56:                               ;   in Loop: Header=BB54_49 Depth=1
	s_and_not1_saveexec_b32 s0, s0
; %bb.57:                               ;   in Loop: Header=BB54_49 Depth=1
	s_delay_alu instid0(VALU_DEP_1)
	v_bfe_u32 v2, v4, 23, 1
; %bb.58:                               ;   in Loop: Header=BB54_49 Depth=1
	s_or_b32 exec_lo, exec_lo, s0
	s_delay_alu instid0(VALU_DEP_2) | instskip(NEXT) | instid1(VALU_DEP_2)
	v_lshrrev_b64 v[4:5], 20, v[4:5]
	v_cmp_gt_i32_e32 vcc_lo, 16, v2
	v_cmp_ne_u32_e64 s0, 0, v2
	s_delay_alu instid0(VALU_DEP_3) | instskip(NEXT) | instid1(VALU_DEP_1)
	v_dual_cndmask_b32 v5, 0, v5 :: v_dual_cndmask_b32 v4, 7, v4
	v_cmp_ne_u64_e32 vcc_lo, 0, v[4:5]
                                        ; implicit-def: $vgpr5
	s_delay_alu instid0(VALU_DEP_3) | instskip(NEXT) | instid1(SALU_CYCLE_1)
	s_or_b32 s0, s0, vcc_lo
	s_and_saveexec_b32 s12, s0
	s_delay_alu instid0(SALU_CYCLE_1)
	s_xor_b32 s0, exec_lo, s12
; %bb.59:                               ;   in Loop: Header=BB54_49 Depth=1
	v_min_i32_e32 v2, 15, v2
	s_delay_alu instid0(VALU_DEP_1) | instskip(NEXT) | instid1(VALU_DEP_1)
	v_lshl_or_b32 v2, v2, 3, v8
                                        ; implicit-def: $vgpr8
	v_and_or_b32 v5, v4, 7, v2
; %bb.60:                               ;   in Loop: Header=BB54_49 Depth=1
	s_and_not1_saveexec_b32 s0, s0
; %bb.61:                               ;   in Loop: Header=BB54_49 Depth=1
	v_mov_b32_e32 v5, v8
; %bb.62:                               ;   in Loop: Header=BB54_49 Depth=1
	s_or_b32 exec_lo, exec_lo, s0
.LBB54_63:                              ;   in Loop: Header=BB54_49 Depth=1
	s_delay_alu instid0(SALU_CYCLE_1)
	s_or_b32 exec_lo, exec_lo, s11
.LBB54_64:                              ;   in Loop: Header=BB54_49 Depth=1
	s_and_not1_saveexec_b32 s0, s10
	s_delay_alu instid0(SALU_CYCLE_1)
	s_or_b32 exec_lo, exec_lo, s0
                                        ; implicit-def: $vgpr6
.LBB54_65:                              ;   in Loop: Header=BB54_49 Depth=1
	s_and_not1_saveexec_b32 s0, s9
	s_cbranch_execz .LBB54_48
; %bb.66:                               ;   in Loop: Header=BB54_49 Depth=1
	v_cmp_eq_u64_e32 vcc_lo, 0, v[2:3]
	v_or_b32_e32 v4, 0x7f, v6
	s_delay_alu instid0(VALU_DEP_1)
	v_cndmask_b32_e32 v5, v4, v5, vcc_lo
	s_branch .LBB54_48
.LBB54_67:
	s_nop 0
	s_sendmsg sendmsg(MSG_DEALLOC_VGPRS)
	s_endpgm
.LBB54_68:
                                        ; implicit-def: $sgpr22_sgpr23
	s_branch .LBB54_6
	.section	.rodata,"a",@progbits
	.p2align	6, 0x0
	.amdhsa_kernel _ZN4vllm38concat_and_cache_mla_rope_fused_kernelIffLb1EfhLNS_18Fp8KVCacheDataTypeE1EEEvPKlPT_S5_PKS4_PKT0_illlliPT3_S3_iiiiPKf
		.amdhsa_group_segment_fixed_size 0
		.amdhsa_private_segment_fixed_size 0
		.amdhsa_kernarg_size 384
		.amdhsa_user_sgpr_count 15
		.amdhsa_user_sgpr_dispatch_ptr 0
		.amdhsa_user_sgpr_queue_ptr 0
		.amdhsa_user_sgpr_kernarg_segment_ptr 1
		.amdhsa_user_sgpr_dispatch_id 0
		.amdhsa_user_sgpr_private_segment_size 0
		.amdhsa_wavefront_size32 1
		.amdhsa_uses_dynamic_stack 0
		.amdhsa_enable_private_segment 0
		.amdhsa_system_sgpr_workgroup_id_x 1
		.amdhsa_system_sgpr_workgroup_id_y 0
		.amdhsa_system_sgpr_workgroup_id_z 0
		.amdhsa_system_sgpr_workgroup_info 0
		.amdhsa_system_vgpr_workitem_id 0
		.amdhsa_next_free_vgpr 20
		.amdhsa_next_free_sgpr 46
		.amdhsa_reserve_vcc 1
		.amdhsa_float_round_mode_32 0
		.amdhsa_float_round_mode_16_64 0
		.amdhsa_float_denorm_mode_32 3
		.amdhsa_float_denorm_mode_16_64 3
		.amdhsa_dx10_clamp 1
		.amdhsa_ieee_mode 1
		.amdhsa_fp16_overflow 0
		.amdhsa_workgroup_processor_mode 1
		.amdhsa_memory_ordered 1
		.amdhsa_forward_progress 0
		.amdhsa_shared_vgpr_count 0
		.amdhsa_exception_fp_ieee_invalid_op 0
		.amdhsa_exception_fp_denorm_src 0
		.amdhsa_exception_fp_ieee_div_zero 0
		.amdhsa_exception_fp_ieee_overflow 0
		.amdhsa_exception_fp_ieee_underflow 0
		.amdhsa_exception_fp_ieee_inexact 0
		.amdhsa_exception_int_div_zero 0
	.end_amdhsa_kernel
	.section	.text._ZN4vllm38concat_and_cache_mla_rope_fused_kernelIffLb1EfhLNS_18Fp8KVCacheDataTypeE1EEEvPKlPT_S5_PKS4_PKT0_illlliPT3_S3_iiiiPKf,"axG",@progbits,_ZN4vllm38concat_and_cache_mla_rope_fused_kernelIffLb1EfhLNS_18Fp8KVCacheDataTypeE1EEEvPKlPT_S5_PKS4_PKT0_illlliPT3_S3_iiiiPKf,comdat
.Lfunc_end54:
	.size	_ZN4vllm38concat_and_cache_mla_rope_fused_kernelIffLb1EfhLNS_18Fp8KVCacheDataTypeE1EEEvPKlPT_S5_PKS4_PKT0_illlliPT3_S3_iiiiPKf, .Lfunc_end54-_ZN4vllm38concat_and_cache_mla_rope_fused_kernelIffLb1EfhLNS_18Fp8KVCacheDataTypeE1EEEvPKlPT_S5_PKS4_PKT0_illlliPT3_S3_iiiiPKf
                                        ; -- End function
	.section	.AMDGPU.csdata,"",@progbits
; Kernel info:
; codeLenInByte = 4376
; NumSgprs: 48
; NumVgprs: 20
; ScratchSize: 0
; MemoryBound: 0
; FloatMode: 240
; IeeeMode: 1
; LDSByteSize: 0 bytes/workgroup (compile time only)
; SGPRBlocks: 5
; VGPRBlocks: 2
; NumSGPRsForWavesPerEU: 48
; NumVGPRsForWavesPerEU: 20
; Occupancy: 16
; WaveLimiterHint : 1
; COMPUTE_PGM_RSRC2:SCRATCH_EN: 0
; COMPUTE_PGM_RSRC2:USER_SGPR: 15
; COMPUTE_PGM_RSRC2:TRAP_HANDLER: 0
; COMPUTE_PGM_RSRC2:TGID_X_EN: 1
; COMPUTE_PGM_RSRC2:TGID_Y_EN: 0
; COMPUTE_PGM_RSRC2:TGID_Z_EN: 0
; COMPUTE_PGM_RSRC2:TIDIG_COMP_CNT: 0
	.section	.text._ZN4vllm38concat_and_cache_mla_rope_fused_kernelIffLb0EfhLNS_18Fp8KVCacheDataTypeE1EEEvPKlPT_S5_PKS4_PKT0_illlliPT3_S3_iiiiPKf,"axG",@progbits,_ZN4vllm38concat_and_cache_mla_rope_fused_kernelIffLb0EfhLNS_18Fp8KVCacheDataTypeE1EEEvPKlPT_S5_PKS4_PKT0_illlliPT3_S3_iiiiPKf,comdat
	.protected	_ZN4vllm38concat_and_cache_mla_rope_fused_kernelIffLb0EfhLNS_18Fp8KVCacheDataTypeE1EEEvPKlPT_S5_PKS4_PKT0_illlliPT3_S3_iiiiPKf ; -- Begin function _ZN4vllm38concat_and_cache_mla_rope_fused_kernelIffLb0EfhLNS_18Fp8KVCacheDataTypeE1EEEvPKlPT_S5_PKS4_PKT0_illlliPT3_S3_iiiiPKf
	.globl	_ZN4vllm38concat_and_cache_mla_rope_fused_kernelIffLb0EfhLNS_18Fp8KVCacheDataTypeE1EEEvPKlPT_S5_PKS4_PKT0_illlliPT3_S3_iiiiPKf
	.p2align	8
	.type	_ZN4vllm38concat_and_cache_mla_rope_fused_kernelIffLb0EfhLNS_18Fp8KVCacheDataTypeE1EEEvPKlPT_S5_PKS4_PKT0_illlliPT3_S3_iiiiPKf,@function
_ZN4vllm38concat_and_cache_mla_rope_fused_kernelIffLb0EfhLNS_18Fp8KVCacheDataTypeE1EEEvPKlPT_S5_PKS4_PKT0_illlliPT3_S3_iiiiPKf: ; @_ZN4vllm38concat_and_cache_mla_rope_fused_kernelIffLb0EfhLNS_18Fp8KVCacheDataTypeE1EEEvPKlPT_S5_PKS4_PKT0_illlliPT3_S3_iiiiPKf
; %bb.0:
	s_load_b64 s[4:5], s[0:1], 0x60
	s_mov_b32 s16, s15
	s_mov_b32 s17, 0
	s_delay_alu instid0(SALU_CYCLE_1)
	s_lshl_b64 s[2:3], s[16:17], 3
	s_waitcnt lgkmcnt(0)
	s_add_u32 s4, s4, s2
	s_addc_u32 s5, s5, s3
	s_load_b64 s[26:27], s[4:5], 0x0
	s_waitcnt lgkmcnt(0)
	v_cmp_lt_i64_e64 s4, s[26:27], 0
	s_delay_alu instid0(VALU_DEP_1)
	s_and_b32 vcc_lo, exec_lo, s4
	s_cbranch_vccnz .LBB55_67
; %bb.1:
	s_clause 0x3
	s_load_b32 s21, s[0:1], 0x28
	s_load_b64 s[4:5], s[0:1], 0x0
	s_load_b128 s[12:15], s[0:1], 0x10
	s_load_b32 s17, s[0:1], 0x50
	v_lshlrev_b32_e32 v3, 1, v0
	s_waitcnt lgkmcnt(0)
	s_ashr_i32 s24, s21, 31
	s_add_u32 s2, s4, s2
	s_addc_u32 s3, s5, s3
	s_lshr_b32 s20, s21, 31
	s_load_b64 s[22:23], s[2:3], 0x0
	s_clause 0x2
	s_load_b64 s[2:3], s[0:1], 0x20
	s_load_b64 s[18:19], s[0:1], 0x58
	s_load_b256 s[4:11], s[0:1], 0x30
	s_add_i32 s20, s21, s20
	s_delay_alu instid0(SALU_CYCLE_1) | instskip(NEXT) | instid1(SALU_CYCLE_1)
	s_ashr_i32 s20, s20, 1
	s_mul_i32 s17, s20, s17
	s_waitcnt lgkmcnt(0)
	s_mul_i32 s24, s22, s24
	s_mul_hi_u32 s25, s22, s21
	s_mul_i32 s23, s23, s21
	s_add_i32 s24, s25, s24
	s_mul_i32 s28, s22, s21
	s_add_i32 s29, s24, s23
	s_mov_b32 s22, exec_lo
	v_cmpx_gt_i32_e64 s17, v0
	s_cbranch_execz .LBB55_4
; %bb.2:
	s_clause 0x1
	s_load_b64 s[30:31], s[0:1], 0x8
	s_load_b32 s34, s[0:1], 0x8c
	s_lshl_b64 s[24:25], s[28:29], 2
	s_mul_i32 s5, s16, s5
	s_mul_hi_u32 s21, s16, s4
	s_add_u32 s23, s2, s24
	s_mul_i32 s4, s16, s4
	s_addc_u32 s24, s3, s25
	s_add_i32 s5, s21, s5
	s_ashr_i32 s21, s20, 31
	s_lshl_b64 s[4:5], s[4:5], 2
	s_mov_b32 s33, 0
	s_waitcnt lgkmcnt(0)
	s_add_u32 s25, s30, s4
	s_addc_u32 s30, s31, s5
	s_abs_i32 s31, s20
	s_and_b32 s34, s34, 0xffff
	v_cvt_f32_u32_e32 v1, s31
	s_sub_i32 s4, 0, s31
	s_sub_i32 s35, 0, s20
	s_lshl_b32 s37, s34, 1
	s_delay_alu instid0(VALU_DEP_1) | instskip(SKIP_2) | instid1(VALU_DEP_1)
	v_rcp_iflag_f32_e32 v1, v1
	s_waitcnt_depctr 0xfff
	v_mul_f32_e32 v1, 0x4f7ffffe, v1
	v_cvt_u32_f32_e32 v2, v1
	s_delay_alu instid0(VALU_DEP_1) | instskip(SKIP_1) | instid1(SALU_CYCLE_1)
	v_mul_lo_u32 v1, s4, v2
	s_lshl_b32 s4, s20, 1
	s_sub_i32 s36, 0, s4
	s_lshl_b64 s[4:5], s[20:21], 2
	s_delay_alu instid0(VALU_DEP_1) | instskip(NEXT) | instid1(VALU_DEP_1)
	v_mul_hi_u32 v4, v2, v1
	v_dual_mov_b32 v1, v3 :: v_dual_add_nc_u32 v4, v2, v4
	v_mov_b32_e32 v2, v0
.LBB55_3:                               ; =>This Inner Loop Header: Depth=1
	s_delay_alu instid0(VALU_DEP_1) | instskip(SKIP_1) | instid1(VALU_DEP_2)
	v_sub_nc_u32_e32 v5, 0, v2
	v_ashrrev_i32_e32 v6, 31, v2
	v_max_i32_e32 v5, v2, v5
	s_delay_alu instid0(VALU_DEP_2) | instskip(NEXT) | instid1(VALU_DEP_2)
	v_xor_b32_e32 v6, s21, v6
	v_mul_hi_u32 v7, v5, v4
	s_delay_alu instid0(VALU_DEP_1) | instskip(SKIP_1) | instid1(VALU_DEP_2)
	v_mul_lo_u32 v8, v7, s31
	v_add_nc_u32_e32 v9, 1, v7
	v_sub_nc_u32_e32 v5, v5, v8
	s_delay_alu instid0(VALU_DEP_1) | instskip(SKIP_1) | instid1(VALU_DEP_4)
	v_subrev_nc_u32_e32 v8, s31, v5
	v_cmp_le_u32_e32 vcc_lo, s31, v5
	v_cndmask_b32_e32 v7, v7, v9, vcc_lo
	s_delay_alu instid0(VALU_DEP_1) | instskip(NEXT) | instid1(VALU_DEP_1)
	v_dual_cndmask_b32 v5, v5, v8 :: v_dual_add_nc_u32 v8, 1, v7
	v_cmp_le_u32_e32 vcc_lo, s31, v5
	s_delay_alu instid0(VALU_DEP_2) | instskip(NEXT) | instid1(VALU_DEP_1)
	v_cndmask_b32_e32 v5, v7, v8, vcc_lo
	v_xor_b32_e32 v5, v5, v6
	s_delay_alu instid0(VALU_DEP_1) | instskip(NEXT) | instid1(VALU_DEP_1)
	v_sub_nc_u32_e32 v11, v5, v6
	v_mad_u64_u32 v[5:6], null, s35, v11, v[2:3]
	v_ashrrev_i32_e32 v6, 31, v11
	v_mul_lo_u32 v12, v11, s7
	v_mad_u64_u32 v[7:8], null, v11, s6, 0
	v_mad_u64_u32 v[9:10], null, s36, v11, v[1:2]
	s_delay_alu instid0(VALU_DEP_4) | instskip(SKIP_3) | instid1(VALU_DEP_3)
	v_mul_lo_u32 v11, v6, s6
	v_ashrrev_i32_e32 v6, 31, v5
	v_add_nc_u32_e32 v2, s34, v2
	v_add_nc_u32_e32 v1, s37, v1
	v_lshlrev_b64 v[5:6], 2, v[5:6]
	v_ashrrev_i32_e32 v10, 31, v9
	v_add3_u32 v8, v8, v12, v11
	s_delay_alu instid0(VALU_DEP_3) | instskip(NEXT) | instid1(VALU_DEP_2)
	v_add_co_u32 v5, vcc_lo, s23, v5
	v_lshlrev_b64 v[7:8], 2, v[7:8]
	v_add_co_ci_u32_e32 v6, vcc_lo, s24, v6, vcc_lo
	v_lshlrev_b64 v[9:10], 2, v[9:10]
	s_delay_alu instid0(VALU_DEP_3) | instskip(NEXT) | instid1(VALU_DEP_4)
	v_add_co_u32 v11, vcc_lo, s25, v7
	v_add_co_ci_u32_e32 v12, vcc_lo, s30, v8, vcc_lo
	v_add_co_u32 v7, vcc_lo, v5, s4
	v_add_co_ci_u32_e32 v8, vcc_lo, s5, v6, vcc_lo
	s_delay_alu instid0(VALU_DEP_4) | instskip(NEXT) | instid1(VALU_DEP_4)
	v_add_co_u32 v9, vcc_lo, v11, v9
	v_add_co_ci_u32_e32 v10, vcc_lo, v12, v10, vcc_lo
	s_clause 0x1
	global_load_b32 v11, v[5:6], off
	global_load_b32 v8, v[7:8], off
	global_load_b64 v[5:6], v[9:10], off
	v_cmp_le_i32_e32 vcc_lo, s17, v2
	s_or_b32 s33, vcc_lo, s33
	s_waitcnt vmcnt(0)
	v_mul_f32_e32 v12, v8, v6
	v_mul_f32_e32 v7, v11, v6
	s_delay_alu instid0(VALU_DEP_2) | instskip(NEXT) | instid1(VALU_DEP_2)
	v_fma_f32 v6, v11, v5, -v12
	v_fmac_f32_e32 v7, v8, v5
	global_store_b64 v[9:10], v[6:7], off
	s_and_not1_b32 exec_lo, exec_lo, s33
	s_cbranch_execnz .LBB55_3
.LBB55_4:
	s_or_b32 exec_lo, exec_lo, s22
	s_load_b128 s[4:7], s[0:1], 0x68
	s_waitcnt lgkmcnt(0)
	s_ashr_i32 s31, s7, 31
	s_mov_b32 s30, s7
	s_delay_alu instid0(SALU_CYCLE_1) | instskip(SKIP_1) | instid1(SALU_CYCLE_1)
	s_or_b64 s[24:25], s[26:27], s[30:31]
	s_mov_b32 s24, 0
	s_cmp_lg_u64 s[24:25], 0
	s_cbranch_scc0 .LBB55_68
; %bb.5:
	s_add_u32 s34, s30, s31
	s_mov_b32 s22, s31
	s_mov_b32 s23, s31
	s_addc_u32 s35, s31, s31
	s_delay_alu instid0(SALU_CYCLE_1) | instskip(NEXT) | instid1(SALU_CYCLE_1)
	s_xor_b64 s[34:35], s[34:35], s[22:23]
	v_cvt_f32_u32_e32 v1, s34
	v_cvt_f32_u32_e32 v2, s35
	s_sub_u32 s21, 0, s34
	s_subb_u32 s25, 0, s35
	s_delay_alu instid0(VALU_DEP_1) | instskip(NEXT) | instid1(VALU_DEP_1)
	v_fmamk_f32 v1, v2, 0x4f800000, v1
	v_rcp_f32_e32 v1, v1
	s_waitcnt_depctr 0xfff
	v_mul_f32_e32 v1, 0x5f7ffffc, v1
	s_delay_alu instid0(VALU_DEP_1) | instskip(NEXT) | instid1(VALU_DEP_1)
	v_mul_f32_e32 v2, 0x2f800000, v1
	v_trunc_f32_e32 v2, v2
	s_delay_alu instid0(VALU_DEP_1) | instskip(SKIP_1) | instid1(VALU_DEP_2)
	v_fmamk_f32 v1, v2, 0xcf800000, v1
	v_cvt_u32_f32_e32 v2, v2
	v_cvt_u32_f32_e32 v1, v1
	s_delay_alu instid0(VALU_DEP_2) | instskip(NEXT) | instid1(VALU_DEP_2)
	v_readfirstlane_b32 s7, v2
	v_readfirstlane_b32 s17, v1
	s_delay_alu instid0(VALU_DEP_2) | instskip(NEXT) | instid1(VALU_DEP_1)
	s_mul_i32 s33, s21, s7
	s_mul_hi_u32 s37, s21, s17
	s_mul_i32 s36, s25, s17
	s_add_i32 s33, s37, s33
	s_mul_i32 s38, s21, s17
	s_add_i32 s33, s33, s36
	s_mul_hi_u32 s37, s17, s38
	s_mul_hi_u32 s39, s7, s38
	s_mul_i32 s36, s7, s38
	s_mul_hi_u32 s38, s17, s33
	s_mul_i32 s17, s17, s33
	s_mul_hi_u32 s40, s7, s33
	s_add_u32 s17, s37, s17
	s_addc_u32 s37, 0, s38
	s_add_u32 s17, s17, s36
	s_mul_i32 s33, s7, s33
	s_addc_u32 s17, s37, s39
	s_addc_u32 s36, s40, 0
	s_add_u32 s17, s17, s33
	s_addc_u32 s33, 0, s36
	v_add_co_u32 v1, s17, v1, s17
	s_delay_alu instid0(VALU_DEP_1) | instskip(SKIP_1) | instid1(VALU_DEP_1)
	s_cmp_lg_u32 s17, 0
	s_addc_u32 s7, s7, s33
	v_readfirstlane_b32 s17, v1
	s_mul_i32 s33, s21, s7
	s_delay_alu instid0(VALU_DEP_1)
	s_mul_hi_u32 s36, s21, s17
	s_mul_i32 s25, s25, s17
	s_add_i32 s33, s36, s33
	s_mul_i32 s21, s21, s17
	s_add_i32 s33, s33, s25
	s_mul_hi_u32 s36, s7, s21
	s_mul_i32 s37, s7, s21
	s_mul_hi_u32 s21, s17, s21
	s_mul_hi_u32 s38, s17, s33
	s_mul_i32 s17, s17, s33
	s_mul_hi_u32 s25, s7, s33
	s_add_u32 s17, s21, s17
	s_addc_u32 s21, 0, s38
	s_add_u32 s17, s17, s37
	s_mul_i32 s33, s7, s33
	s_addc_u32 s17, s21, s36
	s_addc_u32 s21, s25, 0
	s_add_u32 s17, s17, s33
	s_addc_u32 s21, 0, s21
	v_add_co_u32 v1, s17, v1, s17
	s_delay_alu instid0(VALU_DEP_1) | instskip(SKIP_2) | instid1(VALU_DEP_1)
	s_cmp_lg_u32 s17, 0
	s_addc_u32 s7, s7, s21
	s_ashr_i32 s36, s27, 31
	v_readfirstlane_b32 s17, v1
	s_add_u32 s38, s26, s36
	s_mov_b32 s37, s36
	s_addc_u32 s39, s27, s36
	s_delay_alu instid0(SALU_CYCLE_1) | instskip(NEXT) | instid1(SALU_CYCLE_1)
	s_xor_b64 s[38:39], s[38:39], s[36:37]
	s_mul_i32 s25, s38, s7
	s_mul_hi_u32 s33, s38, s17
	s_mul_hi_u32 s21, s38, s7
	;; [unrolled: 1-line block ×3, first 2 shown]
	s_mul_i32 s17, s39, s17
	s_add_u32 s25, s33, s25
	s_addc_u32 s21, 0, s21
	s_mul_hi_u32 s40, s39, s7
	s_add_u32 s17, s25, s17
	s_mul_i32 s7, s39, s7
	s_addc_u32 s17, s21, s41
	s_addc_u32 s21, s40, 0
	s_add_u32 s7, s17, s7
	s_addc_u32 s17, 0, s21
	s_mul_hi_u32 s21, s34, s7
	s_mul_i32 s33, s34, s17
	s_mul_i32 s40, s34, s7
	s_add_i32 s21, s21, s33
	v_sub_co_u32 v1, s33, s38, s40
	s_mul_i32 s25, s35, s7
	s_delay_alu instid0(SALU_CYCLE_1) | instskip(NEXT) | instid1(VALU_DEP_1)
	s_add_i32 s21, s21, s25
	v_sub_co_u32 v2, s38, v1, s34
	s_sub_i32 s25, s39, s21
	s_cmp_lg_u32 s33, 0
	s_subb_u32 s25, s25, s35
	s_cmp_lg_u32 s38, 0
	v_readfirstlane_b32 s38, v2
	s_subb_u32 s25, s25, 0
	s_delay_alu instid0(SALU_CYCLE_1) | instskip(SKIP_1) | instid1(VALU_DEP_1)
	s_cmp_ge_u32 s25, s35
	s_cselect_b32 s40, -1, 0
	s_cmp_ge_u32 s38, s34
	s_cselect_b32 s38, -1, 0
	s_cmp_eq_u32 s25, s35
	s_cselect_b32 s25, s38, s40
	s_add_u32 s38, s7, 1
	s_addc_u32 s40, s17, 0
	s_add_u32 s41, s7, 2
	s_addc_u32 s42, s17, 0
	s_cmp_lg_u32 s25, 0
	s_cselect_b32 s25, s41, s38
	s_cselect_b32 s38, s42, s40
	s_cmp_lg_u32 s33, 0
	v_readfirstlane_b32 s33, v1
	s_subb_u32 s21, s39, s21
	s_delay_alu instid0(SALU_CYCLE_1) | instskip(SKIP_1) | instid1(VALU_DEP_1)
	s_cmp_ge_u32 s21, s35
	s_cselect_b32 s39, -1, 0
	s_cmp_ge_u32 s33, s34
	s_cselect_b32 s33, -1, 0
	s_cmp_eq_u32 s21, s35
	s_cselect_b32 s21, s33, s39
	s_delay_alu instid0(SALU_CYCLE_1) | instskip(SKIP_3) | instid1(SALU_CYCLE_1)
	s_cmp_lg_u32 s21, 0
	s_cselect_b32 s35, s38, s17
	s_cselect_b32 s34, s25, s7
	s_xor_b64 s[22:23], s[36:37], s[22:23]
	s_xor_b64 s[34:35], s[34:35], s[22:23]
	s_delay_alu instid0(SALU_CYCLE_1)
	s_sub_u32 s22, s34, s22
	s_subb_u32 s23, s35, s23
	s_and_not1_b32 vcc_lo, exec_lo, s24
	s_cbranch_vccnz .LBB55_7
.LBB55_6:
	v_cvt_f32_u32_e32 v1, s30
	s_sub_i32 s17, 0, s30
	s_mov_b32 s23, 0
	s_delay_alu instid0(VALU_DEP_1) | instskip(SKIP_2) | instid1(VALU_DEP_1)
	v_rcp_iflag_f32_e32 v1, v1
	s_waitcnt_depctr 0xfff
	v_mul_f32_e32 v1, 0x4f7ffffe, v1
	v_cvt_u32_f32_e32 v1, v1
	s_delay_alu instid0(VALU_DEP_1) | instskip(NEXT) | instid1(VALU_DEP_1)
	v_readfirstlane_b32 s7, v1
	s_mul_i32 s17, s17, s7
	s_delay_alu instid0(SALU_CYCLE_1) | instskip(NEXT) | instid1(SALU_CYCLE_1)
	s_mul_hi_u32 s17, s7, s17
	s_add_i32 s7, s7, s17
	s_delay_alu instid0(SALU_CYCLE_1) | instskip(NEXT) | instid1(SALU_CYCLE_1)
	s_mul_hi_u32 s7, s26, s7
	s_mul_i32 s17, s7, s30
	s_add_i32 s21, s7, 1
	s_sub_i32 s17, s26, s17
	s_delay_alu instid0(SALU_CYCLE_1)
	s_sub_i32 s22, s17, s30
	s_cmp_ge_u32 s17, s30
	s_cselect_b32 s7, s21, s7
	s_cselect_b32 s17, s22, s17
	s_add_i32 s21, s7, 1
	s_cmp_ge_u32 s17, s30
	s_cselect_b32 s22, s21, s7
.LBB55_7:
	s_load_b64 s[24:25], s[0:1], 0x78
	s_mul_i32 s7, s22, s31
	s_mul_hi_u32 s17, s22, s30
	s_mul_i32 s21, s22, s30
	s_add_i32 s7, s17, s7
	s_mul_i32 s17, s23, s30
	s_mul_hi_u32 s31, s22, s4
	s_add_i32 s17, s7, s17
	s_sub_u32 s7, s26, s21
	s_subb_u32 s17, s27, s17
	s_mul_i32 s33, s23, s4
	s_mul_i32 s34, s22, s4
	s_mul_hi_u32 s30, s7, s5
	s_mul_i32 s17, s17, s5
	s_mul_i32 s23, s7, s5
	s_mov_b32 s35, exec_lo
	v_cmpx_gt_i32_e64 s20, v0
	s_cbranch_execz .LBB55_46
; %bb.8:
	s_load_b32 s37, s[0:1], 0x8c
	s_ashr_i32 s38, s4, 31
	s_ashr_i32 s39, s5, 31
	s_lshl_b64 s[26:27], s[28:29], 2
	s_mul_i32 s28, s22, s38
	s_mul_i32 s29, s7, s39
	v_dual_mov_b32 v8, 0 :: v_dual_lshlrev_b32 v1, 2, v0
	s_add_i32 s28, s31, s28
	s_add_i32 s29, s30, s29
	s_ashr_i32 s21, s20, 31
	s_ashr_i32 s40, s6, 31
	s_add_i32 s38, s28, s33
	s_add_i32 s29, s29, s17
	s_waitcnt lgkmcnt(0)
	s_load_b32 s36, s[24:25], 0x0
	s_mul_i32 s9, s9, s16
	v_lshlrev_b32_e32 v5, 3, v0
	v_mov_b32_e32 v15, v0
	s_and_b32 s28, s37, 0xffff
	s_add_u32 s2, s2, s26
	s_addc_u32 s37, s3, s27
	s_lshl_b32 s3, s28, 2
	s_lshl_b64 s[26:27], s[20:21], 2
	v_add_co_u32 v1, s2, s2, v1
	s_add_u32 s21, s34, s23
	v_add_co_ci_u32_e64 v2, null, s37, 0, s2
	s_addc_u32 s2, s38, s29
	s_add_u32 s29, s18, s6
	s_addc_u32 s37, s19, s40
	s_add_u32 s21, s29, s21
	s_mul_hi_u32 s29, s8, s16
	s_addc_u32 s2, s37, s2
	s_add_i32 s9, s29, s9
	s_mul_i32 s8, s8, s16
	v_add_co_u32 v3, s21, s21, v3
	s_lshl_b64 s[38:39], s[8:9], 2
	s_lshl_b32 s8, s28, 1
	v_add_co_ci_u32_e64 v4, null, s2, 0, s21
	s_add_u32 s2, s12, s38
	s_addc_u32 s9, s13, s39
	v_add_co_u32 v5, s2, s2, v5
	s_delay_alu instid0(VALU_DEP_1) | instskip(SKIP_2) | instid1(VALU_DEP_4)
	v_add_co_ci_u32_e64 v6, null, s9, 0, s2
	v_add_co_u32 v3, vcc_lo, v3, 1
	v_add_co_ci_u32_e32 v4, vcc_lo, 0, v4, vcc_lo
	v_add_co_u32 v5, vcc_lo, v5, 4
	s_delay_alu instid0(VALU_DEP_4)
	v_add_co_ci_u32_e32 v6, vcc_lo, 0, v6, vcc_lo
	s_mov_b32 s9, 0
	s_lshl_b32 s12, s28, 3
	s_branch .LBB55_10
.LBB55_9:                               ;   in Loop: Header=BB55_10 Depth=1
	s_or_b32 exec_lo, exec_lo, s2
	v_add_co_u32 v1, vcc_lo, v1, s3
	v_add_nc_u32_e32 v15, s28, v15
	v_add_co_ci_u32_e32 v2, vcc_lo, 0, v2, vcc_lo
	global_store_b8 v[3:4], v10, off
	v_add_co_u32 v3, vcc_lo, v3, s8
	v_add_co_ci_u32_e32 v4, vcc_lo, 0, v4, vcc_lo
	v_cmp_le_i32_e32 vcc_lo, s20, v15
	v_add_co_u32 v5, s2, v5, s12
	s_delay_alu instid0(VALU_DEP_1) | instskip(SKIP_1) | instid1(SALU_CYCLE_1)
	v_add_co_ci_u32_e64 v6, s2, 0, v6, s2
	s_or_b32 s9, vcc_lo, s9
	s_and_not1_b32 exec_lo, exec_lo, s9
	s_cbranch_execz .LBB55_46
.LBB55_10:                              ; =>This Inner Loop Header: Depth=1
	v_add_co_u32 v9, vcc_lo, v1, s26
	v_add_co_ci_u32_e32 v10, vcc_lo, s27, v2, vcc_lo
	s_mov_b32 s2, exec_lo
	global_load_b64 v[17:18], v[5:6], off offset:-4
	s_clause 0x1
	global_load_b32 v7, v[9:10], off
	global_load_b32 v10, v[1:2], off
	v_mov_b32_e32 v19, v8
	s_waitcnt vmcnt(1)
	v_mul_f32_e32 v9, v7, v18
	s_waitcnt vmcnt(0)
	s_delay_alu instid0(VALU_DEP_1) | instskip(SKIP_2) | instid1(VALU_DEP_2)
	v_fma_f32 v9, v10, v17, -v9
	v_mul_f32_e32 v10, v10, v18
	s_waitcnt lgkmcnt(0)
	v_div_scale_f32 v11, null, s36, s36, v9
	s_delay_alu instid0(VALU_DEP_2) | instskip(NEXT) | instid1(VALU_DEP_2)
	v_fmac_f32_e32 v10, v7, v17
	v_rcp_f32_e32 v12, v11
	global_store_b64 v[5:6], v[9:10], off offset:-4
	v_fma_f32 v13, -v11, v12, 1.0
	s_delay_alu instid0(VALU_DEP_1) | instskip(SKIP_1) | instid1(VALU_DEP_1)
	v_fmac_f32_e32 v12, v13, v12
	v_div_scale_f32 v13, vcc_lo, v9, s36, v9
	v_mul_f32_e32 v14, v13, v12
	s_delay_alu instid0(VALU_DEP_1) | instskip(NEXT) | instid1(VALU_DEP_1)
	v_fma_f32 v16, -v11, v14, v13
	v_fmac_f32_e32 v14, v16, v12
	s_delay_alu instid0(VALU_DEP_1) | instskip(NEXT) | instid1(VALU_DEP_1)
	v_fma_f32 v11, -v11, v14, v13
	v_div_fmas_f32 v11, v11, v12, v14
	s_delay_alu instid0(VALU_DEP_1) | instskip(NEXT) | instid1(VALU_DEP_1)
	v_div_fixup_f32 v11, v11, s36, v9
	v_and_b32_e32 v7, 0x7fffff, v11
	v_lshrrev_b32_e32 v13, 24, v11
	v_and_b32_e32 v18, 0x7f800000, v11
	s_delay_alu instid0(VALU_DEP_2) | instskip(NEXT) | instid1(VALU_DEP_1)
	v_and_b32_e32 v16, 0x80, v13
	v_or_b32_e32 v12, 0x7e, v16
	s_delay_alu instid0(VALU_DEP_3)
	v_cmpx_ne_u64_e32 0x7f800000, v[18:19]
	s_xor_b32 s13, exec_lo, s2
	s_cbranch_execz .LBB55_26
; %bb.11:                               ;   in Loop: Header=BB55_10 Depth=1
	v_dual_mov_b32 v14, v8 :: v_dual_and_b32 v13, 0x7fffffff, v11
	s_mov_b32 s2, exec_lo
	s_delay_alu instid0(VALU_DEP_1)
	v_cmpx_gt_u64_e32 0x43e00001, v[13:14]
	s_xor_b32 s21, exec_lo, s2
	s_cbranch_execz .LBB55_25
; %bb.12:                               ;   in Loop: Header=BB55_10 Depth=1
	v_mov_b32_e32 v12, 0
	s_mov_b32 s29, exec_lo
	v_cmpx_ne_u32_e32 0, v11
	s_cbranch_execz .LBB55_24
; %bb.13:                               ;   in Loop: Header=BB55_10 Depth=1
	v_bfe_u32 v9, v11, 23, 8
	v_or_b32_e32 v13, 0x800000, v7
	s_delay_alu instid0(VALU_DEP_2) | instskip(SKIP_1) | instid1(VALU_DEP_2)
	v_sub_nc_u32_e32 v11, 0x79, v9
	v_cmp_gt_u32_e32 vcc_lo, 0x7a, v9
	v_cndmask_b32_e32 v11, 0, v11, vcc_lo
	v_cmp_eq_u32_e32 vcc_lo, 0, v9
	s_delay_alu instid0(VALU_DEP_2) | instskip(SKIP_1) | instid1(VALU_DEP_2)
	v_cndmask_b32_e64 v17, v11, 0x78, vcc_lo
	v_cndmask_b32_e32 v7, v13, v7, vcc_lo
	v_add_nc_u32_e32 v11, 20, v17
	v_add_nc_u32_e32 v13, 19, v17
	s_delay_alu instid0(VALU_DEP_2) | instskip(NEXT) | instid1(VALU_DEP_2)
	v_lshlrev_b64 v[11:12], v11, -1
	v_lshlrev_b64 v[13:14], v13, 1
	s_delay_alu instid0(VALU_DEP_2) | instskip(NEXT) | instid1(VALU_DEP_3)
	v_not_b32_e32 v12, v12
	v_not_b32_e32 v11, v11
	s_delay_alu instid0(VALU_DEP_2) | instskip(NEXT) | instid1(VALU_DEP_2)
	v_and_b32_e32 v19, 0, v12
	v_and_b32_e32 v18, v7, v11
	v_lshrrev_b64 v[11:12], v17, v[7:8]
	s_delay_alu instid0(VALU_DEP_2) | instskip(NEXT) | instid1(VALU_DEP_2)
	v_cmp_eq_u64_e64 s2, v[18:19], v[13:14]
	v_dual_mov_b32 v14, v12 :: v_dual_mov_b32 v13, v11
	s_delay_alu instid0(VALU_DEP_2)
	s_and_saveexec_b32 s37, s2
; %bb.14:                               ;   in Loop: Header=BB55_10 Depth=1
	v_bfe_u32 v7, v11, 20, 1
	s_delay_alu instid0(VALU_DEP_1) | instskip(NEXT) | instid1(VALU_DEP_1)
	v_add_co_u32 v7, s2, v11, v7
	v_add_co_u32 v13, s2, v7, -1
; %bb.15:                               ;   in Loop: Header=BB55_10 Depth=1
	s_or_b32 exec_lo, exec_lo, s37
	v_add_nc_u32_e32 v7, 0xffffff81, v9
	v_lshrrev_b32_e32 v9, 23, v11
	s_mov_b32 s2, exec_lo
	s_delay_alu instid0(VALU_DEP_2) | instskip(NEXT) | instid1(VALU_DEP_1)
	v_cndmask_b32_e64 v7, v7, 0xffffff82, vcc_lo
	v_add3_u32 v9, v17, v7, v9
	v_and_b32_e32 v7, 0xfffff, v13
	s_delay_alu instid0(VALU_DEP_2) | instskip(NEXT) | instid1(VALU_DEP_2)
	v_add_nc_u32_e32 v13, 6, v9
	v_add_co_u32 v11, vcc_lo, v7, v11
	v_add_co_ci_u32_e32 v12, vcc_lo, 0, v12, vcc_lo
                                        ; implicit-def: $vgpr7
	s_delay_alu instid0(VALU_DEP_3)
	v_cmpx_ne_u32_e32 0, v13
	s_xor_b32 s2, exec_lo, s2
; %bb.16:                               ;   in Loop: Header=BB55_10 Depth=1
	s_delay_alu instid0(VALU_DEP_2) | instskip(SKIP_2) | instid1(VALU_DEP_2)
	v_cmp_lt_u64_e32 vcc_lo, 0xffffff, v[11:12]
	v_add_nc_u32_e32 v7, 7, v9
	v_cndmask_b32_e64 v9, 0, 1, vcc_lo
	v_cndmask_b32_e32 v7, v13, v7, vcc_lo
	s_delay_alu instid0(VALU_DEP_2)
	v_lshrrev_b64 v[11:12], v9, v[11:12]
; %bb.17:                               ;   in Loop: Header=BB55_10 Depth=1
	s_and_not1_saveexec_b32 s2, s2
; %bb.18:                               ;   in Loop: Header=BB55_10 Depth=1
	s_delay_alu instid0(VALU_DEP_1)
	v_bfe_u32 v7, v11, 23, 1
; %bb.19:                               ;   in Loop: Header=BB55_10 Depth=1
	s_or_b32 exec_lo, exec_lo, s2
	s_delay_alu instid0(VALU_DEP_2) | instskip(NEXT) | instid1(VALU_DEP_2)
	v_lshrrev_b64 v[11:12], 20, v[11:12]
	v_cmp_gt_i32_e32 vcc_lo, 16, v7
	v_cmp_ne_u32_e64 s2, 0, v7
	s_delay_alu instid0(VALU_DEP_3) | instskip(NEXT) | instid1(VALU_DEP_1)
	v_dual_cndmask_b32 v12, 0, v12 :: v_dual_cndmask_b32 v11, 7, v11
	v_cmp_ne_u64_e32 vcc_lo, 0, v[11:12]
                                        ; implicit-def: $vgpr12
	s_delay_alu instid0(VALU_DEP_3) | instskip(NEXT) | instid1(SALU_CYCLE_1)
	s_or_b32 s2, s2, vcc_lo
	s_and_saveexec_b32 s37, s2
	s_delay_alu instid0(SALU_CYCLE_1)
	s_xor_b32 s2, exec_lo, s37
; %bb.20:                               ;   in Loop: Header=BB55_10 Depth=1
	v_min_i32_e32 v7, 15, v7
	s_delay_alu instid0(VALU_DEP_1) | instskip(NEXT) | instid1(VALU_DEP_1)
	v_lshl_or_b32 v7, v7, 3, v16
                                        ; implicit-def: $vgpr16
	v_and_or_b32 v12, v11, 7, v7
; %bb.21:                               ;   in Loop: Header=BB55_10 Depth=1
	s_and_not1_saveexec_b32 s2, s2
; %bb.22:                               ;   in Loop: Header=BB55_10 Depth=1
	v_mov_b32_e32 v12, v16
; %bb.23:                               ;   in Loop: Header=BB55_10 Depth=1
	s_or_b32 exec_lo, exec_lo, s2
.LBB55_24:                              ;   in Loop: Header=BB55_10 Depth=1
	s_delay_alu instid0(SALU_CYCLE_1)
	s_or_b32 exec_lo, exec_lo, s29
.LBB55_25:                              ;   in Loop: Header=BB55_10 Depth=1
	s_and_not1_saveexec_b32 s2, s21
	s_delay_alu instid0(SALU_CYCLE_1)
	s_or_b32 exec_lo, exec_lo, s2
                                        ; implicit-def: $vgpr13
.LBB55_26:                              ;   in Loop: Header=BB55_10 Depth=1
	s_and_not1_saveexec_b32 s2, s13
; %bb.27:                               ;   in Loop: Header=BB55_10 Depth=1
	v_cmp_eq_u64_e32 vcc_lo, 0, v[7:8]
	v_or_b32_e32 v9, 0x7f, v13
	s_delay_alu instid0(VALU_DEP_1)
	v_cndmask_b32_e32 v12, v9, v12, vcc_lo
; %bb.28:                               ;   in Loop: Header=BB55_10 Depth=1
	s_or_b32 exec_lo, exec_lo, s2
	v_div_scale_f32 v7, null, s36, s36, v10
	global_store_b8 v[3:4], v12, off offset:-1
	s_mov_b32 s2, exec_lo
	v_mov_b32_e32 v17, v8
	v_rcp_f32_e32 v9, v7
	s_waitcnt_depctr 0xfff
	v_fma_f32 v11, -v7, v9, 1.0
	s_delay_alu instid0(VALU_DEP_1) | instskip(SKIP_1) | instid1(VALU_DEP_1)
	v_fmac_f32_e32 v9, v11, v9
	v_div_scale_f32 v11, vcc_lo, v10, s36, v10
	v_mul_f32_e32 v13, v11, v9
	s_delay_alu instid0(VALU_DEP_1) | instskip(NEXT) | instid1(VALU_DEP_1)
	v_fma_f32 v14, -v7, v13, v11
	v_fmac_f32_e32 v13, v14, v9
	s_delay_alu instid0(VALU_DEP_1) | instskip(NEXT) | instid1(VALU_DEP_1)
	v_fma_f32 v7, -v7, v13, v11
	v_div_fmas_f32 v7, v7, v9, v13
	s_delay_alu instid0(VALU_DEP_1) | instskip(NEXT) | instid1(VALU_DEP_1)
	v_div_fixup_f32 v9, v7, s36, v10
	v_lshrrev_b32_e32 v11, 24, v9
	v_and_b32_e32 v16, 0x7f800000, v9
	v_and_b32_e32 v7, 0x7fffff, v9
	s_delay_alu instid0(VALU_DEP_3) | instskip(NEXT) | instid1(VALU_DEP_1)
	v_and_b32_e32 v13, 0x80, v11
	v_or_b32_e32 v10, 0x7e, v13
	s_delay_alu instid0(VALU_DEP_4)
	v_cmpx_ne_u64_e32 0x7f800000, v[16:17]
	s_xor_b32 s13, exec_lo, s2
	s_cbranch_execz .LBB55_44
; %bb.29:                               ;   in Loop: Header=BB55_10 Depth=1
	v_dual_mov_b32 v12, v8 :: v_dual_and_b32 v11, 0x7fffffff, v9
	s_mov_b32 s2, exec_lo
	s_delay_alu instid0(VALU_DEP_1)
	v_cmpx_gt_u64_e32 0x43e00001, v[11:12]
	s_xor_b32 s21, exec_lo, s2
	s_cbranch_execz .LBB55_43
; %bb.30:                               ;   in Loop: Header=BB55_10 Depth=1
	v_mov_b32_e32 v10, 0
	s_mov_b32 s29, exec_lo
	v_cmpx_ne_u32_e32 0, v9
	s_cbranch_execz .LBB55_42
; %bb.31:                               ;   in Loop: Header=BB55_10 Depth=1
	v_bfe_u32 v14, v9, 23, 8
	v_or_b32_e32 v11, 0x800000, v7
	s_delay_alu instid0(VALU_DEP_2) | instskip(SKIP_1) | instid1(VALU_DEP_2)
	v_sub_nc_u32_e32 v9, 0x79, v14
	v_cmp_gt_u32_e32 vcc_lo, 0x7a, v14
	v_cndmask_b32_e32 v9, 0, v9, vcc_lo
	v_cmp_eq_u32_e32 vcc_lo, 0, v14
	s_delay_alu instid0(VALU_DEP_2) | instskip(SKIP_1) | instid1(VALU_DEP_2)
	v_cndmask_b32_e64 v16, v9, 0x78, vcc_lo
	v_cndmask_b32_e32 v7, v11, v7, vcc_lo
	v_add_nc_u32_e32 v9, 20, v16
	v_add_nc_u32_e32 v11, 19, v16
	s_delay_alu instid0(VALU_DEP_2) | instskip(NEXT) | instid1(VALU_DEP_2)
	v_lshlrev_b64 v[9:10], v9, -1
	v_lshlrev_b64 v[11:12], v11, 1
	s_delay_alu instid0(VALU_DEP_2) | instskip(NEXT) | instid1(VALU_DEP_3)
	v_not_b32_e32 v10, v10
	v_not_b32_e32 v9, v9
	s_delay_alu instid0(VALU_DEP_2) | instskip(NEXT) | instid1(VALU_DEP_2)
	v_and_b32_e32 v18, 0, v10
	v_and_b32_e32 v17, v7, v9
	v_lshrrev_b64 v[9:10], v16, v[7:8]
	s_delay_alu instid0(VALU_DEP_2) | instskip(NEXT) | instid1(VALU_DEP_2)
	v_cmp_eq_u64_e64 s2, v[17:18], v[11:12]
	v_dual_mov_b32 v12, v10 :: v_dual_mov_b32 v11, v9
	s_delay_alu instid0(VALU_DEP_2)
	s_and_saveexec_b32 s37, s2
; %bb.32:                               ;   in Loop: Header=BB55_10 Depth=1
	v_bfe_u32 v7, v9, 20, 1
	s_delay_alu instid0(VALU_DEP_1) | instskip(NEXT) | instid1(VALU_DEP_1)
	v_add_co_u32 v7, s2, v9, v7
	v_add_co_u32 v11, s2, v7, -1
; %bb.33:                               ;   in Loop: Header=BB55_10 Depth=1
	s_or_b32 exec_lo, exec_lo, s37
	v_add_nc_u32_e32 v7, 0xffffff81, v14
	v_lshrrev_b32_e32 v12, 23, v9
	s_mov_b32 s2, exec_lo
	s_delay_alu instid0(VALU_DEP_2) | instskip(NEXT) | instid1(VALU_DEP_1)
	v_cndmask_b32_e64 v7, v7, 0xffffff82, vcc_lo
	v_add3_u32 v12, v16, v7, v12
	v_and_b32_e32 v7, 0xfffff, v11
	s_delay_alu instid0(VALU_DEP_2) | instskip(NEXT) | instid1(VALU_DEP_2)
	v_add_nc_u32_e32 v11, 6, v12
	v_add_co_u32 v9, vcc_lo, v7, v9
	v_add_co_ci_u32_e32 v10, vcc_lo, 0, v10, vcc_lo
                                        ; implicit-def: $vgpr7
	s_delay_alu instid0(VALU_DEP_3)
	v_cmpx_ne_u32_e32 0, v11
	s_xor_b32 s2, exec_lo, s2
; %bb.34:                               ;   in Loop: Header=BB55_10 Depth=1
	s_delay_alu instid0(VALU_DEP_2) | instskip(SKIP_1) | instid1(VALU_DEP_1)
	v_cmp_lt_u64_e32 vcc_lo, 0xffffff, v[9:10]
	v_add_nc_u32_e32 v7, 7, v12
	v_cndmask_b32_e32 v7, v11, v7, vcc_lo
	v_cndmask_b32_e64 v11, 0, 1, vcc_lo
	s_delay_alu instid0(VALU_DEP_1)
	v_lshrrev_b64 v[9:10], v11, v[9:10]
; %bb.35:                               ;   in Loop: Header=BB55_10 Depth=1
	s_and_not1_saveexec_b32 s2, s2
; %bb.36:                               ;   in Loop: Header=BB55_10 Depth=1
	s_delay_alu instid0(VALU_DEP_1)
	v_bfe_u32 v7, v9, 23, 1
; %bb.37:                               ;   in Loop: Header=BB55_10 Depth=1
	s_or_b32 exec_lo, exec_lo, s2
	s_delay_alu instid0(VALU_DEP_2) | instskip(NEXT) | instid1(VALU_DEP_2)
	v_lshrrev_b64 v[9:10], 20, v[9:10]
	v_cmp_gt_i32_e32 vcc_lo, 16, v7
	v_cmp_ne_u32_e64 s2, 0, v7
	s_delay_alu instid0(VALU_DEP_3) | instskip(NEXT) | instid1(VALU_DEP_1)
	v_dual_cndmask_b32 v10, 0, v10 :: v_dual_cndmask_b32 v9, 7, v9
	v_cmp_ne_u64_e32 vcc_lo, 0, v[9:10]
                                        ; implicit-def: $vgpr10
	s_delay_alu instid0(VALU_DEP_3) | instskip(NEXT) | instid1(SALU_CYCLE_1)
	s_or_b32 s2, s2, vcc_lo
	s_and_saveexec_b32 s37, s2
	s_delay_alu instid0(SALU_CYCLE_1)
	s_xor_b32 s2, exec_lo, s37
; %bb.38:                               ;   in Loop: Header=BB55_10 Depth=1
	v_min_i32_e32 v7, 15, v7
	s_delay_alu instid0(VALU_DEP_1) | instskip(NEXT) | instid1(VALU_DEP_1)
	v_lshl_or_b32 v7, v7, 3, v13
                                        ; implicit-def: $vgpr13
	v_and_or_b32 v10, v9, 7, v7
; %bb.39:                               ;   in Loop: Header=BB55_10 Depth=1
	s_and_not1_saveexec_b32 s2, s2
; %bb.40:                               ;   in Loop: Header=BB55_10 Depth=1
	v_mov_b32_e32 v10, v13
; %bb.41:                               ;   in Loop: Header=BB55_10 Depth=1
	s_or_b32 exec_lo, exec_lo, s2
.LBB55_42:                              ;   in Loop: Header=BB55_10 Depth=1
	s_delay_alu instid0(SALU_CYCLE_1)
	s_or_b32 exec_lo, exec_lo, s29
.LBB55_43:                              ;   in Loop: Header=BB55_10 Depth=1
	s_and_not1_saveexec_b32 s2, s21
	s_delay_alu instid0(SALU_CYCLE_1)
	s_or_b32 exec_lo, exec_lo, s2
                                        ; implicit-def: $vgpr11
.LBB55_44:                              ;   in Loop: Header=BB55_10 Depth=1
	s_and_not1_saveexec_b32 s2, s13
	s_cbranch_execz .LBB55_9
; %bb.45:                               ;   in Loop: Header=BB55_10 Depth=1
	v_cmp_eq_u64_e32 vcc_lo, 0, v[7:8]
	v_or_b32_e32 v9, 0x7f, v11
	s_delay_alu instid0(VALU_DEP_1)
	v_cndmask_b32_e32 v10, v9, v10, vcc_lo
	s_branch .LBB55_9
.LBB55_46:
	s_or_b32 exec_lo, exec_lo, s35
	s_delay_alu instid0(SALU_CYCLE_1)
	s_mov_b32 s2, exec_lo
	v_cmpx_gt_i32_e64 s6, v0
	s_cbranch_execz .LBB55_67
; %bb.47:
	s_mul_i32 s3, s16, s11
	s_mul_hi_u32 s8, s16, s10
	s_mul_i32 s2, s16, s10
	s_add_i32 s3, s8, s3
	s_load_b32 s0, s[0:1], 0x8c
	s_lshl_b64 s[2:3], s[2:3], 2
	v_mov_b32_e32 v3, 0
	s_add_u32 s1, s14, s2
	s_addc_u32 s2, s15, s3
	s_waitcnt lgkmcnt(0)
	s_load_b32 s3, s[24:25], 0x0
	s_ashr_i32 s4, s4, 31
	s_delay_alu instid0(SALU_CYCLE_1) | instskip(NEXT) | instid1(SALU_CYCLE_1)
	s_mul_i32 s4, s22, s4
	s_add_i32 s4, s31, s4
	s_delay_alu instid0(SALU_CYCLE_1) | instskip(SKIP_3) | instid1(SALU_CYCLE_1)
	s_add_i32 s4, s4, s33
	s_add_u32 s8, s18, s34
	s_addc_u32 s9, s19, s4
	s_ashr_i32 s4, s5, 31
	s_mul_i32 s7, s7, s4
	s_delay_alu instid0(SALU_CYCLE_1) | instskip(NEXT) | instid1(SALU_CYCLE_1)
	s_add_i32 s4, s30, s7
	s_add_i32 s5, s4, s17
	s_add_u32 s4, s8, s23
	s_addc_u32 s5, s9, s5
	s_and_b32 s7, s0, 0xffff
	s_mov_b32 s8, 0
	s_branch .LBB55_49
.LBB55_48:                              ;   in Loop: Header=BB55_49 Depth=1
	s_or_b32 exec_lo, exec_lo, s0
	v_add_co_u32 v6, vcc_lo, s4, v0
	v_add_nc_u32_e32 v0, s7, v0
	v_add_co_ci_u32_e32 v7, vcc_lo, s5, v1, vcc_lo
	s_delay_alu instid0(VALU_DEP_2) | instskip(SKIP_2) | instid1(SALU_CYCLE_1)
	v_cmp_le_i32_e32 vcc_lo, s6, v0
	global_store_b8 v[6:7], v5, off
	s_or_b32 s8, vcc_lo, s8
	s_and_not1_b32 exec_lo, exec_lo, s8
	s_cbranch_execz .LBB55_67
.LBB55_49:                              ; =>This Inner Loop Header: Depth=1
	v_ashrrev_i32_e32 v1, 31, v0
	s_mov_b32 s0, exec_lo
	v_mov_b32_e32 v10, v3
	s_delay_alu instid0(VALU_DEP_2) | instskip(NEXT) | instid1(VALU_DEP_1)
	v_lshlrev_b64 v[4:5], 2, v[0:1]
	v_add_co_u32 v4, vcc_lo, s1, v4
	s_delay_alu instid0(VALU_DEP_2) | instskip(SKIP_3) | instid1(VALU_DEP_1)
	v_add_co_ci_u32_e32 v5, vcc_lo, s2, v5, vcc_lo
	global_load_b32 v2, v[4:5], off
	s_waitcnt vmcnt(0) lgkmcnt(0)
	v_div_scale_f32 v4, null, s3, s3, v2
	v_rcp_f32_e32 v5, v4
	s_waitcnt_depctr 0xfff
	v_fma_f32 v6, -v4, v5, 1.0
	s_delay_alu instid0(VALU_DEP_1) | instskip(SKIP_1) | instid1(VALU_DEP_1)
	v_fmac_f32_e32 v5, v6, v5
	v_div_scale_f32 v6, vcc_lo, v2, s3, v2
	v_mul_f32_e32 v7, v6, v5
	s_delay_alu instid0(VALU_DEP_1) | instskip(NEXT) | instid1(VALU_DEP_1)
	v_fma_f32 v8, -v4, v7, v6
	v_fmac_f32_e32 v7, v8, v5
	s_delay_alu instid0(VALU_DEP_1) | instskip(NEXT) | instid1(VALU_DEP_1)
	v_fma_f32 v4, -v4, v7, v6
	v_div_fmas_f32 v4, v4, v5, v7
	s_delay_alu instid0(VALU_DEP_1) | instskip(NEXT) | instid1(VALU_DEP_1)
	v_div_fixup_f32 v4, v4, s3, v2
	v_and_b32_e32 v2, 0x7fffff, v4
	v_lshrrev_b32_e32 v6, 24, v4
	v_and_b32_e32 v9, 0x7f800000, v4
	s_delay_alu instid0(VALU_DEP_2) | instskip(NEXT) | instid1(VALU_DEP_1)
	v_and_b32_e32 v8, 0x80, v6
	v_or_b32_e32 v5, 0x7e, v8
	s_delay_alu instid0(VALU_DEP_3)
	v_cmpx_ne_u64_e32 0x7f800000, v[9:10]
	s_xor_b32 s9, exec_lo, s0
	s_cbranch_execz .LBB55_65
; %bb.50:                               ;   in Loop: Header=BB55_49 Depth=1
	v_dual_mov_b32 v7, v3 :: v_dual_and_b32 v6, 0x7fffffff, v4
	s_mov_b32 s0, exec_lo
	s_delay_alu instid0(VALU_DEP_1)
	v_cmpx_gt_u64_e32 0x43e00001, v[6:7]
	s_xor_b32 s10, exec_lo, s0
	s_cbranch_execz .LBB55_64
; %bb.51:                               ;   in Loop: Header=BB55_49 Depth=1
	v_mov_b32_e32 v5, 0
	s_mov_b32 s11, exec_lo
	v_cmpx_ne_u32_e32 0, v4
	s_cbranch_execz .LBB55_63
; %bb.52:                               ;   in Loop: Header=BB55_49 Depth=1
	v_bfe_u32 v9, v4, 23, 8
	v_or_b32_e32 v6, 0x800000, v2
	s_delay_alu instid0(VALU_DEP_2) | instskip(SKIP_1) | instid1(VALU_DEP_2)
	v_sub_nc_u32_e32 v4, 0x79, v9
	v_cmp_gt_u32_e32 vcc_lo, 0x7a, v9
	v_cndmask_b32_e32 v4, 0, v4, vcc_lo
	v_cmp_eq_u32_e32 vcc_lo, 0, v9
	s_delay_alu instid0(VALU_DEP_2) | instskip(SKIP_1) | instid1(VALU_DEP_2)
	v_cndmask_b32_e64 v10, v4, 0x78, vcc_lo
	v_cndmask_b32_e32 v2, v6, v2, vcc_lo
	v_add_nc_u32_e32 v4, 20, v10
	v_add_nc_u32_e32 v6, 19, v10
	s_delay_alu instid0(VALU_DEP_2) | instskip(NEXT) | instid1(VALU_DEP_2)
	v_lshlrev_b64 v[4:5], v4, -1
	v_lshlrev_b64 v[6:7], v6, 1
	s_delay_alu instid0(VALU_DEP_2) | instskip(NEXT) | instid1(VALU_DEP_3)
	v_not_b32_e32 v5, v5
	v_not_b32_e32 v4, v4
	s_delay_alu instid0(VALU_DEP_2) | instskip(NEXT) | instid1(VALU_DEP_2)
	v_and_b32_e32 v12, 0, v5
	v_and_b32_e32 v11, v2, v4
	v_lshrrev_b64 v[4:5], v10, v[2:3]
	s_delay_alu instid0(VALU_DEP_2) | instskip(NEXT) | instid1(VALU_DEP_2)
	v_cmp_eq_u64_e64 s0, v[11:12], v[6:7]
	v_dual_mov_b32 v7, v5 :: v_dual_mov_b32 v6, v4
	s_delay_alu instid0(VALU_DEP_2)
	s_and_saveexec_b32 s12, s0
; %bb.53:                               ;   in Loop: Header=BB55_49 Depth=1
	v_bfe_u32 v2, v4, 20, 1
	s_delay_alu instid0(VALU_DEP_1) | instskip(NEXT) | instid1(VALU_DEP_1)
	v_add_co_u32 v2, s0, v4, v2
	v_add_co_u32 v6, s0, v2, -1
; %bb.54:                               ;   in Loop: Header=BB55_49 Depth=1
	s_or_b32 exec_lo, exec_lo, s12
	v_add_nc_u32_e32 v2, 0xffffff81, v9
	v_lshrrev_b32_e32 v7, 23, v4
	s_mov_b32 s0, exec_lo
	s_delay_alu instid0(VALU_DEP_2) | instskip(NEXT) | instid1(VALU_DEP_1)
	v_cndmask_b32_e64 v2, v2, 0xffffff82, vcc_lo
	v_add3_u32 v7, v10, v2, v7
	v_and_b32_e32 v2, 0xfffff, v6
	s_delay_alu instid0(VALU_DEP_2) | instskip(NEXT) | instid1(VALU_DEP_2)
	v_add_nc_u32_e32 v6, 6, v7
	v_add_co_u32 v4, vcc_lo, v2, v4
	v_add_co_ci_u32_e32 v5, vcc_lo, 0, v5, vcc_lo
                                        ; implicit-def: $vgpr2
	s_delay_alu instid0(VALU_DEP_3)
	v_cmpx_ne_u32_e32 0, v6
	s_xor_b32 s0, exec_lo, s0
; %bb.55:                               ;   in Loop: Header=BB55_49 Depth=1
	s_delay_alu instid0(VALU_DEP_2) | instskip(SKIP_1) | instid1(VALU_DEP_1)
	v_cmp_lt_u64_e32 vcc_lo, 0xffffff, v[4:5]
	v_add_nc_u32_e32 v2, 7, v7
	v_cndmask_b32_e32 v2, v6, v2, vcc_lo
	v_cndmask_b32_e64 v6, 0, 1, vcc_lo
	s_delay_alu instid0(VALU_DEP_1)
	v_lshrrev_b64 v[4:5], v6, v[4:5]
; %bb.56:                               ;   in Loop: Header=BB55_49 Depth=1
	s_and_not1_saveexec_b32 s0, s0
; %bb.57:                               ;   in Loop: Header=BB55_49 Depth=1
	s_delay_alu instid0(VALU_DEP_1)
	v_bfe_u32 v2, v4, 23, 1
; %bb.58:                               ;   in Loop: Header=BB55_49 Depth=1
	s_or_b32 exec_lo, exec_lo, s0
	s_delay_alu instid0(VALU_DEP_2) | instskip(NEXT) | instid1(VALU_DEP_2)
	v_lshrrev_b64 v[4:5], 20, v[4:5]
	v_cmp_gt_i32_e32 vcc_lo, 16, v2
	v_cmp_ne_u32_e64 s0, 0, v2
	s_delay_alu instid0(VALU_DEP_3) | instskip(NEXT) | instid1(VALU_DEP_1)
	v_dual_cndmask_b32 v5, 0, v5 :: v_dual_cndmask_b32 v4, 7, v4
	v_cmp_ne_u64_e32 vcc_lo, 0, v[4:5]
                                        ; implicit-def: $vgpr5
	s_delay_alu instid0(VALU_DEP_3) | instskip(NEXT) | instid1(SALU_CYCLE_1)
	s_or_b32 s0, s0, vcc_lo
	s_and_saveexec_b32 s12, s0
	s_delay_alu instid0(SALU_CYCLE_1)
	s_xor_b32 s0, exec_lo, s12
; %bb.59:                               ;   in Loop: Header=BB55_49 Depth=1
	v_min_i32_e32 v2, 15, v2
	s_delay_alu instid0(VALU_DEP_1) | instskip(NEXT) | instid1(VALU_DEP_1)
	v_lshl_or_b32 v2, v2, 3, v8
                                        ; implicit-def: $vgpr8
	v_and_or_b32 v5, v4, 7, v2
; %bb.60:                               ;   in Loop: Header=BB55_49 Depth=1
	s_and_not1_saveexec_b32 s0, s0
; %bb.61:                               ;   in Loop: Header=BB55_49 Depth=1
	v_mov_b32_e32 v5, v8
; %bb.62:                               ;   in Loop: Header=BB55_49 Depth=1
	s_or_b32 exec_lo, exec_lo, s0
.LBB55_63:                              ;   in Loop: Header=BB55_49 Depth=1
	s_delay_alu instid0(SALU_CYCLE_1)
	s_or_b32 exec_lo, exec_lo, s11
.LBB55_64:                              ;   in Loop: Header=BB55_49 Depth=1
	s_and_not1_saveexec_b32 s0, s10
	s_delay_alu instid0(SALU_CYCLE_1)
	s_or_b32 exec_lo, exec_lo, s0
                                        ; implicit-def: $vgpr6
.LBB55_65:                              ;   in Loop: Header=BB55_49 Depth=1
	s_and_not1_saveexec_b32 s0, s9
	s_cbranch_execz .LBB55_48
; %bb.66:                               ;   in Loop: Header=BB55_49 Depth=1
	v_cmp_eq_u64_e32 vcc_lo, 0, v[2:3]
	v_or_b32_e32 v4, 0x7f, v6
	s_delay_alu instid0(VALU_DEP_1)
	v_cndmask_b32_e32 v5, v4, v5, vcc_lo
	s_branch .LBB55_48
.LBB55_67:
	s_nop 0
	s_sendmsg sendmsg(MSG_DEALLOC_VGPRS)
	s_endpgm
.LBB55_68:
                                        ; implicit-def: $sgpr22_sgpr23
	s_branch .LBB55_6
	.section	.rodata,"a",@progbits
	.p2align	6, 0x0
	.amdhsa_kernel _ZN4vllm38concat_and_cache_mla_rope_fused_kernelIffLb0EfhLNS_18Fp8KVCacheDataTypeE1EEEvPKlPT_S5_PKS4_PKT0_illlliPT3_S3_iiiiPKf
		.amdhsa_group_segment_fixed_size 0
		.amdhsa_private_segment_fixed_size 0
		.amdhsa_kernarg_size 384
		.amdhsa_user_sgpr_count 15
		.amdhsa_user_sgpr_dispatch_ptr 0
		.amdhsa_user_sgpr_queue_ptr 0
		.amdhsa_user_sgpr_kernarg_segment_ptr 1
		.amdhsa_user_sgpr_dispatch_id 0
		.amdhsa_user_sgpr_private_segment_size 0
		.amdhsa_wavefront_size32 1
		.amdhsa_uses_dynamic_stack 0
		.amdhsa_enable_private_segment 0
		.amdhsa_system_sgpr_workgroup_id_x 1
		.amdhsa_system_sgpr_workgroup_id_y 0
		.amdhsa_system_sgpr_workgroup_id_z 0
		.amdhsa_system_sgpr_workgroup_info 0
		.amdhsa_system_vgpr_workitem_id 0
		.amdhsa_next_free_vgpr 20
		.amdhsa_next_free_sgpr 43
		.amdhsa_reserve_vcc 1
		.amdhsa_float_round_mode_32 0
		.amdhsa_float_round_mode_16_64 0
		.amdhsa_float_denorm_mode_32 3
		.amdhsa_float_denorm_mode_16_64 3
		.amdhsa_dx10_clamp 1
		.amdhsa_ieee_mode 1
		.amdhsa_fp16_overflow 0
		.amdhsa_workgroup_processor_mode 1
		.amdhsa_memory_ordered 1
		.amdhsa_forward_progress 0
		.amdhsa_shared_vgpr_count 0
		.amdhsa_exception_fp_ieee_invalid_op 0
		.amdhsa_exception_fp_denorm_src 0
		.amdhsa_exception_fp_ieee_div_zero 0
		.amdhsa_exception_fp_ieee_overflow 0
		.amdhsa_exception_fp_ieee_underflow 0
		.amdhsa_exception_fp_ieee_inexact 0
		.amdhsa_exception_int_div_zero 0
	.end_amdhsa_kernel
	.section	.text._ZN4vllm38concat_and_cache_mla_rope_fused_kernelIffLb0EfhLNS_18Fp8KVCacheDataTypeE1EEEvPKlPT_S5_PKS4_PKT0_illlliPT3_S3_iiiiPKf,"axG",@progbits,_ZN4vllm38concat_and_cache_mla_rope_fused_kernelIffLb0EfhLNS_18Fp8KVCacheDataTypeE1EEEvPKlPT_S5_PKS4_PKT0_illlliPT3_S3_iiiiPKf,comdat
.Lfunc_end55:
	.size	_ZN4vllm38concat_and_cache_mla_rope_fused_kernelIffLb0EfhLNS_18Fp8KVCacheDataTypeE1EEEvPKlPT_S5_PKS4_PKT0_illlliPT3_S3_iiiiPKf, .Lfunc_end55-_ZN4vllm38concat_and_cache_mla_rope_fused_kernelIffLb0EfhLNS_18Fp8KVCacheDataTypeE1EEEvPKlPT_S5_PKS4_PKT0_illlliPT3_S3_iiiiPKf
                                        ; -- End function
	.section	.AMDGPU.csdata,"",@progbits
; Kernel info:
; codeLenInByte = 4320
; NumSgprs: 45
; NumVgprs: 20
; ScratchSize: 0
; MemoryBound: 0
; FloatMode: 240
; IeeeMode: 1
; LDSByteSize: 0 bytes/workgroup (compile time only)
; SGPRBlocks: 5
; VGPRBlocks: 2
; NumSGPRsForWavesPerEU: 45
; NumVGPRsForWavesPerEU: 20
; Occupancy: 16
; WaveLimiterHint : 1
; COMPUTE_PGM_RSRC2:SCRATCH_EN: 0
; COMPUTE_PGM_RSRC2:USER_SGPR: 15
; COMPUTE_PGM_RSRC2:TRAP_HANDLER: 0
; COMPUTE_PGM_RSRC2:TGID_X_EN: 1
; COMPUTE_PGM_RSRC2:TGID_Y_EN: 0
; COMPUTE_PGM_RSRC2:TGID_Z_EN: 0
; COMPUTE_PGM_RSRC2:TIDIG_COMP_CNT: 0
	.section	.text._ZN4vllm38concat_and_cache_mla_rope_fused_kernelIfN3c104HalfELb1EfhLNS_18Fp8KVCacheDataTypeE1EEEvPKlPT_S7_PKS6_PKT0_illlliPT3_S5_iiiiPKf,"axG",@progbits,_ZN4vllm38concat_and_cache_mla_rope_fused_kernelIfN3c104HalfELb1EfhLNS_18Fp8KVCacheDataTypeE1EEEvPKlPT_S7_PKS6_PKT0_illlliPT3_S5_iiiiPKf,comdat
	.protected	_ZN4vllm38concat_and_cache_mla_rope_fused_kernelIfN3c104HalfELb1EfhLNS_18Fp8KVCacheDataTypeE1EEEvPKlPT_S7_PKS6_PKT0_illlliPT3_S5_iiiiPKf ; -- Begin function _ZN4vllm38concat_and_cache_mla_rope_fused_kernelIfN3c104HalfELb1EfhLNS_18Fp8KVCacheDataTypeE1EEEvPKlPT_S7_PKS6_PKT0_illlliPT3_S5_iiiiPKf
	.globl	_ZN4vllm38concat_and_cache_mla_rope_fused_kernelIfN3c104HalfELb1EfhLNS_18Fp8KVCacheDataTypeE1EEEvPKlPT_S7_PKS6_PKT0_illlliPT3_S5_iiiiPKf
	.p2align	8
	.type	_ZN4vllm38concat_and_cache_mla_rope_fused_kernelIfN3c104HalfELb1EfhLNS_18Fp8KVCacheDataTypeE1EEEvPKlPT_S7_PKS6_PKT0_illlliPT3_S5_iiiiPKf,@function
_ZN4vllm38concat_and_cache_mla_rope_fused_kernelIfN3c104HalfELb1EfhLNS_18Fp8KVCacheDataTypeE1EEEvPKlPT_S7_PKS6_PKT0_illlliPT3_S5_iiiiPKf: ; @_ZN4vllm38concat_and_cache_mla_rope_fused_kernelIfN3c104HalfELb1EfhLNS_18Fp8KVCacheDataTypeE1EEEvPKlPT_S7_PKS6_PKT0_illlliPT3_S5_iiiiPKf
; %bb.0:
	s_load_b64 s[4:5], s[0:1], 0x60
	s_mov_b32 s16, s15
	s_mov_b32 s17, 0
	s_delay_alu instid0(SALU_CYCLE_1)
	s_lshl_b64 s[2:3], s[16:17], 3
	s_waitcnt lgkmcnt(0)
	s_add_u32 s4, s4, s2
	s_addc_u32 s5, s5, s3
	s_load_b64 s[28:29], s[4:5], 0x0
	s_waitcnt lgkmcnt(0)
	v_cmp_lt_i64_e64 s4, s[28:29], 0
	s_delay_alu instid0(VALU_DEP_1)
	s_and_b32 vcc_lo, exec_lo, s4
	s_cbranch_vccnz .LBB56_67
; %bb.1:
	s_clause 0x3
	s_load_b32 s21, s[0:1], 0x28
	s_load_b64 s[4:5], s[0:1], 0x0
	s_load_b128 s[12:15], s[0:1], 0x10
	s_load_b32 s17, s[0:1], 0x50
	s_waitcnt lgkmcnt(0)
	s_ashr_i32 s24, s21, 31
	s_add_u32 s2, s4, s2
	s_addc_u32 s3, s5, s3
	s_lshr_b32 s20, s21, 31
	s_load_b64 s[22:23], s[2:3], 0x0
	s_clause 0x2
	s_load_b64 s[2:3], s[0:1], 0x20
	s_load_b64 s[18:19], s[0:1], 0x58
	s_load_b256 s[4:11], s[0:1], 0x30
	s_add_i32 s20, s21, s20
	s_delay_alu instid0(SALU_CYCLE_1) | instskip(NEXT) | instid1(SALU_CYCLE_1)
	s_ashr_i32 s20, s20, 1
	s_mul_i32 s17, s20, s17
	s_waitcnt lgkmcnt(0)
	s_mul_i32 s24, s22, s24
	s_mul_hi_u32 s25, s22, s21
	s_mul_i32 s23, s23, s21
	s_add_i32 s24, s25, s24
	s_mul_i32 s26, s22, s21
	s_add_i32 s27, s24, s23
	s_mov_b32 s24, exec_lo
	v_cmpx_gt_i32_e64 s17, v0
	s_cbranch_execz .LBB56_4
; %bb.2:
	s_clause 0x1
	s_load_b64 s[22:23], s[0:1], 0x8
	s_load_b32 s36, s[0:1], 0x8c
	s_lshl_b64 s[30:31], s[26:27], 1
	s_mul_i32 s5, s16, s5
	s_mul_hi_u32 s21, s16, s4
	s_add_u32 s25, s2, s30
	s_mul_i32 s4, s16, s4
	s_addc_u32 s30, s3, s31
	s_add_i32 s5, s21, s5
	s_ashr_i32 s21, s20, 31
	s_lshl_b64 s[4:5], s[4:5], 2
	s_mov_b32 s35, 0
	s_waitcnt lgkmcnt(0)
	s_add_u32 s31, s22, s4
	s_addc_u32 s33, s23, s5
	s_abs_i32 s34, s20
	s_and_b32 s36, s36, 0xffff
	v_cvt_f32_u32_e32 v1, s34
	s_sub_i32 s4, 0, s34
	s_sub_i32 s37, 0, s20
	s_lshl_b64 s[22:23], s[20:21], 2
	s_delay_alu instid0(VALU_DEP_1) | instskip(SKIP_2) | instid1(VALU_DEP_1)
	v_rcp_iflag_f32_e32 v1, v1
	s_waitcnt_depctr 0xfff
	v_mul_f32_e32 v1, 0x4f7ffffe, v1
	v_cvt_u32_f32_e32 v1, v1
	s_delay_alu instid0(VALU_DEP_1) | instskip(SKIP_1) | instid1(VALU_DEP_1)
	v_mul_lo_u32 v2, s4, v1
	s_lshl_b64 s[4:5], s[20:21], 1
	v_mul_hi_u32 v2, v1, v2
	s_delay_alu instid0(VALU_DEP_1)
	v_dual_mov_b32 v1, v0 :: v_dual_add_nc_u32 v2, v1, v2
.LBB56_3:                               ; =>This Inner Loop Header: Depth=1
	s_delay_alu instid0(VALU_DEP_1) | instskip(SKIP_1) | instid1(VALU_DEP_2)
	v_sub_nc_u32_e32 v3, 0, v1
	v_ashrrev_i32_e32 v4, 31, v1
	v_max_i32_e32 v3, v1, v3
	s_delay_alu instid0(VALU_DEP_2) | instskip(NEXT) | instid1(VALU_DEP_2)
	v_xor_b32_e32 v4, s21, v4
	v_mul_hi_u32 v5, v3, v2
	s_delay_alu instid0(VALU_DEP_1) | instskip(SKIP_1) | instid1(VALU_DEP_2)
	v_mul_lo_u32 v6, v5, s34
	v_add_nc_u32_e32 v7, 1, v5
	v_sub_nc_u32_e32 v3, v3, v6
	s_delay_alu instid0(VALU_DEP_1) | instskip(SKIP_1) | instid1(VALU_DEP_4)
	v_subrev_nc_u32_e32 v6, s34, v3
	v_cmp_le_u32_e32 vcc_lo, s34, v3
	v_cndmask_b32_e32 v5, v5, v7, vcc_lo
	s_delay_alu instid0(VALU_DEP_1) | instskip(NEXT) | instid1(VALU_DEP_1)
	v_dual_cndmask_b32 v3, v3, v6 :: v_dual_add_nc_u32 v6, 1, v5
	v_cmp_le_u32_e32 vcc_lo, s34, v3
	s_delay_alu instid0(VALU_DEP_2) | instskip(NEXT) | instid1(VALU_DEP_1)
	v_cndmask_b32_e32 v3, v5, v6, vcc_lo
	v_xor_b32_e32 v3, v3, v4
	s_delay_alu instid0(VALU_DEP_1) | instskip(NEXT) | instid1(VALU_DEP_1)
	v_sub_nc_u32_e32 v7, v3, v4
	v_ashrrev_i32_e32 v8, 31, v7
	v_mad_u64_u32 v[3:4], null, s37, v7, v[1:2]
	v_mul_lo_u32 v9, v7, s7
	v_mad_u64_u32 v[5:6], null, v7, s6, 0
	s_delay_alu instid0(VALU_DEP_4) | instskip(SKIP_2) | instid1(VALU_DEP_3)
	v_mul_lo_u32 v7, v8, s6
	v_add_nc_u32_e32 v1, s36, v1
	v_ashrrev_i32_e32 v4, 31, v3
	v_add3_u32 v6, v6, v9, v7
	s_delay_alu instid0(VALU_DEP_2) | instskip(SKIP_1) | instid1(VALU_DEP_3)
	v_lshlrev_b64 v[7:8], 1, v[3:4]
	v_lshlrev_b64 v[3:4], 2, v[3:4]
	v_lshlrev_b64 v[5:6], 2, v[5:6]
	s_delay_alu instid0(VALU_DEP_3) | instskip(NEXT) | instid1(VALU_DEP_4)
	v_add_co_u32 v7, vcc_lo, s25, v7
	v_add_co_ci_u32_e32 v8, vcc_lo, s30, v8, vcc_lo
	s_delay_alu instid0(VALU_DEP_3) | instskip(NEXT) | instid1(VALU_DEP_4)
	v_add_co_u32 v10, vcc_lo, s31, v5
	v_add_co_ci_u32_e32 v11, vcc_lo, s33, v6, vcc_lo
	s_delay_alu instid0(VALU_DEP_4) | instskip(NEXT) | instid1(VALU_DEP_4)
	v_add_co_u32 v5, vcc_lo, v7, s4
	v_add_co_ci_u32_e32 v6, vcc_lo, s5, v8, vcc_lo
	s_delay_alu instid0(VALU_DEP_4) | instskip(NEXT) | instid1(VALU_DEP_4)
	v_add_co_u32 v3, vcc_lo, v10, v3
	v_add_co_ci_u32_e32 v4, vcc_lo, v11, v4, vcc_lo
	s_clause 0x1
	global_load_u16 v9, v[7:8], off
	global_load_u16 v7, v[5:6], off
	v_add_co_u32 v5, vcc_lo, v3, s22
	v_add_co_ci_u32_e32 v6, vcc_lo, s23, v4, vcc_lo
	s_clause 0x1
	global_load_b32 v8, v[3:4], off
	global_load_b32 v10, v[5:6], off
	v_cmp_le_i32_e32 vcc_lo, s17, v1
	s_or_b32 s35, vcc_lo, s35
	s_waitcnt vmcnt(3)
	v_cvt_f32_f16_e32 v11, v9
	s_waitcnt vmcnt(2)
	v_cvt_f32_f16_e32 v12, v7
	s_waitcnt vmcnt(0)
	s_delay_alu instid0(VALU_DEP_1) | instskip(SKIP_1) | instid1(VALU_DEP_2)
	v_mul_f32_e32 v12, v10, v12
	v_mul_f32_e32 v10, v10, v11
	v_fma_mix_f32 v9, v8, v9, -v12 op_sel_hi:[0,1,0]
	s_delay_alu instid0(VALU_DEP_2)
	v_fma_mix_f32 v7, v8, v7, v10 op_sel_hi:[0,1,0]
	s_clause 0x1
	global_store_b32 v[3:4], v9, off
	global_store_b32 v[5:6], v7, off
	s_and_not1_b32 exec_lo, exec_lo, s35
	s_cbranch_execnz .LBB56_3
.LBB56_4:
	s_or_b32 exec_lo, exec_lo, s24
	s_load_b128 s[4:7], s[0:1], 0x68
	s_waitcnt lgkmcnt(0)
	s_ashr_i32 s31, s7, 31
	s_mov_b32 s30, s7
	s_delay_alu instid0(SALU_CYCLE_1) | instskip(SKIP_1) | instid1(SALU_CYCLE_1)
	s_or_b64 s[24:25], s[28:29], s[30:31]
	s_mov_b32 s24, 0
	s_cmp_lg_u64 s[24:25], 0
	s_cbranch_scc0 .LBB56_68
; %bb.5:
	s_add_u32 s34, s30, s31
	s_mov_b32 s22, s31
	s_mov_b32 s23, s31
	s_addc_u32 s35, s31, s31
	s_delay_alu instid0(SALU_CYCLE_1) | instskip(NEXT) | instid1(SALU_CYCLE_1)
	s_xor_b64 s[34:35], s[34:35], s[22:23]
	v_cvt_f32_u32_e32 v1, s34
	v_cvt_f32_u32_e32 v2, s35
	s_sub_u32 s21, 0, s34
	s_subb_u32 s25, 0, s35
	s_delay_alu instid0(VALU_DEP_1) | instskip(NEXT) | instid1(VALU_DEP_1)
	v_fmamk_f32 v1, v2, 0x4f800000, v1
	v_rcp_f32_e32 v1, v1
	s_waitcnt_depctr 0xfff
	v_mul_f32_e32 v1, 0x5f7ffffc, v1
	s_delay_alu instid0(VALU_DEP_1) | instskip(NEXT) | instid1(VALU_DEP_1)
	v_mul_f32_e32 v2, 0x2f800000, v1
	v_trunc_f32_e32 v2, v2
	s_delay_alu instid0(VALU_DEP_1) | instskip(SKIP_1) | instid1(VALU_DEP_2)
	v_fmamk_f32 v1, v2, 0xcf800000, v1
	v_cvt_u32_f32_e32 v2, v2
	v_cvt_u32_f32_e32 v1, v1
	s_delay_alu instid0(VALU_DEP_2) | instskip(NEXT) | instid1(VALU_DEP_2)
	v_readfirstlane_b32 s7, v2
	v_readfirstlane_b32 s17, v1
	s_delay_alu instid0(VALU_DEP_2) | instskip(NEXT) | instid1(VALU_DEP_1)
	s_mul_i32 s33, s21, s7
	s_mul_hi_u32 s37, s21, s17
	s_mul_i32 s36, s25, s17
	s_add_i32 s33, s37, s33
	s_mul_i32 s38, s21, s17
	s_add_i32 s33, s33, s36
	s_mul_hi_u32 s37, s17, s38
	s_mul_hi_u32 s39, s7, s38
	s_mul_i32 s36, s7, s38
	s_mul_hi_u32 s38, s17, s33
	s_mul_i32 s17, s17, s33
	s_mul_hi_u32 s40, s7, s33
	s_add_u32 s17, s37, s17
	s_addc_u32 s37, 0, s38
	s_add_u32 s17, s17, s36
	s_mul_i32 s33, s7, s33
	s_addc_u32 s17, s37, s39
	s_addc_u32 s36, s40, 0
	s_add_u32 s17, s17, s33
	s_addc_u32 s33, 0, s36
	v_add_co_u32 v1, s17, v1, s17
	s_delay_alu instid0(VALU_DEP_1) | instskip(SKIP_1) | instid1(VALU_DEP_1)
	s_cmp_lg_u32 s17, 0
	s_addc_u32 s7, s7, s33
	v_readfirstlane_b32 s17, v1
	s_mul_i32 s33, s21, s7
	s_delay_alu instid0(VALU_DEP_1)
	s_mul_hi_u32 s36, s21, s17
	s_mul_i32 s25, s25, s17
	s_add_i32 s33, s36, s33
	s_mul_i32 s21, s21, s17
	s_add_i32 s33, s33, s25
	s_mul_hi_u32 s36, s7, s21
	s_mul_i32 s37, s7, s21
	s_mul_hi_u32 s21, s17, s21
	s_mul_hi_u32 s38, s17, s33
	s_mul_i32 s17, s17, s33
	s_mul_hi_u32 s25, s7, s33
	s_add_u32 s17, s21, s17
	s_addc_u32 s21, 0, s38
	s_add_u32 s17, s17, s37
	s_mul_i32 s33, s7, s33
	s_addc_u32 s17, s21, s36
	s_addc_u32 s21, s25, 0
	s_add_u32 s17, s17, s33
	s_addc_u32 s21, 0, s21
	v_add_co_u32 v1, s17, v1, s17
	s_delay_alu instid0(VALU_DEP_1) | instskip(SKIP_2) | instid1(VALU_DEP_1)
	s_cmp_lg_u32 s17, 0
	s_addc_u32 s7, s7, s21
	s_ashr_i32 s36, s29, 31
	v_readfirstlane_b32 s17, v1
	s_add_u32 s38, s28, s36
	s_mov_b32 s37, s36
	s_addc_u32 s39, s29, s36
	s_delay_alu instid0(SALU_CYCLE_1) | instskip(NEXT) | instid1(SALU_CYCLE_1)
	s_xor_b64 s[38:39], s[38:39], s[36:37]
	s_mul_i32 s25, s38, s7
	s_mul_hi_u32 s33, s38, s17
	s_mul_hi_u32 s21, s38, s7
	;; [unrolled: 1-line block ×3, first 2 shown]
	s_mul_i32 s17, s39, s17
	s_add_u32 s25, s33, s25
	s_addc_u32 s21, 0, s21
	s_mul_hi_u32 s40, s39, s7
	s_add_u32 s17, s25, s17
	s_mul_i32 s7, s39, s7
	s_addc_u32 s17, s21, s41
	s_addc_u32 s21, s40, 0
	s_add_u32 s7, s17, s7
	s_addc_u32 s17, 0, s21
	s_mul_hi_u32 s21, s34, s7
	s_mul_i32 s33, s34, s17
	s_mul_i32 s40, s34, s7
	s_add_i32 s21, s21, s33
	v_sub_co_u32 v1, s33, s38, s40
	s_mul_i32 s25, s35, s7
	s_delay_alu instid0(SALU_CYCLE_1) | instskip(NEXT) | instid1(VALU_DEP_1)
	s_add_i32 s21, s21, s25
	v_sub_co_u32 v2, s38, v1, s34
	s_sub_i32 s25, s39, s21
	s_cmp_lg_u32 s33, 0
	s_subb_u32 s25, s25, s35
	s_cmp_lg_u32 s38, 0
	v_readfirstlane_b32 s38, v2
	s_subb_u32 s25, s25, 0
	s_delay_alu instid0(SALU_CYCLE_1) | instskip(SKIP_1) | instid1(VALU_DEP_1)
	s_cmp_ge_u32 s25, s35
	s_cselect_b32 s40, -1, 0
	s_cmp_ge_u32 s38, s34
	s_cselect_b32 s38, -1, 0
	s_cmp_eq_u32 s25, s35
	s_cselect_b32 s25, s38, s40
	s_add_u32 s38, s7, 1
	s_addc_u32 s40, s17, 0
	s_add_u32 s41, s7, 2
	s_addc_u32 s42, s17, 0
	s_cmp_lg_u32 s25, 0
	s_cselect_b32 s25, s41, s38
	s_cselect_b32 s38, s42, s40
	s_cmp_lg_u32 s33, 0
	v_readfirstlane_b32 s33, v1
	s_subb_u32 s21, s39, s21
	s_delay_alu instid0(SALU_CYCLE_1) | instskip(SKIP_1) | instid1(VALU_DEP_1)
	s_cmp_ge_u32 s21, s35
	s_cselect_b32 s39, -1, 0
	s_cmp_ge_u32 s33, s34
	s_cselect_b32 s33, -1, 0
	s_cmp_eq_u32 s21, s35
	s_cselect_b32 s21, s33, s39
	s_delay_alu instid0(SALU_CYCLE_1) | instskip(SKIP_3) | instid1(SALU_CYCLE_1)
	s_cmp_lg_u32 s21, 0
	s_cselect_b32 s35, s38, s17
	s_cselect_b32 s34, s25, s7
	s_xor_b64 s[22:23], s[36:37], s[22:23]
	s_xor_b64 s[34:35], s[34:35], s[22:23]
	s_delay_alu instid0(SALU_CYCLE_1)
	s_sub_u32 s22, s34, s22
	s_subb_u32 s23, s35, s23
	s_and_not1_b32 vcc_lo, exec_lo, s24
	s_cbranch_vccnz .LBB56_7
.LBB56_6:
	v_cvt_f32_u32_e32 v1, s30
	s_sub_i32 s17, 0, s30
	s_mov_b32 s23, 0
	s_delay_alu instid0(VALU_DEP_1) | instskip(SKIP_2) | instid1(VALU_DEP_1)
	v_rcp_iflag_f32_e32 v1, v1
	s_waitcnt_depctr 0xfff
	v_mul_f32_e32 v1, 0x4f7ffffe, v1
	v_cvt_u32_f32_e32 v1, v1
	s_delay_alu instid0(VALU_DEP_1) | instskip(NEXT) | instid1(VALU_DEP_1)
	v_readfirstlane_b32 s7, v1
	s_mul_i32 s17, s17, s7
	s_delay_alu instid0(SALU_CYCLE_1) | instskip(NEXT) | instid1(SALU_CYCLE_1)
	s_mul_hi_u32 s17, s7, s17
	s_add_i32 s7, s7, s17
	s_delay_alu instid0(SALU_CYCLE_1) | instskip(NEXT) | instid1(SALU_CYCLE_1)
	s_mul_hi_u32 s7, s28, s7
	s_mul_i32 s17, s7, s30
	s_add_i32 s21, s7, 1
	s_sub_i32 s17, s28, s17
	s_delay_alu instid0(SALU_CYCLE_1)
	s_sub_i32 s22, s17, s30
	s_cmp_ge_u32 s17, s30
	s_cselect_b32 s7, s21, s7
	s_cselect_b32 s17, s22, s17
	s_add_i32 s21, s7, 1
	s_cmp_ge_u32 s17, s30
	s_cselect_b32 s22, s21, s7
.LBB56_7:
	s_load_b64 s[24:25], s[0:1], 0x78
	s_mul_i32 s7, s22, s31
	s_mul_hi_u32 s17, s22, s30
	s_mul_i32 s21, s22, s30
	s_add_i32 s7, s17, s7
	s_mul_i32 s17, s23, s30
	s_mul_i32 s30, s23, s4
	s_add_i32 s17, s7, s17
	s_sub_u32 s7, s28, s21
	s_subb_u32 s17, s29, s17
	s_mul_hi_u32 s29, s22, s4
	s_mul_i32 s31, s22, s4
	s_mul_hi_u32 s28, s7, s5
	s_mul_i32 s17, s17, s5
	s_mul_i32 s23, s7, s5
	s_mov_b32 s33, exec_lo
	v_cmpx_gt_i32_e64 s20, v0
	s_cbranch_execz .LBB56_46
; %bb.8:
	s_load_b32 s38, s[0:1], 0x8c
	s_ashr_i32 s36, s4, 31
	s_ashr_i32 s37, s5, 31
	s_mul_i32 s36, s22, s36
	s_mul_i32 s37, s7, s37
	s_add_i32 s36, s29, s36
	s_add_i32 s37, s28, s37
	s_ashr_i32 s21, s20, 31
	s_add_i32 s36, s36, s30
	s_add_i32 s37, s37, s17
	s_add_u32 s42, s31, s23
	s_addc_u32 s43, s36, s37
	s_add_u32 s36, s42, s18
	s_addc_u32 s37, s43, s19
	s_ashr_i32 s44, s6, 31
	s_add_u32 s36, s36, s6
	v_dual_mov_b32 v2, 0 :: v_dual_lshlrev_b32 v1, 1, v0
	s_addc_u32 s37, s37, s44
	s_lshl_b64 s[26:27], s[26:27], 1
	s_waitcnt lgkmcnt(0)
	s_and_b32 s38, s38, 0xffff
	s_add_u32 s2, s2, s26
	s_load_b32 s34, s[24:25], 0x0
	s_addc_u32 s3, s3, s27
	v_add_co_u32 v3, s2, s2, v1
	s_delay_alu instid0(VALU_DEP_1)
	v_add_co_ci_u32_e64 v4, null, s3, 0, s2
	s_mul_i32 s2, s9, s16
	s_mul_hi_u32 s9, s8, s16
	s_mul_i32 s26, s8, s16
	s_add_i32 s27, s9, s2
	v_lshlrev_b32_e32 v1, 2, v0
	s_lshl_b64 s[40:41], s[26:27], 2
	s_lshl_b32 s3, s38, 1
	s_lshl_b64 s[8:9], s[20:21], 1
	s_lshl_b64 s[26:27], s[20:21], 2
	s_add_u32 s2, s12, s40
	s_addc_u32 s12, s13, s41
	v_add_co_u32 v5, s2, s2, v1
	s_lshl_b32 s39, s38, 2
	v_add_co_ci_u32_e64 v6, null, s12, 0, s2
	s_add_u32 s2, s42, s20
	s_addc_u32 s12, s43, s21
	s_add_u32 s2, s2, s6
	s_addc_u32 s12, s12, s44
	s_add_u32 s21, s18, s2
	s_mov_b32 s35, 0
	s_addc_u32 s40, s19, s12
	s_mov_b64 s[12:13], 0
	s_branch .LBB56_10
.LBB56_9:                               ;   in Loop: Header=BB56_10 Depth=1
	s_or_b32 exec_lo, exec_lo, s2
	s_add_u32 s12, s12, s38
	v_add_co_u32 v3, vcc_lo, v3, s3
	v_add_nc_u32_e32 v1, s12, v0
	v_add_co_ci_u32_e32 v4, vcc_lo, 0, v4, vcc_lo
	v_add_co_u32 v5, vcc_lo, v5, s39
	v_add_co_ci_u32_e32 v6, vcc_lo, 0, v6, vcc_lo
	v_add_co_u32 v7, s2, s21, v0
	s_addc_u32 s13, s13, 0
	v_cmp_le_i32_e32 vcc_lo, s20, v1
	s_add_u32 s21, s21, s38
	v_add_co_ci_u32_e64 v8, null, s40, 0, s2
	s_addc_u32 s40, s40, 0
	s_add_u32 s36, s36, s38
	s_addc_u32 s37, s37, 0
	s_or_b32 s35, vcc_lo, s35
	global_store_b8 v[7:8], v9, off
	s_and_not1_b32 exec_lo, exec_lo, s35
	s_cbranch_execz .LBB56_46
.LBB56_10:                              ; =>This Inner Loop Header: Depth=1
	v_add_co_u32 v7, vcc_lo, v3, s8
	v_add_co_ci_u32_e32 v8, vcc_lo, s9, v4, vcc_lo
	v_add_co_u32 v13, vcc_lo, v5, s26
	v_add_co_ci_u32_e32 v14, vcc_lo, s27, v6, vcc_lo
	s_mov_b32 s2, exec_lo
	global_load_u16 v1, v[7:8], off
	s_clause 0x1
	global_load_b32 v8, v[13:14], off
	global_load_b32 v10, v[5:6], off
	global_load_u16 v9, v[3:4], off
	s_waitcnt vmcnt(3)
	v_cvt_f32_f16_e32 v7, v1
	s_waitcnt vmcnt(2)
	s_delay_alu instid0(VALU_DEP_1) | instskip(SKIP_1) | instid1(VALU_DEP_1)
	v_mul_f32_e32 v7, v8, v7
	s_waitcnt vmcnt(0)
	v_fma_mix_f32 v17, v10, v9, -v7 op_sel_hi:[0,1,0]
	s_waitcnt lgkmcnt(0)
	s_delay_alu instid0(VALU_DEP_1) | instskip(NEXT) | instid1(VALU_DEP_1)
	v_div_scale_f32 v7, null, s34, s34, v17
	v_rcp_f32_e32 v11, v7
	s_waitcnt_depctr 0xfff
	v_fma_f32 v12, -v7, v11, 1.0
	s_delay_alu instid0(VALU_DEP_1) | instskip(SKIP_1) | instid1(VALU_DEP_1)
	v_fmac_f32_e32 v11, v12, v11
	v_div_scale_f32 v12, vcc_lo, v17, s34, v17
	v_mul_f32_e32 v15, v12, v11
	s_delay_alu instid0(VALU_DEP_1) | instskip(NEXT) | instid1(VALU_DEP_1)
	v_fma_f32 v16, -v7, v15, v12
	v_dual_fmac_f32 v15, v16, v11 :: v_dual_mov_b32 v16, v2
	s_delay_alu instid0(VALU_DEP_1) | instskip(NEXT) | instid1(VALU_DEP_1)
	v_fma_f32 v7, -v7, v15, v12
	v_div_fmas_f32 v7, v7, v11, v15
	v_cvt_f32_f16_e32 v11, v9
	s_delay_alu instid0(VALU_DEP_2) | instskip(NEXT) | instid1(VALU_DEP_2)
	v_div_fixup_f32 v7, v7, s34, v17
	v_mul_f32_e32 v8, v8, v11
	s_delay_alu instid0(VALU_DEP_2) | instskip(SKIP_1) | instid1(VALU_DEP_3)
	v_lshrrev_b32_e32 v9, 24, v7
	v_and_b32_e32 v15, 0x7f800000, v7
	v_fma_mix_f32 v11, v10, v1, v8 op_sel_hi:[0,1,0]
	v_and_b32_e32 v1, 0x7fffff, v7
	s_clause 0x1
	global_store_b32 v[5:6], v17, off
	global_store_b32 v[13:14], v11, off
	v_and_b32_e32 v12, 0x80, v9
	s_delay_alu instid0(VALU_DEP_1)
	v_or_b32_e32 v8, 0x7e, v12
	v_cmpx_ne_u64_e32 0x7f800000, v[15:16]
	s_xor_b32 s41, exec_lo, s2
	s_cbranch_execz .LBB56_26
; %bb.11:                               ;   in Loop: Header=BB56_10 Depth=1
	v_dual_mov_b32 v10, v2 :: v_dual_and_b32 v9, 0x7fffffff, v7
	s_mov_b32 s2, exec_lo
	s_delay_alu instid0(VALU_DEP_1)
	v_cmpx_gt_u64_e32 0x43e00001, v[9:10]
	s_xor_b32 s42, exec_lo, s2
	s_cbranch_execz .LBB56_25
; %bb.12:                               ;   in Loop: Header=BB56_10 Depth=1
	v_mov_b32_e32 v8, 0
	s_mov_b32 s43, exec_lo
	v_cmpx_ne_u32_e32 0, v7
	s_cbranch_execz .LBB56_24
; %bb.13:                               ;   in Loop: Header=BB56_10 Depth=1
	v_bfe_u32 v13, v7, 23, 8
	v_or_b32_e32 v9, 0x800000, v1
	s_delay_alu instid0(VALU_DEP_2) | instskip(SKIP_1) | instid1(VALU_DEP_2)
	v_sub_nc_u32_e32 v7, 0x79, v13
	v_cmp_gt_u32_e32 vcc_lo, 0x7a, v13
	v_cndmask_b32_e32 v7, 0, v7, vcc_lo
	v_cmp_eq_u32_e32 vcc_lo, 0, v13
	s_delay_alu instid0(VALU_DEP_2) | instskip(SKIP_1) | instid1(VALU_DEP_2)
	v_cndmask_b32_e64 v14, v7, 0x78, vcc_lo
	v_cndmask_b32_e32 v1, v9, v1, vcc_lo
	v_add_nc_u32_e32 v7, 20, v14
	v_add_nc_u32_e32 v9, 19, v14
	s_delay_alu instid0(VALU_DEP_2) | instskip(NEXT) | instid1(VALU_DEP_2)
	v_lshlrev_b64 v[7:8], v7, -1
	v_lshlrev_b64 v[9:10], v9, 1
	s_delay_alu instid0(VALU_DEP_2) | instskip(NEXT) | instid1(VALU_DEP_3)
	v_not_b32_e32 v8, v8
	v_not_b32_e32 v7, v7
	s_delay_alu instid0(VALU_DEP_2) | instskip(NEXT) | instid1(VALU_DEP_2)
	v_and_b32_e32 v16, 0, v8
	v_and_b32_e32 v15, v1, v7
	v_lshrrev_b64 v[7:8], v14, v[1:2]
	s_delay_alu instid0(VALU_DEP_2) | instskip(NEXT) | instid1(VALU_DEP_2)
	v_cmp_eq_u64_e64 s2, v[15:16], v[9:10]
	v_dual_mov_b32 v10, v8 :: v_dual_mov_b32 v9, v7
	s_delay_alu instid0(VALU_DEP_2)
	s_and_saveexec_b32 s44, s2
; %bb.14:                               ;   in Loop: Header=BB56_10 Depth=1
	v_bfe_u32 v1, v7, 20, 1
	s_delay_alu instid0(VALU_DEP_1) | instskip(NEXT) | instid1(VALU_DEP_1)
	v_add_co_u32 v1, s2, v7, v1
	v_add_co_u32 v9, s2, v1, -1
; %bb.15:                               ;   in Loop: Header=BB56_10 Depth=1
	s_or_b32 exec_lo, exec_lo, s44
	v_add_nc_u32_e32 v1, 0xffffff81, v13
	v_lshrrev_b32_e32 v10, 23, v7
	s_mov_b32 s2, exec_lo
	s_delay_alu instid0(VALU_DEP_2) | instskip(NEXT) | instid1(VALU_DEP_1)
	v_cndmask_b32_e64 v1, v1, 0xffffff82, vcc_lo
	v_add3_u32 v10, v14, v1, v10
	v_and_b32_e32 v1, 0xfffff, v9
	s_delay_alu instid0(VALU_DEP_2) | instskip(NEXT) | instid1(VALU_DEP_2)
	v_add_nc_u32_e32 v9, 6, v10
	v_add_co_u32 v7, vcc_lo, v1, v7
	v_add_co_ci_u32_e32 v8, vcc_lo, 0, v8, vcc_lo
                                        ; implicit-def: $vgpr1
	s_delay_alu instid0(VALU_DEP_3)
	v_cmpx_ne_u32_e32 0, v9
	s_xor_b32 s2, exec_lo, s2
; %bb.16:                               ;   in Loop: Header=BB56_10 Depth=1
	s_delay_alu instid0(VALU_DEP_2) | instskip(SKIP_1) | instid1(VALU_DEP_1)
	v_cmp_lt_u64_e32 vcc_lo, 0xffffff, v[7:8]
	v_add_nc_u32_e32 v1, 7, v10
	v_cndmask_b32_e32 v1, v9, v1, vcc_lo
	v_cndmask_b32_e64 v9, 0, 1, vcc_lo
	s_delay_alu instid0(VALU_DEP_1)
	v_lshrrev_b64 v[7:8], v9, v[7:8]
; %bb.17:                               ;   in Loop: Header=BB56_10 Depth=1
	s_and_not1_saveexec_b32 s2, s2
; %bb.18:                               ;   in Loop: Header=BB56_10 Depth=1
	s_delay_alu instid0(VALU_DEP_1)
	v_bfe_u32 v1, v7, 23, 1
; %bb.19:                               ;   in Loop: Header=BB56_10 Depth=1
	s_or_b32 exec_lo, exec_lo, s2
	s_delay_alu instid0(VALU_DEP_2) | instskip(NEXT) | instid1(VALU_DEP_2)
	v_lshrrev_b64 v[7:8], 20, v[7:8]
	v_cmp_gt_i32_e32 vcc_lo, 16, v1
	v_cmp_ne_u32_e64 s2, 0, v1
	s_delay_alu instid0(VALU_DEP_3) | instskip(NEXT) | instid1(VALU_DEP_1)
	v_dual_cndmask_b32 v8, 0, v8 :: v_dual_cndmask_b32 v7, 7, v7
	v_cmp_ne_u64_e32 vcc_lo, 0, v[7:8]
                                        ; implicit-def: $vgpr8
	s_delay_alu instid0(VALU_DEP_3) | instskip(NEXT) | instid1(SALU_CYCLE_1)
	s_or_b32 s2, s2, vcc_lo
	s_and_saveexec_b32 s44, s2
	s_delay_alu instid0(SALU_CYCLE_1)
	s_xor_b32 s2, exec_lo, s44
; %bb.20:                               ;   in Loop: Header=BB56_10 Depth=1
	v_min_i32_e32 v1, 15, v1
	s_delay_alu instid0(VALU_DEP_1) | instskip(NEXT) | instid1(VALU_DEP_1)
	v_lshl_or_b32 v1, v1, 3, v12
                                        ; implicit-def: $vgpr12
	v_and_or_b32 v8, v7, 7, v1
; %bb.21:                               ;   in Loop: Header=BB56_10 Depth=1
	s_and_not1_saveexec_b32 s2, s2
; %bb.22:                               ;   in Loop: Header=BB56_10 Depth=1
	v_mov_b32_e32 v8, v12
; %bb.23:                               ;   in Loop: Header=BB56_10 Depth=1
	s_or_b32 exec_lo, exec_lo, s2
.LBB56_24:                              ;   in Loop: Header=BB56_10 Depth=1
	s_delay_alu instid0(SALU_CYCLE_1)
	s_or_b32 exec_lo, exec_lo, s43
.LBB56_25:                              ;   in Loop: Header=BB56_10 Depth=1
	s_and_not1_saveexec_b32 s2, s42
	s_delay_alu instid0(SALU_CYCLE_1)
	s_or_b32 exec_lo, exec_lo, s2
                                        ; implicit-def: $vgpr9
.LBB56_26:                              ;   in Loop: Header=BB56_10 Depth=1
	s_and_not1_saveexec_b32 s2, s41
; %bb.27:                               ;   in Loop: Header=BB56_10 Depth=1
	v_cmp_eq_u64_e32 vcc_lo, 0, v[1:2]
	v_or_b32_e32 v7, 0x7f, v9
	s_delay_alu instid0(VALU_DEP_1)
	v_cndmask_b32_e32 v8, v7, v8, vcc_lo
; %bb.28:                               ;   in Loop: Header=BB56_10 Depth=1
	s_or_b32 exec_lo, exec_lo, s2
	v_div_scale_f32 v1, null, s34, s34, v11
	v_div_scale_f32 v10, vcc_lo, v11, s34, v11
	v_add_co_u32 v14, s2, s36, v0
	s_delay_alu instid0(VALU_DEP_3) | instskip(SKIP_4) | instid1(VALU_DEP_1)
	v_rcp_f32_e32 v7, v1
	v_add_co_ci_u32_e64 v15, null, s37, 0, s2
	s_mov_b32 s2, exec_lo
	global_store_b8 v[14:15], v8, off
	v_fma_f32 v9, -v1, v7, 1.0
	v_fmac_f32_e32 v7, v9, v7
	s_delay_alu instid0(VALU_DEP_1) | instskip(NEXT) | instid1(VALU_DEP_1)
	v_mul_f32_e32 v9, v10, v7
	v_fma_f32 v12, -v1, v9, v10
	s_delay_alu instid0(VALU_DEP_1) | instskip(NEXT) | instid1(VALU_DEP_1)
	v_fmac_f32_e32 v9, v12, v7
	v_fma_f32 v1, -v1, v9, v10
	s_delay_alu instid0(VALU_DEP_1) | instskip(NEXT) | instid1(VALU_DEP_1)
	v_div_fmas_f32 v1, v1, v7, v9
	v_div_fixup_f32 v7, v1, s34, v11
	s_delay_alu instid0(VALU_DEP_1) | instskip(SKIP_2) | instid1(VALU_DEP_2)
	v_dual_mov_b32 v13, v2 :: v_dual_and_b32 v12, 0x7f800000, v7
	v_lshrrev_b32_e32 v10, 24, v7
	v_and_b32_e32 v1, 0x7fffff, v7
	v_and_b32_e32 v11, 0x80, v10
	s_delay_alu instid0(VALU_DEP_1)
	v_or_b32_e32 v9, 0x7e, v11
	v_cmpx_ne_u64_e32 0x7f800000, v[12:13]
	s_xor_b32 s41, exec_lo, s2
	s_cbranch_execz .LBB56_44
; %bb.29:                               ;   in Loop: Header=BB56_10 Depth=1
	v_dual_mov_b32 v13, v2 :: v_dual_and_b32 v12, 0x7fffffff, v7
	s_mov_b32 s2, exec_lo
	s_delay_alu instid0(VALU_DEP_1)
	v_cmpx_gt_u64_e32 0x43e00001, v[12:13]
	s_xor_b32 s42, exec_lo, s2
	s_cbranch_execz .LBB56_43
; %bb.30:                               ;   in Loop: Header=BB56_10 Depth=1
	v_mov_b32_e32 v9, 0
	s_mov_b32 s43, exec_lo
	v_cmpx_ne_u32_e32 0, v7
	s_cbranch_execz .LBB56_42
; %bb.31:                               ;   in Loop: Header=BB56_10 Depth=1
	v_bfe_u32 v12, v7, 23, 8
	v_or_b32_e32 v9, 0x800000, v1
	s_delay_alu instid0(VALU_DEP_2) | instskip(SKIP_1) | instid1(VALU_DEP_2)
	v_sub_nc_u32_e32 v7, 0x79, v12
	v_cmp_gt_u32_e32 vcc_lo, 0x7a, v12
	v_cndmask_b32_e32 v7, 0, v7, vcc_lo
	v_cmp_eq_u32_e32 vcc_lo, 0, v12
	s_delay_alu instid0(VALU_DEP_2) | instskip(SKIP_1) | instid1(VALU_DEP_2)
	v_cndmask_b32_e64 v13, v7, 0x78, vcc_lo
	v_cndmask_b32_e32 v1, v9, v1, vcc_lo
	v_add_nc_u32_e32 v7, 20, v13
	v_add_nc_u32_e32 v9, 19, v13
	s_delay_alu instid0(VALU_DEP_2) | instskip(NEXT) | instid1(VALU_DEP_2)
	v_lshlrev_b64 v[7:8], v7, -1
	v_lshlrev_b64 v[9:10], v9, 1
	s_delay_alu instid0(VALU_DEP_2) | instskip(NEXT) | instid1(VALU_DEP_3)
	v_not_b32_e32 v8, v8
	v_not_b32_e32 v7, v7
	s_delay_alu instid0(VALU_DEP_2) | instskip(NEXT) | instid1(VALU_DEP_2)
	v_and_b32_e32 v15, 0, v8
	v_and_b32_e32 v14, v1, v7
	v_lshrrev_b64 v[7:8], v13, v[1:2]
	s_delay_alu instid0(VALU_DEP_2) | instskip(NEXT) | instid1(VALU_DEP_2)
	v_cmp_eq_u64_e64 s2, v[14:15], v[9:10]
	v_dual_mov_b32 v10, v8 :: v_dual_mov_b32 v9, v7
	s_delay_alu instid0(VALU_DEP_2)
	s_and_saveexec_b32 s44, s2
; %bb.32:                               ;   in Loop: Header=BB56_10 Depth=1
	v_bfe_u32 v1, v7, 20, 1
	s_delay_alu instid0(VALU_DEP_1) | instskip(NEXT) | instid1(VALU_DEP_1)
	v_add_co_u32 v1, s2, v7, v1
	v_add_co_u32 v9, s2, v1, -1
; %bb.33:                               ;   in Loop: Header=BB56_10 Depth=1
	s_or_b32 exec_lo, exec_lo, s44
	v_add_nc_u32_e32 v1, 0xffffff81, v12
	v_lshrrev_b32_e32 v10, 23, v7
	s_mov_b32 s2, exec_lo
	s_delay_alu instid0(VALU_DEP_2) | instskip(NEXT) | instid1(VALU_DEP_1)
	v_cndmask_b32_e64 v1, v1, 0xffffff82, vcc_lo
	v_add3_u32 v10, v13, v1, v10
	v_and_b32_e32 v1, 0xfffff, v9
	s_delay_alu instid0(VALU_DEP_2) | instskip(NEXT) | instid1(VALU_DEP_2)
	v_add_nc_u32_e32 v9, 6, v10
	v_add_co_u32 v7, vcc_lo, v1, v7
	v_add_co_ci_u32_e32 v8, vcc_lo, 0, v8, vcc_lo
                                        ; implicit-def: $vgpr1
	s_delay_alu instid0(VALU_DEP_3)
	v_cmpx_ne_u32_e32 0, v9
	s_xor_b32 s2, exec_lo, s2
; %bb.34:                               ;   in Loop: Header=BB56_10 Depth=1
	s_delay_alu instid0(VALU_DEP_2) | instskip(SKIP_1) | instid1(VALU_DEP_1)
	v_cmp_lt_u64_e32 vcc_lo, 0xffffff, v[7:8]
	v_add_nc_u32_e32 v1, 7, v10
	v_cndmask_b32_e32 v1, v9, v1, vcc_lo
	v_cndmask_b32_e64 v9, 0, 1, vcc_lo
	s_delay_alu instid0(VALU_DEP_1)
	v_lshrrev_b64 v[7:8], v9, v[7:8]
; %bb.35:                               ;   in Loop: Header=BB56_10 Depth=1
	s_and_not1_saveexec_b32 s2, s2
; %bb.36:                               ;   in Loop: Header=BB56_10 Depth=1
	s_delay_alu instid0(VALU_DEP_1)
	v_bfe_u32 v1, v7, 23, 1
; %bb.37:                               ;   in Loop: Header=BB56_10 Depth=1
	s_or_b32 exec_lo, exec_lo, s2
	s_delay_alu instid0(VALU_DEP_2) | instskip(NEXT) | instid1(VALU_DEP_2)
	v_lshrrev_b64 v[7:8], 20, v[7:8]
	v_cmp_gt_i32_e32 vcc_lo, 16, v1
	v_cmp_ne_u32_e64 s2, 0, v1
                                        ; implicit-def: $vgpr9
	s_delay_alu instid0(VALU_DEP_3) | instskip(NEXT) | instid1(VALU_DEP_1)
	v_dual_cndmask_b32 v8, 0, v8 :: v_dual_cndmask_b32 v7, 7, v7
	v_cmp_ne_u64_e32 vcc_lo, 0, v[7:8]
	s_delay_alu instid0(VALU_DEP_3) | instskip(NEXT) | instid1(SALU_CYCLE_1)
	s_or_b32 s2, s2, vcc_lo
	s_and_saveexec_b32 s44, s2
	s_delay_alu instid0(SALU_CYCLE_1)
	s_xor_b32 s2, exec_lo, s44
; %bb.38:                               ;   in Loop: Header=BB56_10 Depth=1
	v_min_i32_e32 v1, 15, v1
	s_delay_alu instid0(VALU_DEP_1) | instskip(NEXT) | instid1(VALU_DEP_1)
	v_lshl_or_b32 v1, v1, 3, v11
                                        ; implicit-def: $vgpr11
	v_and_or_b32 v9, v7, 7, v1
; %bb.39:                               ;   in Loop: Header=BB56_10 Depth=1
	s_and_not1_saveexec_b32 s2, s2
; %bb.40:                               ;   in Loop: Header=BB56_10 Depth=1
	v_mov_b32_e32 v9, v11
; %bb.41:                               ;   in Loop: Header=BB56_10 Depth=1
	s_or_b32 exec_lo, exec_lo, s2
.LBB56_42:                              ;   in Loop: Header=BB56_10 Depth=1
	s_delay_alu instid0(SALU_CYCLE_1)
	s_or_b32 exec_lo, exec_lo, s43
.LBB56_43:                              ;   in Loop: Header=BB56_10 Depth=1
	s_and_not1_saveexec_b32 s2, s42
	s_delay_alu instid0(SALU_CYCLE_1)
	s_or_b32 exec_lo, exec_lo, s2
                                        ; implicit-def: $vgpr10
.LBB56_44:                              ;   in Loop: Header=BB56_10 Depth=1
	s_and_not1_saveexec_b32 s2, s41
	s_cbranch_execz .LBB56_9
; %bb.45:                               ;   in Loop: Header=BB56_10 Depth=1
	v_cmp_eq_u64_e32 vcc_lo, 0, v[1:2]
	v_or_b32_e32 v7, 0x7f, v10
	s_delay_alu instid0(VALU_DEP_1)
	v_cndmask_b32_e32 v9, v7, v9, vcc_lo
	s_branch .LBB56_9
.LBB56_46:
	s_or_b32 exec_lo, exec_lo, s33
	s_delay_alu instid0(SALU_CYCLE_1)
	s_mov_b32 s2, exec_lo
	v_cmpx_gt_i32_e64 s6, v0
	s_cbranch_execz .LBB56_67
; %bb.47:
	s_mul_i32 s3, s16, s11
	s_mul_hi_u32 s8, s16, s10
	s_mul_i32 s2, s16, s10
	s_add_i32 s3, s8, s3
	s_load_b32 s0, s[0:1], 0x8c
	s_lshl_b64 s[2:3], s[2:3], 2
	v_mov_b32_e32 v3, 0
	s_add_u32 s1, s14, s2
	s_addc_u32 s2, s15, s3
	s_waitcnt lgkmcnt(0)
	s_load_b32 s3, s[24:25], 0x0
	s_ashr_i32 s4, s4, 31
	s_delay_alu instid0(SALU_CYCLE_1) | instskip(NEXT) | instid1(SALU_CYCLE_1)
	s_mul_i32 s4, s22, s4
	s_add_i32 s4, s29, s4
	s_delay_alu instid0(SALU_CYCLE_1) | instskip(SKIP_3) | instid1(SALU_CYCLE_1)
	s_add_i32 s4, s4, s30
	s_add_u32 s8, s18, s31
	s_addc_u32 s9, s19, s4
	s_ashr_i32 s4, s5, 31
	s_mul_i32 s7, s7, s4
	s_delay_alu instid0(SALU_CYCLE_1) | instskip(NEXT) | instid1(SALU_CYCLE_1)
	s_add_i32 s4, s28, s7
	s_add_i32 s5, s4, s17
	s_add_u32 s4, s8, s23
	s_addc_u32 s5, s9, s5
	s_and_b32 s7, s0, 0xffff
	s_mov_b32 s8, 0
	s_branch .LBB56_49
.LBB56_48:                              ;   in Loop: Header=BB56_49 Depth=1
	s_or_b32 exec_lo, exec_lo, s0
	v_add_co_u32 v6, vcc_lo, s4, v0
	v_add_nc_u32_e32 v0, s7, v0
	v_add_co_ci_u32_e32 v7, vcc_lo, s5, v1, vcc_lo
	s_delay_alu instid0(VALU_DEP_2) | instskip(SKIP_2) | instid1(SALU_CYCLE_1)
	v_cmp_le_i32_e32 vcc_lo, s6, v0
	global_store_b8 v[6:7], v5, off
	s_or_b32 s8, vcc_lo, s8
	s_and_not1_b32 exec_lo, exec_lo, s8
	s_cbranch_execz .LBB56_67
.LBB56_49:                              ; =>This Inner Loop Header: Depth=1
	v_ashrrev_i32_e32 v1, 31, v0
	s_mov_b32 s0, exec_lo
	v_mov_b32_e32 v10, v3
	s_delay_alu instid0(VALU_DEP_2) | instskip(NEXT) | instid1(VALU_DEP_1)
	v_lshlrev_b64 v[4:5], 2, v[0:1]
	v_add_co_u32 v4, vcc_lo, s1, v4
	s_delay_alu instid0(VALU_DEP_2) | instskip(SKIP_3) | instid1(VALU_DEP_1)
	v_add_co_ci_u32_e32 v5, vcc_lo, s2, v5, vcc_lo
	global_load_b32 v2, v[4:5], off
	s_waitcnt vmcnt(0) lgkmcnt(0)
	v_div_scale_f32 v4, null, s3, s3, v2
	v_rcp_f32_e32 v5, v4
	s_waitcnt_depctr 0xfff
	v_fma_f32 v6, -v4, v5, 1.0
	s_delay_alu instid0(VALU_DEP_1) | instskip(SKIP_1) | instid1(VALU_DEP_1)
	v_fmac_f32_e32 v5, v6, v5
	v_div_scale_f32 v6, vcc_lo, v2, s3, v2
	v_mul_f32_e32 v7, v6, v5
	s_delay_alu instid0(VALU_DEP_1) | instskip(NEXT) | instid1(VALU_DEP_1)
	v_fma_f32 v8, -v4, v7, v6
	v_fmac_f32_e32 v7, v8, v5
	s_delay_alu instid0(VALU_DEP_1) | instskip(NEXT) | instid1(VALU_DEP_1)
	v_fma_f32 v4, -v4, v7, v6
	v_div_fmas_f32 v4, v4, v5, v7
	s_delay_alu instid0(VALU_DEP_1) | instskip(NEXT) | instid1(VALU_DEP_1)
	v_div_fixup_f32 v4, v4, s3, v2
	v_and_b32_e32 v2, 0x7fffff, v4
	v_lshrrev_b32_e32 v6, 24, v4
	v_and_b32_e32 v9, 0x7f800000, v4
	s_delay_alu instid0(VALU_DEP_2) | instskip(NEXT) | instid1(VALU_DEP_1)
	v_and_b32_e32 v8, 0x80, v6
	v_or_b32_e32 v5, 0x7e, v8
	s_delay_alu instid0(VALU_DEP_3)
	v_cmpx_ne_u64_e32 0x7f800000, v[9:10]
	s_xor_b32 s9, exec_lo, s0
	s_cbranch_execz .LBB56_65
; %bb.50:                               ;   in Loop: Header=BB56_49 Depth=1
	v_dual_mov_b32 v7, v3 :: v_dual_and_b32 v6, 0x7fffffff, v4
	s_mov_b32 s0, exec_lo
	s_delay_alu instid0(VALU_DEP_1)
	v_cmpx_gt_u64_e32 0x43e00001, v[6:7]
	s_xor_b32 s10, exec_lo, s0
	s_cbranch_execz .LBB56_64
; %bb.51:                               ;   in Loop: Header=BB56_49 Depth=1
	v_mov_b32_e32 v5, 0
	s_mov_b32 s11, exec_lo
	v_cmpx_ne_u32_e32 0, v4
	s_cbranch_execz .LBB56_63
; %bb.52:                               ;   in Loop: Header=BB56_49 Depth=1
	v_bfe_u32 v9, v4, 23, 8
	v_or_b32_e32 v6, 0x800000, v2
	s_delay_alu instid0(VALU_DEP_2) | instskip(SKIP_1) | instid1(VALU_DEP_2)
	v_sub_nc_u32_e32 v4, 0x79, v9
	v_cmp_gt_u32_e32 vcc_lo, 0x7a, v9
	v_cndmask_b32_e32 v4, 0, v4, vcc_lo
	v_cmp_eq_u32_e32 vcc_lo, 0, v9
	s_delay_alu instid0(VALU_DEP_2) | instskip(SKIP_1) | instid1(VALU_DEP_2)
	v_cndmask_b32_e64 v10, v4, 0x78, vcc_lo
	v_cndmask_b32_e32 v2, v6, v2, vcc_lo
	v_add_nc_u32_e32 v4, 20, v10
	v_add_nc_u32_e32 v6, 19, v10
	s_delay_alu instid0(VALU_DEP_2) | instskip(NEXT) | instid1(VALU_DEP_2)
	v_lshlrev_b64 v[4:5], v4, -1
	v_lshlrev_b64 v[6:7], v6, 1
	s_delay_alu instid0(VALU_DEP_2) | instskip(NEXT) | instid1(VALU_DEP_3)
	v_not_b32_e32 v5, v5
	v_not_b32_e32 v4, v4
	s_delay_alu instid0(VALU_DEP_2) | instskip(NEXT) | instid1(VALU_DEP_2)
	v_and_b32_e32 v12, 0, v5
	v_and_b32_e32 v11, v2, v4
	v_lshrrev_b64 v[4:5], v10, v[2:3]
	s_delay_alu instid0(VALU_DEP_2) | instskip(NEXT) | instid1(VALU_DEP_2)
	v_cmp_eq_u64_e64 s0, v[11:12], v[6:7]
	v_dual_mov_b32 v7, v5 :: v_dual_mov_b32 v6, v4
	s_delay_alu instid0(VALU_DEP_2)
	s_and_saveexec_b32 s12, s0
; %bb.53:                               ;   in Loop: Header=BB56_49 Depth=1
	v_bfe_u32 v2, v4, 20, 1
	s_delay_alu instid0(VALU_DEP_1) | instskip(NEXT) | instid1(VALU_DEP_1)
	v_add_co_u32 v2, s0, v4, v2
	v_add_co_u32 v6, s0, v2, -1
; %bb.54:                               ;   in Loop: Header=BB56_49 Depth=1
	s_or_b32 exec_lo, exec_lo, s12
	v_add_nc_u32_e32 v2, 0xffffff81, v9
	v_lshrrev_b32_e32 v7, 23, v4
	s_mov_b32 s0, exec_lo
	s_delay_alu instid0(VALU_DEP_2) | instskip(NEXT) | instid1(VALU_DEP_1)
	v_cndmask_b32_e64 v2, v2, 0xffffff82, vcc_lo
	v_add3_u32 v7, v10, v2, v7
	v_and_b32_e32 v2, 0xfffff, v6
	s_delay_alu instid0(VALU_DEP_2) | instskip(NEXT) | instid1(VALU_DEP_2)
	v_add_nc_u32_e32 v6, 6, v7
	v_add_co_u32 v4, vcc_lo, v2, v4
	v_add_co_ci_u32_e32 v5, vcc_lo, 0, v5, vcc_lo
                                        ; implicit-def: $vgpr2
	s_delay_alu instid0(VALU_DEP_3)
	v_cmpx_ne_u32_e32 0, v6
	s_xor_b32 s0, exec_lo, s0
; %bb.55:                               ;   in Loop: Header=BB56_49 Depth=1
	s_delay_alu instid0(VALU_DEP_2) | instskip(SKIP_1) | instid1(VALU_DEP_1)
	v_cmp_lt_u64_e32 vcc_lo, 0xffffff, v[4:5]
	v_add_nc_u32_e32 v2, 7, v7
	v_cndmask_b32_e32 v2, v6, v2, vcc_lo
	v_cndmask_b32_e64 v6, 0, 1, vcc_lo
	s_delay_alu instid0(VALU_DEP_1)
	v_lshrrev_b64 v[4:5], v6, v[4:5]
; %bb.56:                               ;   in Loop: Header=BB56_49 Depth=1
	s_and_not1_saveexec_b32 s0, s0
; %bb.57:                               ;   in Loop: Header=BB56_49 Depth=1
	s_delay_alu instid0(VALU_DEP_1)
	v_bfe_u32 v2, v4, 23, 1
; %bb.58:                               ;   in Loop: Header=BB56_49 Depth=1
	s_or_b32 exec_lo, exec_lo, s0
	s_delay_alu instid0(VALU_DEP_2) | instskip(NEXT) | instid1(VALU_DEP_2)
	v_lshrrev_b64 v[4:5], 20, v[4:5]
	v_cmp_gt_i32_e32 vcc_lo, 16, v2
	v_cmp_ne_u32_e64 s0, 0, v2
	s_delay_alu instid0(VALU_DEP_3) | instskip(NEXT) | instid1(VALU_DEP_1)
	v_dual_cndmask_b32 v5, 0, v5 :: v_dual_cndmask_b32 v4, 7, v4
	v_cmp_ne_u64_e32 vcc_lo, 0, v[4:5]
                                        ; implicit-def: $vgpr5
	s_delay_alu instid0(VALU_DEP_3) | instskip(NEXT) | instid1(SALU_CYCLE_1)
	s_or_b32 s0, s0, vcc_lo
	s_and_saveexec_b32 s12, s0
	s_delay_alu instid0(SALU_CYCLE_1)
	s_xor_b32 s0, exec_lo, s12
; %bb.59:                               ;   in Loop: Header=BB56_49 Depth=1
	v_min_i32_e32 v2, 15, v2
	s_delay_alu instid0(VALU_DEP_1) | instskip(NEXT) | instid1(VALU_DEP_1)
	v_lshl_or_b32 v2, v2, 3, v8
                                        ; implicit-def: $vgpr8
	v_and_or_b32 v5, v4, 7, v2
; %bb.60:                               ;   in Loop: Header=BB56_49 Depth=1
	s_and_not1_saveexec_b32 s0, s0
; %bb.61:                               ;   in Loop: Header=BB56_49 Depth=1
	v_mov_b32_e32 v5, v8
; %bb.62:                               ;   in Loop: Header=BB56_49 Depth=1
	s_or_b32 exec_lo, exec_lo, s0
.LBB56_63:                              ;   in Loop: Header=BB56_49 Depth=1
	s_delay_alu instid0(SALU_CYCLE_1)
	s_or_b32 exec_lo, exec_lo, s11
.LBB56_64:                              ;   in Loop: Header=BB56_49 Depth=1
	s_and_not1_saveexec_b32 s0, s10
	s_delay_alu instid0(SALU_CYCLE_1)
	s_or_b32 exec_lo, exec_lo, s0
                                        ; implicit-def: $vgpr6
.LBB56_65:                              ;   in Loop: Header=BB56_49 Depth=1
	s_and_not1_saveexec_b32 s0, s9
	s_cbranch_execz .LBB56_48
; %bb.66:                               ;   in Loop: Header=BB56_49 Depth=1
	v_cmp_eq_u64_e32 vcc_lo, 0, v[2:3]
	v_or_b32_e32 v4, 0x7f, v6
	s_delay_alu instid0(VALU_DEP_1)
	v_cndmask_b32_e32 v5, v4, v5, vcc_lo
	s_branch .LBB56_48
.LBB56_67:
	s_nop 0
	s_sendmsg sendmsg(MSG_DEALLOC_VGPRS)
	s_endpgm
.LBB56_68:
                                        ; implicit-def: $sgpr22_sgpr23
	s_branch .LBB56_6
	.section	.rodata,"a",@progbits
	.p2align	6, 0x0
	.amdhsa_kernel _ZN4vllm38concat_and_cache_mla_rope_fused_kernelIfN3c104HalfELb1EfhLNS_18Fp8KVCacheDataTypeE1EEEvPKlPT_S7_PKS6_PKT0_illlliPT3_S5_iiiiPKf
		.amdhsa_group_segment_fixed_size 0
		.amdhsa_private_segment_fixed_size 0
		.amdhsa_kernarg_size 384
		.amdhsa_user_sgpr_count 15
		.amdhsa_user_sgpr_dispatch_ptr 0
		.amdhsa_user_sgpr_queue_ptr 0
		.amdhsa_user_sgpr_kernarg_segment_ptr 1
		.amdhsa_user_sgpr_dispatch_id 0
		.amdhsa_user_sgpr_private_segment_size 0
		.amdhsa_wavefront_size32 1
		.amdhsa_uses_dynamic_stack 0
		.amdhsa_enable_private_segment 0
		.amdhsa_system_sgpr_workgroup_id_x 1
		.amdhsa_system_sgpr_workgroup_id_y 0
		.amdhsa_system_sgpr_workgroup_id_z 0
		.amdhsa_system_sgpr_workgroup_info 0
		.amdhsa_system_vgpr_workitem_id 0
		.amdhsa_next_free_vgpr 18
		.amdhsa_next_free_sgpr 45
		.amdhsa_reserve_vcc 1
		.amdhsa_float_round_mode_32 0
		.amdhsa_float_round_mode_16_64 0
		.amdhsa_float_denorm_mode_32 3
		.amdhsa_float_denorm_mode_16_64 3
		.amdhsa_dx10_clamp 1
		.amdhsa_ieee_mode 1
		.amdhsa_fp16_overflow 0
		.amdhsa_workgroup_processor_mode 1
		.amdhsa_memory_ordered 1
		.amdhsa_forward_progress 0
		.amdhsa_shared_vgpr_count 0
		.amdhsa_exception_fp_ieee_invalid_op 0
		.amdhsa_exception_fp_denorm_src 0
		.amdhsa_exception_fp_ieee_div_zero 0
		.amdhsa_exception_fp_ieee_overflow 0
		.amdhsa_exception_fp_ieee_underflow 0
		.amdhsa_exception_fp_ieee_inexact 0
		.amdhsa_exception_int_div_zero 0
	.end_amdhsa_kernel
	.section	.text._ZN4vllm38concat_and_cache_mla_rope_fused_kernelIfN3c104HalfELb1EfhLNS_18Fp8KVCacheDataTypeE1EEEvPKlPT_S7_PKS6_PKT0_illlliPT3_S5_iiiiPKf,"axG",@progbits,_ZN4vllm38concat_and_cache_mla_rope_fused_kernelIfN3c104HalfELb1EfhLNS_18Fp8KVCacheDataTypeE1EEEvPKlPT_S7_PKS6_PKT0_illlliPT3_S5_iiiiPKf,comdat
.Lfunc_end56:
	.size	_ZN4vllm38concat_and_cache_mla_rope_fused_kernelIfN3c104HalfELb1EfhLNS_18Fp8KVCacheDataTypeE1EEEvPKlPT_S7_PKS6_PKT0_illlliPT3_S5_iiiiPKf, .Lfunc_end56-_ZN4vllm38concat_and_cache_mla_rope_fused_kernelIfN3c104HalfELb1EfhLNS_18Fp8KVCacheDataTypeE1EEEvPKlPT_S7_PKS6_PKT0_illlliPT3_S5_iiiiPKf
                                        ; -- End function
	.section	.AMDGPU.csdata,"",@progbits
; Kernel info:
; codeLenInByte = 4420
; NumSgprs: 47
; NumVgprs: 18
; ScratchSize: 0
; MemoryBound: 0
; FloatMode: 240
; IeeeMode: 1
; LDSByteSize: 0 bytes/workgroup (compile time only)
; SGPRBlocks: 5
; VGPRBlocks: 2
; NumSGPRsForWavesPerEU: 47
; NumVGPRsForWavesPerEU: 18
; Occupancy: 16
; WaveLimiterHint : 1
; COMPUTE_PGM_RSRC2:SCRATCH_EN: 0
; COMPUTE_PGM_RSRC2:USER_SGPR: 15
; COMPUTE_PGM_RSRC2:TRAP_HANDLER: 0
; COMPUTE_PGM_RSRC2:TGID_X_EN: 1
; COMPUTE_PGM_RSRC2:TGID_Y_EN: 0
; COMPUTE_PGM_RSRC2:TGID_Z_EN: 0
; COMPUTE_PGM_RSRC2:TIDIG_COMP_CNT: 0
	.section	.text._ZN4vllm38concat_and_cache_mla_rope_fused_kernelIfN3c104HalfELb0EfhLNS_18Fp8KVCacheDataTypeE1EEEvPKlPT_S7_PKS6_PKT0_illlliPT3_S5_iiiiPKf,"axG",@progbits,_ZN4vllm38concat_and_cache_mla_rope_fused_kernelIfN3c104HalfELb0EfhLNS_18Fp8KVCacheDataTypeE1EEEvPKlPT_S7_PKS6_PKT0_illlliPT3_S5_iiiiPKf,comdat
	.protected	_ZN4vllm38concat_and_cache_mla_rope_fused_kernelIfN3c104HalfELb0EfhLNS_18Fp8KVCacheDataTypeE1EEEvPKlPT_S7_PKS6_PKT0_illlliPT3_S5_iiiiPKf ; -- Begin function _ZN4vllm38concat_and_cache_mla_rope_fused_kernelIfN3c104HalfELb0EfhLNS_18Fp8KVCacheDataTypeE1EEEvPKlPT_S7_PKS6_PKT0_illlliPT3_S5_iiiiPKf
	.globl	_ZN4vllm38concat_and_cache_mla_rope_fused_kernelIfN3c104HalfELb0EfhLNS_18Fp8KVCacheDataTypeE1EEEvPKlPT_S7_PKS6_PKT0_illlliPT3_S5_iiiiPKf
	.p2align	8
	.type	_ZN4vllm38concat_and_cache_mla_rope_fused_kernelIfN3c104HalfELb0EfhLNS_18Fp8KVCacheDataTypeE1EEEvPKlPT_S7_PKS6_PKT0_illlliPT3_S5_iiiiPKf,@function
_ZN4vllm38concat_and_cache_mla_rope_fused_kernelIfN3c104HalfELb0EfhLNS_18Fp8KVCacheDataTypeE1EEEvPKlPT_S7_PKS6_PKT0_illlliPT3_S5_iiiiPKf: ; @_ZN4vllm38concat_and_cache_mla_rope_fused_kernelIfN3c104HalfELb0EfhLNS_18Fp8KVCacheDataTypeE1EEEvPKlPT_S7_PKS6_PKT0_illlliPT3_S5_iiiiPKf
; %bb.0:
	s_load_b64 s[4:5], s[0:1], 0x60
	s_mov_b32 s16, s15
	s_mov_b32 s17, 0
	s_delay_alu instid0(SALU_CYCLE_1)
	s_lshl_b64 s[2:3], s[16:17], 3
	s_waitcnt lgkmcnt(0)
	s_add_u32 s4, s4, s2
	s_addc_u32 s5, s5, s3
	s_load_b64 s[26:27], s[4:5], 0x0
	s_waitcnt lgkmcnt(0)
	v_cmp_lt_i64_e64 s4, s[26:27], 0
	s_delay_alu instid0(VALU_DEP_1)
	s_and_b32 vcc_lo, exec_lo, s4
	s_cbranch_vccnz .LBB57_67
; %bb.1:
	s_clause 0x3
	s_load_b32 s21, s[0:1], 0x28
	s_load_b64 s[4:5], s[0:1], 0x0
	s_load_b128 s[12:15], s[0:1], 0x10
	s_load_b32 s17, s[0:1], 0x50
	v_lshlrev_b32_e32 v3, 1, v0
	s_waitcnt lgkmcnt(0)
	s_ashr_i32 s24, s21, 31
	s_add_u32 s2, s4, s2
	s_addc_u32 s3, s5, s3
	s_lshr_b32 s20, s21, 31
	s_load_b64 s[22:23], s[2:3], 0x0
	s_clause 0x2
	s_load_b64 s[2:3], s[0:1], 0x20
	s_load_b64 s[18:19], s[0:1], 0x58
	s_load_b256 s[4:11], s[0:1], 0x30
	s_add_i32 s20, s21, s20
	s_delay_alu instid0(SALU_CYCLE_1) | instskip(NEXT) | instid1(SALU_CYCLE_1)
	s_ashr_i32 s20, s20, 1
	s_mul_i32 s17, s20, s17
	s_waitcnt lgkmcnt(0)
	s_mul_i32 s24, s22, s24
	s_mul_hi_u32 s25, s22, s21
	s_mul_i32 s23, s23, s21
	s_add_i32 s24, s25, s24
	s_mul_i32 s28, s22, s21
	s_add_i32 s29, s24, s23
	s_mov_b32 s22, exec_lo
	v_cmpx_gt_i32_e64 s17, v0
	s_cbranch_execz .LBB57_4
; %bb.2:
	s_clause 0x1
	s_load_b64 s[30:31], s[0:1], 0x8
	s_load_b32 s34, s[0:1], 0x8c
	s_lshl_b64 s[24:25], s[28:29], 1
	s_mul_i32 s5, s16, s5
	s_mul_hi_u32 s21, s16, s4
	s_add_u32 s23, s2, s24
	s_mul_i32 s4, s16, s4
	s_addc_u32 s24, s3, s25
	s_add_i32 s5, s21, s5
	s_ashr_i32 s21, s20, 31
	s_lshl_b64 s[4:5], s[4:5], 2
	s_mov_b32 s33, 0
	s_waitcnt lgkmcnt(0)
	s_add_u32 s25, s30, s4
	s_addc_u32 s30, s31, s5
	s_abs_i32 s31, s20
	s_and_b32 s34, s34, 0xffff
	v_cvt_f32_u32_e32 v1, s31
	s_sub_i32 s4, 0, s31
	s_sub_i32 s35, 0, s20
	s_lshl_b32 s37, s34, 1
	s_delay_alu instid0(VALU_DEP_1) | instskip(SKIP_2) | instid1(VALU_DEP_1)
	v_rcp_iflag_f32_e32 v1, v1
	s_waitcnt_depctr 0xfff
	v_mul_f32_e32 v1, 0x4f7ffffe, v1
	v_cvt_u32_f32_e32 v2, v1
	s_delay_alu instid0(VALU_DEP_1) | instskip(SKIP_1) | instid1(SALU_CYCLE_1)
	v_mul_lo_u32 v1, s4, v2
	s_lshl_b32 s4, s20, 1
	s_sub_i32 s36, 0, s4
	s_lshl_b64 s[4:5], s[20:21], 1
	s_delay_alu instid0(VALU_DEP_1) | instskip(NEXT) | instid1(VALU_DEP_1)
	v_mul_hi_u32 v4, v2, v1
	v_dual_mov_b32 v1, v3 :: v_dual_add_nc_u32 v4, v2, v4
	v_mov_b32_e32 v2, v0
.LBB57_3:                               ; =>This Inner Loop Header: Depth=1
	s_delay_alu instid0(VALU_DEP_1) | instskip(SKIP_1) | instid1(VALU_DEP_2)
	v_sub_nc_u32_e32 v5, 0, v2
	v_ashrrev_i32_e32 v6, 31, v2
	v_max_i32_e32 v5, v2, v5
	s_delay_alu instid0(VALU_DEP_2) | instskip(NEXT) | instid1(VALU_DEP_2)
	v_xor_b32_e32 v6, s21, v6
	v_mul_hi_u32 v7, v5, v4
	s_delay_alu instid0(VALU_DEP_1) | instskip(SKIP_1) | instid1(VALU_DEP_2)
	v_mul_lo_u32 v8, v7, s31
	v_add_nc_u32_e32 v9, 1, v7
	v_sub_nc_u32_e32 v5, v5, v8
	s_delay_alu instid0(VALU_DEP_1) | instskip(SKIP_1) | instid1(VALU_DEP_4)
	v_subrev_nc_u32_e32 v8, s31, v5
	v_cmp_le_u32_e32 vcc_lo, s31, v5
	v_cndmask_b32_e32 v7, v7, v9, vcc_lo
	s_delay_alu instid0(VALU_DEP_1) | instskip(NEXT) | instid1(VALU_DEP_1)
	v_dual_cndmask_b32 v5, v5, v8 :: v_dual_add_nc_u32 v8, 1, v7
	v_cmp_le_u32_e32 vcc_lo, s31, v5
	s_delay_alu instid0(VALU_DEP_2) | instskip(NEXT) | instid1(VALU_DEP_1)
	v_cndmask_b32_e32 v5, v7, v8, vcc_lo
	v_xor_b32_e32 v5, v5, v6
	s_delay_alu instid0(VALU_DEP_1) | instskip(NEXT) | instid1(VALU_DEP_1)
	v_sub_nc_u32_e32 v11, v5, v6
	v_mad_u64_u32 v[5:6], null, s35, v11, v[2:3]
	v_ashrrev_i32_e32 v6, 31, v11
	v_mul_lo_u32 v12, v11, s7
	v_mad_u64_u32 v[7:8], null, v11, s6, 0
	v_mad_u64_u32 v[9:10], null, s36, v11, v[1:2]
	s_delay_alu instid0(VALU_DEP_4) | instskip(SKIP_3) | instid1(VALU_DEP_3)
	v_mul_lo_u32 v11, v6, s6
	v_ashrrev_i32_e32 v6, 31, v5
	v_add_nc_u32_e32 v2, s34, v2
	v_add_nc_u32_e32 v1, s37, v1
	v_lshlrev_b64 v[5:6], 1, v[5:6]
	v_ashrrev_i32_e32 v10, 31, v9
	v_add3_u32 v8, v8, v12, v11
	s_delay_alu instid0(VALU_DEP_3) | instskip(NEXT) | instid1(VALU_DEP_2)
	v_add_co_u32 v5, vcc_lo, s23, v5
	v_lshlrev_b64 v[7:8], 2, v[7:8]
	v_add_co_ci_u32_e32 v6, vcc_lo, s24, v6, vcc_lo
	s_delay_alu instid0(VALU_DEP_3) | instskip(SKIP_1) | instid1(VALU_DEP_3)
	v_add_co_u32 v11, vcc_lo, v5, s4
	v_lshlrev_b64 v[9:10], 2, v[9:10]
	v_add_co_ci_u32_e32 v12, vcc_lo, s5, v6, vcc_lo
	v_add_co_u32 v7, vcc_lo, s25, v7
	v_add_co_ci_u32_e32 v8, vcc_lo, s30, v8, vcc_lo
	s_clause 0x1
	global_load_u16 v13, v[5:6], off
	global_load_u16 v11, v[11:12], off
	v_add_co_u32 v5, vcc_lo, v7, v9
	v_add_co_ci_u32_e32 v6, vcc_lo, v8, v10, vcc_lo
	v_cmp_le_i32_e32 vcc_lo, s17, v2
	global_load_b64 v[7:8], v[5:6], off
	s_or_b32 s33, vcc_lo, s33
	s_waitcnt vmcnt(2)
	v_cvt_f32_f16_e32 v9, v13
	s_waitcnt vmcnt(1)
	v_cvt_f32_f16_e32 v10, v11
	s_waitcnt vmcnt(0)
	s_delay_alu instid0(VALU_DEP_1) | instskip(SKIP_1) | instid1(VALU_DEP_2)
	v_mul_f32_e32 v10, v8, v10
	v_mul_f32_e32 v9, v8, v9
	v_fma_mix_f32 v8, v7, v13, -v10 op_sel_hi:[0,1,0]
	s_delay_alu instid0(VALU_DEP_2)
	v_fma_mix_f32 v9, v7, v11, v9 op_sel_hi:[0,1,0]
	global_store_b64 v[5:6], v[8:9], off
	s_and_not1_b32 exec_lo, exec_lo, s33
	s_cbranch_execnz .LBB57_3
.LBB57_4:
	s_or_b32 exec_lo, exec_lo, s22
	s_load_b128 s[4:7], s[0:1], 0x68
	s_waitcnt lgkmcnt(0)
	s_ashr_i32 s31, s7, 31
	s_mov_b32 s30, s7
	s_delay_alu instid0(SALU_CYCLE_1) | instskip(SKIP_1) | instid1(SALU_CYCLE_1)
	s_or_b64 s[24:25], s[26:27], s[30:31]
	s_mov_b32 s24, 0
	s_cmp_lg_u64 s[24:25], 0
	s_cbranch_scc0 .LBB57_68
; %bb.5:
	s_add_u32 s34, s30, s31
	s_mov_b32 s22, s31
	s_mov_b32 s23, s31
	s_addc_u32 s35, s31, s31
	s_delay_alu instid0(SALU_CYCLE_1) | instskip(NEXT) | instid1(SALU_CYCLE_1)
	s_xor_b64 s[34:35], s[34:35], s[22:23]
	v_cvt_f32_u32_e32 v1, s34
	v_cvt_f32_u32_e32 v2, s35
	s_sub_u32 s21, 0, s34
	s_subb_u32 s25, 0, s35
	s_delay_alu instid0(VALU_DEP_1) | instskip(NEXT) | instid1(VALU_DEP_1)
	v_fmamk_f32 v1, v2, 0x4f800000, v1
	v_rcp_f32_e32 v1, v1
	s_waitcnt_depctr 0xfff
	v_mul_f32_e32 v1, 0x5f7ffffc, v1
	s_delay_alu instid0(VALU_DEP_1) | instskip(NEXT) | instid1(VALU_DEP_1)
	v_mul_f32_e32 v2, 0x2f800000, v1
	v_trunc_f32_e32 v2, v2
	s_delay_alu instid0(VALU_DEP_1) | instskip(SKIP_1) | instid1(VALU_DEP_2)
	v_fmamk_f32 v1, v2, 0xcf800000, v1
	v_cvt_u32_f32_e32 v2, v2
	v_cvt_u32_f32_e32 v1, v1
	s_delay_alu instid0(VALU_DEP_2) | instskip(NEXT) | instid1(VALU_DEP_2)
	v_readfirstlane_b32 s7, v2
	v_readfirstlane_b32 s17, v1
	s_delay_alu instid0(VALU_DEP_2) | instskip(NEXT) | instid1(VALU_DEP_1)
	s_mul_i32 s33, s21, s7
	s_mul_hi_u32 s37, s21, s17
	s_mul_i32 s36, s25, s17
	s_add_i32 s33, s37, s33
	s_mul_i32 s38, s21, s17
	s_add_i32 s33, s33, s36
	s_mul_hi_u32 s37, s17, s38
	s_mul_hi_u32 s39, s7, s38
	s_mul_i32 s36, s7, s38
	s_mul_hi_u32 s38, s17, s33
	s_mul_i32 s17, s17, s33
	s_mul_hi_u32 s40, s7, s33
	s_add_u32 s17, s37, s17
	s_addc_u32 s37, 0, s38
	s_add_u32 s17, s17, s36
	s_mul_i32 s33, s7, s33
	s_addc_u32 s17, s37, s39
	s_addc_u32 s36, s40, 0
	s_add_u32 s17, s17, s33
	s_addc_u32 s33, 0, s36
	v_add_co_u32 v1, s17, v1, s17
	s_delay_alu instid0(VALU_DEP_1) | instskip(SKIP_1) | instid1(VALU_DEP_1)
	s_cmp_lg_u32 s17, 0
	s_addc_u32 s7, s7, s33
	v_readfirstlane_b32 s17, v1
	s_mul_i32 s33, s21, s7
	s_delay_alu instid0(VALU_DEP_1)
	s_mul_hi_u32 s36, s21, s17
	s_mul_i32 s25, s25, s17
	s_add_i32 s33, s36, s33
	s_mul_i32 s21, s21, s17
	s_add_i32 s33, s33, s25
	s_mul_hi_u32 s36, s7, s21
	s_mul_i32 s37, s7, s21
	s_mul_hi_u32 s21, s17, s21
	s_mul_hi_u32 s38, s17, s33
	s_mul_i32 s17, s17, s33
	s_mul_hi_u32 s25, s7, s33
	s_add_u32 s17, s21, s17
	s_addc_u32 s21, 0, s38
	s_add_u32 s17, s17, s37
	s_mul_i32 s33, s7, s33
	s_addc_u32 s17, s21, s36
	s_addc_u32 s21, s25, 0
	s_add_u32 s17, s17, s33
	s_addc_u32 s21, 0, s21
	v_add_co_u32 v1, s17, v1, s17
	s_delay_alu instid0(VALU_DEP_1) | instskip(SKIP_2) | instid1(VALU_DEP_1)
	s_cmp_lg_u32 s17, 0
	s_addc_u32 s7, s7, s21
	s_ashr_i32 s36, s27, 31
	v_readfirstlane_b32 s17, v1
	s_add_u32 s38, s26, s36
	s_mov_b32 s37, s36
	s_addc_u32 s39, s27, s36
	s_delay_alu instid0(SALU_CYCLE_1) | instskip(NEXT) | instid1(SALU_CYCLE_1)
	s_xor_b64 s[38:39], s[38:39], s[36:37]
	s_mul_i32 s25, s38, s7
	s_mul_hi_u32 s33, s38, s17
	s_mul_hi_u32 s21, s38, s7
	;; [unrolled: 1-line block ×3, first 2 shown]
	s_mul_i32 s17, s39, s17
	s_add_u32 s25, s33, s25
	s_addc_u32 s21, 0, s21
	s_mul_hi_u32 s40, s39, s7
	s_add_u32 s17, s25, s17
	s_mul_i32 s7, s39, s7
	s_addc_u32 s17, s21, s41
	s_addc_u32 s21, s40, 0
	s_add_u32 s7, s17, s7
	s_addc_u32 s17, 0, s21
	s_mul_hi_u32 s21, s34, s7
	s_mul_i32 s33, s34, s17
	s_mul_i32 s40, s34, s7
	s_add_i32 s21, s21, s33
	v_sub_co_u32 v1, s33, s38, s40
	s_mul_i32 s25, s35, s7
	s_delay_alu instid0(SALU_CYCLE_1) | instskip(NEXT) | instid1(VALU_DEP_1)
	s_add_i32 s21, s21, s25
	v_sub_co_u32 v2, s38, v1, s34
	s_sub_i32 s25, s39, s21
	s_cmp_lg_u32 s33, 0
	s_subb_u32 s25, s25, s35
	s_cmp_lg_u32 s38, 0
	v_readfirstlane_b32 s38, v2
	s_subb_u32 s25, s25, 0
	s_delay_alu instid0(SALU_CYCLE_1) | instskip(SKIP_1) | instid1(VALU_DEP_1)
	s_cmp_ge_u32 s25, s35
	s_cselect_b32 s40, -1, 0
	s_cmp_ge_u32 s38, s34
	s_cselect_b32 s38, -1, 0
	s_cmp_eq_u32 s25, s35
	s_cselect_b32 s25, s38, s40
	s_add_u32 s38, s7, 1
	s_addc_u32 s40, s17, 0
	s_add_u32 s41, s7, 2
	s_addc_u32 s42, s17, 0
	s_cmp_lg_u32 s25, 0
	s_cselect_b32 s25, s41, s38
	s_cselect_b32 s38, s42, s40
	s_cmp_lg_u32 s33, 0
	v_readfirstlane_b32 s33, v1
	s_subb_u32 s21, s39, s21
	s_delay_alu instid0(SALU_CYCLE_1) | instskip(SKIP_1) | instid1(VALU_DEP_1)
	s_cmp_ge_u32 s21, s35
	s_cselect_b32 s39, -1, 0
	s_cmp_ge_u32 s33, s34
	s_cselect_b32 s33, -1, 0
	s_cmp_eq_u32 s21, s35
	s_cselect_b32 s21, s33, s39
	s_delay_alu instid0(SALU_CYCLE_1) | instskip(SKIP_3) | instid1(SALU_CYCLE_1)
	s_cmp_lg_u32 s21, 0
	s_cselect_b32 s35, s38, s17
	s_cselect_b32 s34, s25, s7
	s_xor_b64 s[22:23], s[36:37], s[22:23]
	s_xor_b64 s[34:35], s[34:35], s[22:23]
	s_delay_alu instid0(SALU_CYCLE_1)
	s_sub_u32 s22, s34, s22
	s_subb_u32 s23, s35, s23
	s_and_not1_b32 vcc_lo, exec_lo, s24
	s_cbranch_vccnz .LBB57_7
.LBB57_6:
	v_cvt_f32_u32_e32 v1, s30
	s_sub_i32 s17, 0, s30
	s_mov_b32 s23, 0
	s_delay_alu instid0(VALU_DEP_1) | instskip(SKIP_2) | instid1(VALU_DEP_1)
	v_rcp_iflag_f32_e32 v1, v1
	s_waitcnt_depctr 0xfff
	v_mul_f32_e32 v1, 0x4f7ffffe, v1
	v_cvt_u32_f32_e32 v1, v1
	s_delay_alu instid0(VALU_DEP_1) | instskip(NEXT) | instid1(VALU_DEP_1)
	v_readfirstlane_b32 s7, v1
	s_mul_i32 s17, s17, s7
	s_delay_alu instid0(SALU_CYCLE_1) | instskip(NEXT) | instid1(SALU_CYCLE_1)
	s_mul_hi_u32 s17, s7, s17
	s_add_i32 s7, s7, s17
	s_delay_alu instid0(SALU_CYCLE_1) | instskip(NEXT) | instid1(SALU_CYCLE_1)
	s_mul_hi_u32 s7, s26, s7
	s_mul_i32 s17, s7, s30
	s_add_i32 s21, s7, 1
	s_sub_i32 s17, s26, s17
	s_delay_alu instid0(SALU_CYCLE_1)
	s_sub_i32 s22, s17, s30
	s_cmp_ge_u32 s17, s30
	s_cselect_b32 s7, s21, s7
	s_cselect_b32 s17, s22, s17
	s_add_i32 s21, s7, 1
	s_cmp_ge_u32 s17, s30
	s_cselect_b32 s22, s21, s7
.LBB57_7:
	s_load_b64 s[24:25], s[0:1], 0x78
	s_mul_i32 s7, s22, s31
	s_mul_hi_u32 s17, s22, s30
	s_mul_i32 s21, s22, s30
	s_add_i32 s7, s17, s7
	s_mul_i32 s17, s23, s30
	s_mul_i32 s30, s23, s4
	s_add_i32 s17, s7, s17
	s_sub_u32 s7, s26, s21
	s_subb_u32 s17, s27, s17
	s_mul_hi_u32 s27, s22, s4
	s_mul_i32 s31, s22, s4
	s_mul_hi_u32 s26, s7, s5
	s_mul_i32 s17, s17, s5
	s_mul_i32 s23, s7, s5
	s_mov_b32 s33, exec_lo
	v_cmpx_gt_i32_e64 s20, v0
	s_cbranch_execz .LBB57_46
; %bb.8:
	s_load_b32 s35, s[0:1], 0x8c
	s_ashr_i32 s38, s4, 31
	s_ashr_i32 s39, s5, 31
	s_lshl_b64 s[36:37], s[28:29], 1
	s_mul_i32 s28, s22, s38
	s_mul_i32 s29, s7, s39
	s_add_i32 s28, s27, s28
	s_add_i32 s29, s26, s29
	s_ashr_i32 s21, s20, 31
	s_ashr_i32 s40, s6, 31
	s_add_i32 s38, s28, s30
	s_add_i32 s29, s29, s17
	s_waitcnt lgkmcnt(0)
	s_load_b32 s34, s[24:25], 0x0
	s_mul_i32 s9, s9, s16
	v_lshlrev_b32_e32 v1, 3, v0
	v_mov_b32_e32 v17, v0
	s_and_b32 s28, s35, 0xffff
	s_add_u32 s2, s2, s36
	s_addc_u32 s35, s3, s37
	s_lshl_b32 s3, s28, 1
	s_lshl_b64 s[36:37], s[20:21], 1
	v_add_co_u32 v11, s2, s2, v3
	s_add_u32 s21, s31, s23
	v_add_co_ci_u32_e64 v12, null, s35, 0, s2
	s_addc_u32 s2, s38, s29
	s_add_u32 s29, s18, s6
	s_addc_u32 s35, s19, s40
	s_add_u32 s21, s29, s21
	s_mul_hi_u32 s29, s8, s16
	s_addc_u32 s2, s35, s2
	s_add_i32 s9, s29, s9
	s_mul_i32 s8, s8, s16
	v_add_co_u32 v2, s21, s21, v3
	s_lshl_b64 s[8:9], s[8:9], 2
	v_add_co_ci_u32_e64 v3, null, s2, 0, s21
	s_add_u32 s2, s12, s8
	v_add_co_u32 v13, vcc_lo, v11, s36
	s_addc_u32 s8, s13, s9
	v_add_co_u32 v1, s2, s2, v1
	v_add_co_ci_u32_e32 v14, vcc_lo, s37, v12, vcc_lo
	v_add_co_ci_u32_e64 v4, null, s8, 0, s2
	v_add_co_u32 v15, vcc_lo, v2, 1
	v_add_co_ci_u32_e32 v16, vcc_lo, 0, v3, vcc_lo
	v_add_co_u32 v1, vcc_lo, v1, 4
	s_delay_alu instid0(VALU_DEP_4)
	v_add_co_ci_u32_e32 v2, vcc_lo, 0, v4, vcc_lo
	v_mov_b32_e32 v4, 0
	s_mov_b32 s12, 0
	s_lshl_b32 s13, s28, 3
	s_mov_b64 s[8:9], 0
	s_branch .LBB57_10
.LBB57_9:                               ;   in Loop: Header=BB57_10 Depth=1
	s_or_b32 exec_lo, exec_lo, s2
	v_add_nc_u32_e32 v17, s28, v17
	v_add_co_u32 v1, s2, v1, s13
	s_delay_alu instid0(VALU_DEP_1) | instskip(NEXT) | instid1(VALU_DEP_3)
	v_add_co_ci_u32_e64 v2, s2, 0, v2, s2
	v_cmp_le_i32_e32 vcc_lo, s20, v17
	s_add_u32 s8, s8, s3
	s_addc_u32 s9, s9, 0
	global_store_b8 v[5:6], v9, off
	s_or_b32 s12, vcc_lo, s12
	s_delay_alu instid0(SALU_CYCLE_1)
	s_and_not1_b32 exec_lo, exec_lo, s12
	s_cbranch_execz .LBB57_46
.LBB57_10:                              ; =>This Inner Loop Header: Depth=1
	v_add_co_u32 v5, vcc_lo, v13, s8
	v_add_co_ci_u32_e32 v6, vcc_lo, s9, v14, vcc_lo
	s_mov_b32 s2, exec_lo
	v_mov_b32_e32 v21, v4
	global_load_u16 v3, v[5:6], off
	v_add_co_u32 v5, vcc_lo, v11, s8
	v_add_co_ci_u32_e32 v6, vcc_lo, s9, v12, vcc_lo
	global_load_b64 v[19:20], v[1:2], off offset:-4
	global_load_u16 v6, v[5:6], off
	s_waitcnt vmcnt(2)
	v_cvt_f32_f16_e32 v5, v3
	s_waitcnt vmcnt(1)
	s_delay_alu instid0(VALU_DEP_1) | instskip(SKIP_1) | instid1(VALU_DEP_1)
	v_mul_f32_e32 v5, v20, v5
	s_waitcnt vmcnt(0)
	v_fma_mix_f32 v5, v19, v6, -v5 op_sel_hi:[0,1,0]
	v_cvt_f32_f16_e32 v6, v6
	s_waitcnt lgkmcnt(0)
	s_delay_alu instid0(VALU_DEP_2) | instskip(NEXT) | instid1(VALU_DEP_2)
	v_div_scale_f32 v7, null, s34, s34, v5
	v_mul_f32_e32 v6, v20, v6
	s_delay_alu instid0(VALU_DEP_2) | instskip(NEXT) | instid1(VALU_DEP_1)
	v_rcp_f32_e32 v8, v7
	v_fma_mix_f32 v6, v19, v3, v6 op_sel_hi:[0,1,0]
	global_store_b64 v[1:2], v[5:6], off offset:-4
	v_fma_f32 v9, -v7, v8, 1.0
	s_delay_alu instid0(VALU_DEP_1) | instskip(SKIP_1) | instid1(VALU_DEP_1)
	v_fmac_f32_e32 v8, v9, v8
	v_div_scale_f32 v9, vcc_lo, v5, s34, v5
	v_mul_f32_e32 v10, v9, v8
	s_delay_alu instid0(VALU_DEP_1) | instskip(NEXT) | instid1(VALU_DEP_1)
	v_fma_f32 v18, -v7, v10, v9
	v_fmac_f32_e32 v10, v18, v8
	s_delay_alu instid0(VALU_DEP_1) | instskip(NEXT) | instid1(VALU_DEP_1)
	v_fma_f32 v7, -v7, v10, v9
	v_div_fmas_f32 v7, v7, v8, v10
	s_delay_alu instid0(VALU_DEP_1) | instskip(NEXT) | instid1(VALU_DEP_1)
	v_div_fixup_f32 v7, v7, s34, v5
	v_and_b32_e32 v3, 0x7fffff, v7
	v_lshrrev_b32_e32 v9, 24, v7
	v_and_b32_e32 v20, 0x7f800000, v7
	s_delay_alu instid0(VALU_DEP_2) | instskip(NEXT) | instid1(VALU_DEP_1)
	v_and_b32_e32 v18, 0x80, v9
	v_or_b32_e32 v8, 0x7e, v18
	s_delay_alu instid0(VALU_DEP_3)
	v_cmpx_ne_u64_e32 0x7f800000, v[20:21]
	s_xor_b32 s21, exec_lo, s2
	s_cbranch_execz .LBB57_26
; %bb.11:                               ;   in Loop: Header=BB57_10 Depth=1
	v_dual_mov_b32 v10, v4 :: v_dual_and_b32 v9, 0x7fffffff, v7
	s_mov_b32 s2, exec_lo
	s_delay_alu instid0(VALU_DEP_1)
	v_cmpx_gt_u64_e32 0x43e00001, v[9:10]
	s_xor_b32 s29, exec_lo, s2
	s_cbranch_execz .LBB57_25
; %bb.12:                               ;   in Loop: Header=BB57_10 Depth=1
	v_mov_b32_e32 v8, 0
	s_mov_b32 s35, exec_lo
	v_cmpx_ne_u32_e32 0, v7
	s_cbranch_execz .LBB57_24
; %bb.13:                               ;   in Loop: Header=BB57_10 Depth=1
	v_bfe_u32 v5, v7, 23, 8
	v_or_b32_e32 v9, 0x800000, v3
	s_delay_alu instid0(VALU_DEP_2) | instskip(SKIP_1) | instid1(VALU_DEP_2)
	v_sub_nc_u32_e32 v7, 0x79, v5
	v_cmp_gt_u32_e32 vcc_lo, 0x7a, v5
	v_cndmask_b32_e32 v7, 0, v7, vcc_lo
	v_cmp_eq_u32_e32 vcc_lo, 0, v5
	s_delay_alu instid0(VALU_DEP_2) | instskip(SKIP_1) | instid1(VALU_DEP_2)
	v_cndmask_b32_e64 v19, v7, 0x78, vcc_lo
	v_cndmask_b32_e32 v3, v9, v3, vcc_lo
	v_add_nc_u32_e32 v7, 20, v19
	v_add_nc_u32_e32 v9, 19, v19
	s_delay_alu instid0(VALU_DEP_2) | instskip(NEXT) | instid1(VALU_DEP_2)
	v_lshlrev_b64 v[7:8], v7, -1
	v_lshlrev_b64 v[9:10], v9, 1
	s_delay_alu instid0(VALU_DEP_2) | instskip(NEXT) | instid1(VALU_DEP_3)
	v_not_b32_e32 v8, v8
	v_not_b32_e32 v7, v7
	s_delay_alu instid0(VALU_DEP_2) | instskip(NEXT) | instid1(VALU_DEP_2)
	v_and_b32_e32 v21, 0, v8
	v_and_b32_e32 v20, v3, v7
	v_lshrrev_b64 v[7:8], v19, v[3:4]
	s_delay_alu instid0(VALU_DEP_2) | instskip(NEXT) | instid1(VALU_DEP_2)
	v_cmp_eq_u64_e64 s2, v[20:21], v[9:10]
	v_dual_mov_b32 v10, v8 :: v_dual_mov_b32 v9, v7
	s_delay_alu instid0(VALU_DEP_2)
	s_and_saveexec_b32 s36, s2
; %bb.14:                               ;   in Loop: Header=BB57_10 Depth=1
	v_bfe_u32 v3, v7, 20, 1
	s_delay_alu instid0(VALU_DEP_1) | instskip(NEXT) | instid1(VALU_DEP_1)
	v_add_co_u32 v3, s2, v7, v3
	v_add_co_u32 v9, s2, v3, -1
; %bb.15:                               ;   in Loop: Header=BB57_10 Depth=1
	s_or_b32 exec_lo, exec_lo, s36
	v_add_nc_u32_e32 v3, 0xffffff81, v5
	v_lshrrev_b32_e32 v5, 23, v7
	s_mov_b32 s2, exec_lo
	s_delay_alu instid0(VALU_DEP_2) | instskip(NEXT) | instid1(VALU_DEP_1)
	v_cndmask_b32_e64 v3, v3, 0xffffff82, vcc_lo
	v_add3_u32 v5, v19, v3, v5
	v_and_b32_e32 v3, 0xfffff, v9
	s_delay_alu instid0(VALU_DEP_2) | instskip(NEXT) | instid1(VALU_DEP_2)
	v_add_nc_u32_e32 v9, 6, v5
	v_add_co_u32 v7, vcc_lo, v3, v7
	v_add_co_ci_u32_e32 v8, vcc_lo, 0, v8, vcc_lo
                                        ; implicit-def: $vgpr3
	s_delay_alu instid0(VALU_DEP_3)
	v_cmpx_ne_u32_e32 0, v9
	s_xor_b32 s2, exec_lo, s2
; %bb.16:                               ;   in Loop: Header=BB57_10 Depth=1
	s_delay_alu instid0(VALU_DEP_2) | instskip(SKIP_2) | instid1(VALU_DEP_2)
	v_cmp_lt_u64_e32 vcc_lo, 0xffffff, v[7:8]
	v_add_nc_u32_e32 v3, 7, v5
	v_cndmask_b32_e64 v5, 0, 1, vcc_lo
	v_cndmask_b32_e32 v3, v9, v3, vcc_lo
	s_delay_alu instid0(VALU_DEP_2)
	v_lshrrev_b64 v[7:8], v5, v[7:8]
; %bb.17:                               ;   in Loop: Header=BB57_10 Depth=1
	s_and_not1_saveexec_b32 s2, s2
; %bb.18:                               ;   in Loop: Header=BB57_10 Depth=1
	s_delay_alu instid0(VALU_DEP_1)
	v_bfe_u32 v3, v7, 23, 1
; %bb.19:                               ;   in Loop: Header=BB57_10 Depth=1
	s_or_b32 exec_lo, exec_lo, s2
	s_delay_alu instid0(VALU_DEP_2) | instskip(NEXT) | instid1(VALU_DEP_2)
	v_lshrrev_b64 v[7:8], 20, v[7:8]
	v_cmp_gt_i32_e32 vcc_lo, 16, v3
	v_cmp_ne_u32_e64 s2, 0, v3
	s_delay_alu instid0(VALU_DEP_3) | instskip(NEXT) | instid1(VALU_DEP_1)
	v_dual_cndmask_b32 v8, 0, v8 :: v_dual_cndmask_b32 v7, 7, v7
	v_cmp_ne_u64_e32 vcc_lo, 0, v[7:8]
                                        ; implicit-def: $vgpr8
	s_delay_alu instid0(VALU_DEP_3) | instskip(NEXT) | instid1(SALU_CYCLE_1)
	s_or_b32 s2, s2, vcc_lo
	s_and_saveexec_b32 s36, s2
	s_delay_alu instid0(SALU_CYCLE_1)
	s_xor_b32 s2, exec_lo, s36
; %bb.20:                               ;   in Loop: Header=BB57_10 Depth=1
	v_min_i32_e32 v3, 15, v3
	s_delay_alu instid0(VALU_DEP_1) | instskip(NEXT) | instid1(VALU_DEP_1)
	v_lshl_or_b32 v3, v3, 3, v18
                                        ; implicit-def: $vgpr18
	v_and_or_b32 v8, v7, 7, v3
; %bb.21:                               ;   in Loop: Header=BB57_10 Depth=1
	s_and_not1_saveexec_b32 s2, s2
; %bb.22:                               ;   in Loop: Header=BB57_10 Depth=1
	v_mov_b32_e32 v8, v18
; %bb.23:                               ;   in Loop: Header=BB57_10 Depth=1
	s_or_b32 exec_lo, exec_lo, s2
.LBB57_24:                              ;   in Loop: Header=BB57_10 Depth=1
	s_delay_alu instid0(SALU_CYCLE_1)
	s_or_b32 exec_lo, exec_lo, s35
.LBB57_25:                              ;   in Loop: Header=BB57_10 Depth=1
	s_and_not1_saveexec_b32 s2, s29
	s_delay_alu instid0(SALU_CYCLE_1)
	s_or_b32 exec_lo, exec_lo, s2
                                        ; implicit-def: $vgpr9
.LBB57_26:                              ;   in Loop: Header=BB57_10 Depth=1
	s_and_not1_saveexec_b32 s2, s21
; %bb.27:                               ;   in Loop: Header=BB57_10 Depth=1
	v_cmp_eq_u64_e32 vcc_lo, 0, v[3:4]
	v_or_b32_e32 v5, 0x7f, v9
	s_delay_alu instid0(VALU_DEP_1)
	v_cndmask_b32_e32 v8, v5, v8, vcc_lo
; %bb.28:                               ;   in Loop: Header=BB57_10 Depth=1
	s_or_b32 exec_lo, exec_lo, s2
	v_div_scale_f32 v3, null, s34, s34, v6
	v_div_scale_f32 v9, vcc_lo, v6, s34, v6
	s_mov_b32 s2, exec_lo
	s_delay_alu instid0(VALU_DEP_2) | instskip(SKIP_3) | instid1(VALU_DEP_1)
	v_rcp_f32_e32 v5, v3
	v_mov_b32_e32 v20, v4
	s_waitcnt_depctr 0xfff
	v_fma_f32 v7, -v3, v5, 1.0
	v_fmac_f32_e32 v5, v7, v5
	s_delay_alu instid0(VALU_DEP_1) | instskip(NEXT) | instid1(VALU_DEP_1)
	v_mul_f32_e32 v7, v9, v5
	v_fma_f32 v10, -v3, v7, v9
	s_delay_alu instid0(VALU_DEP_1) | instskip(NEXT) | instid1(VALU_DEP_1)
	v_fmac_f32_e32 v7, v10, v5
	v_fma_f32 v3, -v3, v7, v9
	s_delay_alu instid0(VALU_DEP_1) | instskip(SKIP_1) | instid1(VALU_DEP_2)
	v_div_fmas_f32 v3, v3, v5, v7
	v_add_co_u32 v5, vcc_lo, v15, s8
	v_div_fixup_f32 v7, v3, s34, v6
	v_add_co_ci_u32_e32 v6, vcc_lo, s9, v16, vcc_lo
	s_delay_alu instid0(VALU_DEP_2) | instskip(SKIP_4) | instid1(VALU_DEP_1)
	v_lshrrev_b32_e32 v10, 24, v7
	v_and_b32_e32 v19, 0x7f800000, v7
	v_and_b32_e32 v3, 0x7fffff, v7
	global_store_b8 v[5:6], v8, off offset:-1
	v_and_b32_e32 v18, 0x80, v10
	v_or_b32_e32 v9, 0x7e, v18
	v_cmpx_ne_u64_e32 0x7f800000, v[19:20]
	s_xor_b32 s21, exec_lo, s2
	s_cbranch_execz .LBB57_44
; %bb.29:                               ;   in Loop: Header=BB57_10 Depth=1
	v_dual_mov_b32 v20, v4 :: v_dual_and_b32 v19, 0x7fffffff, v7
	s_mov_b32 s2, exec_lo
	s_delay_alu instid0(VALU_DEP_1)
	v_cmpx_gt_u64_e32 0x43e00001, v[19:20]
	s_xor_b32 s29, exec_lo, s2
	s_cbranch_execz .LBB57_43
; %bb.30:                               ;   in Loop: Header=BB57_10 Depth=1
	v_mov_b32_e32 v9, 0
	s_mov_b32 s35, exec_lo
	v_cmpx_ne_u32_e32 0, v7
	s_cbranch_execz .LBB57_42
; %bb.31:                               ;   in Loop: Header=BB57_10 Depth=1
	v_bfe_u32 v19, v7, 23, 8
	v_or_b32_e32 v9, 0x800000, v3
	s_delay_alu instid0(VALU_DEP_2) | instskip(SKIP_1) | instid1(VALU_DEP_2)
	v_sub_nc_u32_e32 v7, 0x79, v19
	v_cmp_gt_u32_e32 vcc_lo, 0x7a, v19
	v_cndmask_b32_e32 v7, 0, v7, vcc_lo
	v_cmp_eq_u32_e32 vcc_lo, 0, v19
	s_delay_alu instid0(VALU_DEP_2) | instskip(SKIP_1) | instid1(VALU_DEP_2)
	v_cndmask_b32_e64 v20, v7, 0x78, vcc_lo
	v_cndmask_b32_e32 v3, v9, v3, vcc_lo
	v_add_nc_u32_e32 v7, 20, v20
	v_add_nc_u32_e32 v9, 19, v20
	s_delay_alu instid0(VALU_DEP_2) | instskip(NEXT) | instid1(VALU_DEP_2)
	v_lshlrev_b64 v[7:8], v7, -1
	v_lshlrev_b64 v[9:10], v9, 1
	s_delay_alu instid0(VALU_DEP_2) | instskip(NEXT) | instid1(VALU_DEP_3)
	v_not_b32_e32 v8, v8
	v_not_b32_e32 v7, v7
	s_delay_alu instid0(VALU_DEP_2) | instskip(NEXT) | instid1(VALU_DEP_2)
	v_and_b32_e32 v22, 0, v8
	v_and_b32_e32 v21, v3, v7
	v_lshrrev_b64 v[7:8], v20, v[3:4]
	s_delay_alu instid0(VALU_DEP_2) | instskip(NEXT) | instid1(VALU_DEP_2)
	v_cmp_eq_u64_e64 s2, v[21:22], v[9:10]
	v_dual_mov_b32 v10, v8 :: v_dual_mov_b32 v9, v7
	s_delay_alu instid0(VALU_DEP_2)
	s_and_saveexec_b32 s36, s2
; %bb.32:                               ;   in Loop: Header=BB57_10 Depth=1
	v_bfe_u32 v3, v7, 20, 1
	s_delay_alu instid0(VALU_DEP_1) | instskip(NEXT) | instid1(VALU_DEP_1)
	v_add_co_u32 v3, s2, v7, v3
	v_add_co_u32 v9, s2, v3, -1
; %bb.33:                               ;   in Loop: Header=BB57_10 Depth=1
	s_or_b32 exec_lo, exec_lo, s36
	v_add_nc_u32_e32 v3, 0xffffff81, v19
	v_lshrrev_b32_e32 v10, 23, v7
	s_mov_b32 s2, exec_lo
	s_delay_alu instid0(VALU_DEP_2) | instskip(NEXT) | instid1(VALU_DEP_1)
	v_cndmask_b32_e64 v3, v3, 0xffffff82, vcc_lo
	v_add3_u32 v10, v20, v3, v10
	v_and_b32_e32 v3, 0xfffff, v9
	s_delay_alu instid0(VALU_DEP_2) | instskip(NEXT) | instid1(VALU_DEP_2)
	v_add_nc_u32_e32 v9, 6, v10
	v_add_co_u32 v7, vcc_lo, v3, v7
	v_add_co_ci_u32_e32 v8, vcc_lo, 0, v8, vcc_lo
                                        ; implicit-def: $vgpr3
	s_delay_alu instid0(VALU_DEP_3)
	v_cmpx_ne_u32_e32 0, v9
	s_xor_b32 s2, exec_lo, s2
; %bb.34:                               ;   in Loop: Header=BB57_10 Depth=1
	s_delay_alu instid0(VALU_DEP_2) | instskip(SKIP_1) | instid1(VALU_DEP_1)
	v_cmp_lt_u64_e32 vcc_lo, 0xffffff, v[7:8]
	v_add_nc_u32_e32 v3, 7, v10
	v_cndmask_b32_e32 v3, v9, v3, vcc_lo
	v_cndmask_b32_e64 v9, 0, 1, vcc_lo
	s_delay_alu instid0(VALU_DEP_1)
	v_lshrrev_b64 v[7:8], v9, v[7:8]
; %bb.35:                               ;   in Loop: Header=BB57_10 Depth=1
	s_and_not1_saveexec_b32 s2, s2
; %bb.36:                               ;   in Loop: Header=BB57_10 Depth=1
	s_delay_alu instid0(VALU_DEP_1)
	v_bfe_u32 v3, v7, 23, 1
; %bb.37:                               ;   in Loop: Header=BB57_10 Depth=1
	s_or_b32 exec_lo, exec_lo, s2
	s_delay_alu instid0(VALU_DEP_2) | instskip(NEXT) | instid1(VALU_DEP_2)
	v_lshrrev_b64 v[7:8], 20, v[7:8]
	v_cmp_gt_i32_e32 vcc_lo, 16, v3
	v_cmp_ne_u32_e64 s2, 0, v3
                                        ; implicit-def: $vgpr9
	s_delay_alu instid0(VALU_DEP_3) | instskip(NEXT) | instid1(VALU_DEP_1)
	v_dual_cndmask_b32 v8, 0, v8 :: v_dual_cndmask_b32 v7, 7, v7
	v_cmp_ne_u64_e32 vcc_lo, 0, v[7:8]
	s_delay_alu instid0(VALU_DEP_3) | instskip(NEXT) | instid1(SALU_CYCLE_1)
	s_or_b32 s2, s2, vcc_lo
	s_and_saveexec_b32 s36, s2
	s_delay_alu instid0(SALU_CYCLE_1)
	s_xor_b32 s2, exec_lo, s36
; %bb.38:                               ;   in Loop: Header=BB57_10 Depth=1
	v_min_i32_e32 v3, 15, v3
	s_delay_alu instid0(VALU_DEP_1) | instskip(NEXT) | instid1(VALU_DEP_1)
	v_lshl_or_b32 v3, v3, 3, v18
                                        ; implicit-def: $vgpr18
	v_and_or_b32 v9, v7, 7, v3
; %bb.39:                               ;   in Loop: Header=BB57_10 Depth=1
	s_and_not1_saveexec_b32 s2, s2
; %bb.40:                               ;   in Loop: Header=BB57_10 Depth=1
	v_mov_b32_e32 v9, v18
; %bb.41:                               ;   in Loop: Header=BB57_10 Depth=1
	s_or_b32 exec_lo, exec_lo, s2
.LBB57_42:                              ;   in Loop: Header=BB57_10 Depth=1
	s_delay_alu instid0(SALU_CYCLE_1)
	s_or_b32 exec_lo, exec_lo, s35
.LBB57_43:                              ;   in Loop: Header=BB57_10 Depth=1
	s_and_not1_saveexec_b32 s2, s29
	s_delay_alu instid0(SALU_CYCLE_1)
	s_or_b32 exec_lo, exec_lo, s2
                                        ; implicit-def: $vgpr10
.LBB57_44:                              ;   in Loop: Header=BB57_10 Depth=1
	s_and_not1_saveexec_b32 s2, s21
	s_cbranch_execz .LBB57_9
; %bb.45:                               ;   in Loop: Header=BB57_10 Depth=1
	v_cmp_eq_u64_e32 vcc_lo, 0, v[3:4]
	v_or_b32_e32 v7, 0x7f, v10
	s_delay_alu instid0(VALU_DEP_1)
	v_cndmask_b32_e32 v9, v7, v9, vcc_lo
	s_branch .LBB57_9
.LBB57_46:
	s_or_b32 exec_lo, exec_lo, s33
	s_delay_alu instid0(SALU_CYCLE_1)
	s_mov_b32 s2, exec_lo
	v_cmpx_gt_i32_e64 s6, v0
	s_cbranch_execz .LBB57_67
; %bb.47:
	s_mul_i32 s3, s16, s11
	s_mul_hi_u32 s8, s16, s10
	s_mul_i32 s2, s16, s10
	s_add_i32 s3, s8, s3
	s_load_b32 s0, s[0:1], 0x8c
	s_lshl_b64 s[2:3], s[2:3], 2
	v_mov_b32_e32 v3, 0
	s_add_u32 s1, s14, s2
	s_addc_u32 s2, s15, s3
	s_waitcnt lgkmcnt(0)
	s_load_b32 s3, s[24:25], 0x0
	s_ashr_i32 s4, s4, 31
	s_delay_alu instid0(SALU_CYCLE_1) | instskip(NEXT) | instid1(SALU_CYCLE_1)
	s_mul_i32 s4, s22, s4
	s_add_i32 s4, s27, s4
	s_delay_alu instid0(SALU_CYCLE_1) | instskip(SKIP_3) | instid1(SALU_CYCLE_1)
	s_add_i32 s4, s4, s30
	s_add_u32 s8, s18, s31
	s_addc_u32 s9, s19, s4
	s_ashr_i32 s4, s5, 31
	s_mul_i32 s7, s7, s4
	s_delay_alu instid0(SALU_CYCLE_1) | instskip(NEXT) | instid1(SALU_CYCLE_1)
	s_add_i32 s4, s26, s7
	s_add_i32 s5, s4, s17
	s_add_u32 s4, s8, s23
	s_addc_u32 s5, s9, s5
	s_and_b32 s7, s0, 0xffff
	s_mov_b32 s8, 0
	s_branch .LBB57_49
.LBB57_48:                              ;   in Loop: Header=BB57_49 Depth=1
	s_or_b32 exec_lo, exec_lo, s0
	v_add_co_u32 v6, vcc_lo, s4, v0
	v_add_nc_u32_e32 v0, s7, v0
	v_add_co_ci_u32_e32 v7, vcc_lo, s5, v1, vcc_lo
	s_delay_alu instid0(VALU_DEP_2) | instskip(SKIP_2) | instid1(SALU_CYCLE_1)
	v_cmp_le_i32_e32 vcc_lo, s6, v0
	global_store_b8 v[6:7], v5, off
	s_or_b32 s8, vcc_lo, s8
	s_and_not1_b32 exec_lo, exec_lo, s8
	s_cbranch_execz .LBB57_67
.LBB57_49:                              ; =>This Inner Loop Header: Depth=1
	v_ashrrev_i32_e32 v1, 31, v0
	s_mov_b32 s0, exec_lo
	v_mov_b32_e32 v10, v3
	s_delay_alu instid0(VALU_DEP_2) | instskip(NEXT) | instid1(VALU_DEP_1)
	v_lshlrev_b64 v[4:5], 2, v[0:1]
	v_add_co_u32 v4, vcc_lo, s1, v4
	s_delay_alu instid0(VALU_DEP_2) | instskip(SKIP_3) | instid1(VALU_DEP_1)
	v_add_co_ci_u32_e32 v5, vcc_lo, s2, v5, vcc_lo
	global_load_b32 v2, v[4:5], off
	s_waitcnt vmcnt(0) lgkmcnt(0)
	v_div_scale_f32 v4, null, s3, s3, v2
	v_rcp_f32_e32 v5, v4
	s_waitcnt_depctr 0xfff
	v_fma_f32 v6, -v4, v5, 1.0
	s_delay_alu instid0(VALU_DEP_1) | instskip(SKIP_1) | instid1(VALU_DEP_1)
	v_fmac_f32_e32 v5, v6, v5
	v_div_scale_f32 v6, vcc_lo, v2, s3, v2
	v_mul_f32_e32 v7, v6, v5
	s_delay_alu instid0(VALU_DEP_1) | instskip(NEXT) | instid1(VALU_DEP_1)
	v_fma_f32 v8, -v4, v7, v6
	v_fmac_f32_e32 v7, v8, v5
	s_delay_alu instid0(VALU_DEP_1) | instskip(NEXT) | instid1(VALU_DEP_1)
	v_fma_f32 v4, -v4, v7, v6
	v_div_fmas_f32 v4, v4, v5, v7
	s_delay_alu instid0(VALU_DEP_1) | instskip(NEXT) | instid1(VALU_DEP_1)
	v_div_fixup_f32 v4, v4, s3, v2
	v_and_b32_e32 v2, 0x7fffff, v4
	v_lshrrev_b32_e32 v6, 24, v4
	v_and_b32_e32 v9, 0x7f800000, v4
	s_delay_alu instid0(VALU_DEP_2) | instskip(NEXT) | instid1(VALU_DEP_1)
	v_and_b32_e32 v8, 0x80, v6
	v_or_b32_e32 v5, 0x7e, v8
	s_delay_alu instid0(VALU_DEP_3)
	v_cmpx_ne_u64_e32 0x7f800000, v[9:10]
	s_xor_b32 s9, exec_lo, s0
	s_cbranch_execz .LBB57_65
; %bb.50:                               ;   in Loop: Header=BB57_49 Depth=1
	v_dual_mov_b32 v7, v3 :: v_dual_and_b32 v6, 0x7fffffff, v4
	s_mov_b32 s0, exec_lo
	s_delay_alu instid0(VALU_DEP_1)
	v_cmpx_gt_u64_e32 0x43e00001, v[6:7]
	s_xor_b32 s10, exec_lo, s0
	s_cbranch_execz .LBB57_64
; %bb.51:                               ;   in Loop: Header=BB57_49 Depth=1
	v_mov_b32_e32 v5, 0
	s_mov_b32 s11, exec_lo
	v_cmpx_ne_u32_e32 0, v4
	s_cbranch_execz .LBB57_63
; %bb.52:                               ;   in Loop: Header=BB57_49 Depth=1
	v_bfe_u32 v9, v4, 23, 8
	v_or_b32_e32 v6, 0x800000, v2
	s_delay_alu instid0(VALU_DEP_2) | instskip(SKIP_1) | instid1(VALU_DEP_2)
	v_sub_nc_u32_e32 v4, 0x79, v9
	v_cmp_gt_u32_e32 vcc_lo, 0x7a, v9
	v_cndmask_b32_e32 v4, 0, v4, vcc_lo
	v_cmp_eq_u32_e32 vcc_lo, 0, v9
	s_delay_alu instid0(VALU_DEP_2) | instskip(SKIP_1) | instid1(VALU_DEP_2)
	v_cndmask_b32_e64 v10, v4, 0x78, vcc_lo
	v_cndmask_b32_e32 v2, v6, v2, vcc_lo
	v_add_nc_u32_e32 v4, 20, v10
	v_add_nc_u32_e32 v6, 19, v10
	s_delay_alu instid0(VALU_DEP_2) | instskip(NEXT) | instid1(VALU_DEP_2)
	v_lshlrev_b64 v[4:5], v4, -1
	v_lshlrev_b64 v[6:7], v6, 1
	s_delay_alu instid0(VALU_DEP_2) | instskip(NEXT) | instid1(VALU_DEP_3)
	v_not_b32_e32 v5, v5
	v_not_b32_e32 v4, v4
	s_delay_alu instid0(VALU_DEP_2) | instskip(NEXT) | instid1(VALU_DEP_2)
	v_and_b32_e32 v12, 0, v5
	v_and_b32_e32 v11, v2, v4
	v_lshrrev_b64 v[4:5], v10, v[2:3]
	s_delay_alu instid0(VALU_DEP_2) | instskip(NEXT) | instid1(VALU_DEP_2)
	v_cmp_eq_u64_e64 s0, v[11:12], v[6:7]
	v_dual_mov_b32 v7, v5 :: v_dual_mov_b32 v6, v4
	s_delay_alu instid0(VALU_DEP_2)
	s_and_saveexec_b32 s12, s0
; %bb.53:                               ;   in Loop: Header=BB57_49 Depth=1
	v_bfe_u32 v2, v4, 20, 1
	s_delay_alu instid0(VALU_DEP_1) | instskip(NEXT) | instid1(VALU_DEP_1)
	v_add_co_u32 v2, s0, v4, v2
	v_add_co_u32 v6, s0, v2, -1
; %bb.54:                               ;   in Loop: Header=BB57_49 Depth=1
	s_or_b32 exec_lo, exec_lo, s12
	v_add_nc_u32_e32 v2, 0xffffff81, v9
	v_lshrrev_b32_e32 v7, 23, v4
	s_mov_b32 s0, exec_lo
	s_delay_alu instid0(VALU_DEP_2) | instskip(NEXT) | instid1(VALU_DEP_1)
	v_cndmask_b32_e64 v2, v2, 0xffffff82, vcc_lo
	v_add3_u32 v7, v10, v2, v7
	v_and_b32_e32 v2, 0xfffff, v6
	s_delay_alu instid0(VALU_DEP_2) | instskip(NEXT) | instid1(VALU_DEP_2)
	v_add_nc_u32_e32 v6, 6, v7
	v_add_co_u32 v4, vcc_lo, v2, v4
	v_add_co_ci_u32_e32 v5, vcc_lo, 0, v5, vcc_lo
                                        ; implicit-def: $vgpr2
	s_delay_alu instid0(VALU_DEP_3)
	v_cmpx_ne_u32_e32 0, v6
	s_xor_b32 s0, exec_lo, s0
; %bb.55:                               ;   in Loop: Header=BB57_49 Depth=1
	s_delay_alu instid0(VALU_DEP_2) | instskip(SKIP_1) | instid1(VALU_DEP_1)
	v_cmp_lt_u64_e32 vcc_lo, 0xffffff, v[4:5]
	v_add_nc_u32_e32 v2, 7, v7
	v_cndmask_b32_e32 v2, v6, v2, vcc_lo
	v_cndmask_b32_e64 v6, 0, 1, vcc_lo
	s_delay_alu instid0(VALU_DEP_1)
	v_lshrrev_b64 v[4:5], v6, v[4:5]
; %bb.56:                               ;   in Loop: Header=BB57_49 Depth=1
	s_and_not1_saveexec_b32 s0, s0
; %bb.57:                               ;   in Loop: Header=BB57_49 Depth=1
	s_delay_alu instid0(VALU_DEP_1)
	v_bfe_u32 v2, v4, 23, 1
; %bb.58:                               ;   in Loop: Header=BB57_49 Depth=1
	s_or_b32 exec_lo, exec_lo, s0
	s_delay_alu instid0(VALU_DEP_2) | instskip(NEXT) | instid1(VALU_DEP_2)
	v_lshrrev_b64 v[4:5], 20, v[4:5]
	v_cmp_gt_i32_e32 vcc_lo, 16, v2
	v_cmp_ne_u32_e64 s0, 0, v2
	s_delay_alu instid0(VALU_DEP_3) | instskip(NEXT) | instid1(VALU_DEP_1)
	v_dual_cndmask_b32 v5, 0, v5 :: v_dual_cndmask_b32 v4, 7, v4
	v_cmp_ne_u64_e32 vcc_lo, 0, v[4:5]
                                        ; implicit-def: $vgpr5
	s_delay_alu instid0(VALU_DEP_3) | instskip(NEXT) | instid1(SALU_CYCLE_1)
	s_or_b32 s0, s0, vcc_lo
	s_and_saveexec_b32 s12, s0
	s_delay_alu instid0(SALU_CYCLE_1)
	s_xor_b32 s0, exec_lo, s12
; %bb.59:                               ;   in Loop: Header=BB57_49 Depth=1
	v_min_i32_e32 v2, 15, v2
	s_delay_alu instid0(VALU_DEP_1) | instskip(NEXT) | instid1(VALU_DEP_1)
	v_lshl_or_b32 v2, v2, 3, v8
                                        ; implicit-def: $vgpr8
	v_and_or_b32 v5, v4, 7, v2
; %bb.60:                               ;   in Loop: Header=BB57_49 Depth=1
	s_and_not1_saveexec_b32 s0, s0
; %bb.61:                               ;   in Loop: Header=BB57_49 Depth=1
	v_mov_b32_e32 v5, v8
; %bb.62:                               ;   in Loop: Header=BB57_49 Depth=1
	s_or_b32 exec_lo, exec_lo, s0
.LBB57_63:                              ;   in Loop: Header=BB57_49 Depth=1
	s_delay_alu instid0(SALU_CYCLE_1)
	s_or_b32 exec_lo, exec_lo, s11
.LBB57_64:                              ;   in Loop: Header=BB57_49 Depth=1
	s_and_not1_saveexec_b32 s0, s10
	s_delay_alu instid0(SALU_CYCLE_1)
	s_or_b32 exec_lo, exec_lo, s0
                                        ; implicit-def: $vgpr6
.LBB57_65:                              ;   in Loop: Header=BB57_49 Depth=1
	s_and_not1_saveexec_b32 s0, s9
	s_cbranch_execz .LBB57_48
; %bb.66:                               ;   in Loop: Header=BB57_49 Depth=1
	v_cmp_eq_u64_e32 vcc_lo, 0, v[2:3]
	v_or_b32_e32 v4, 0x7f, v6
	s_delay_alu instid0(VALU_DEP_1)
	v_cndmask_b32_e32 v5, v4, v5, vcc_lo
	s_branch .LBB57_48
.LBB57_67:
	s_nop 0
	s_sendmsg sendmsg(MSG_DEALLOC_VGPRS)
	s_endpgm
.LBB57_68:
                                        ; implicit-def: $sgpr22_sgpr23
	s_branch .LBB57_6
	.section	.rodata,"a",@progbits
	.p2align	6, 0x0
	.amdhsa_kernel _ZN4vllm38concat_and_cache_mla_rope_fused_kernelIfN3c104HalfELb0EfhLNS_18Fp8KVCacheDataTypeE1EEEvPKlPT_S7_PKS6_PKT0_illlliPT3_S5_iiiiPKf
		.amdhsa_group_segment_fixed_size 0
		.amdhsa_private_segment_fixed_size 0
		.amdhsa_kernarg_size 384
		.amdhsa_user_sgpr_count 15
		.amdhsa_user_sgpr_dispatch_ptr 0
		.amdhsa_user_sgpr_queue_ptr 0
		.amdhsa_user_sgpr_kernarg_segment_ptr 1
		.amdhsa_user_sgpr_dispatch_id 0
		.amdhsa_user_sgpr_private_segment_size 0
		.amdhsa_wavefront_size32 1
		.amdhsa_uses_dynamic_stack 0
		.amdhsa_enable_private_segment 0
		.amdhsa_system_sgpr_workgroup_id_x 1
		.amdhsa_system_sgpr_workgroup_id_y 0
		.amdhsa_system_sgpr_workgroup_id_z 0
		.amdhsa_system_sgpr_workgroup_info 0
		.amdhsa_system_vgpr_workitem_id 0
		.amdhsa_next_free_vgpr 23
		.amdhsa_next_free_sgpr 43
		.amdhsa_reserve_vcc 1
		.amdhsa_float_round_mode_32 0
		.amdhsa_float_round_mode_16_64 0
		.amdhsa_float_denorm_mode_32 3
		.amdhsa_float_denorm_mode_16_64 3
		.amdhsa_dx10_clamp 1
		.amdhsa_ieee_mode 1
		.amdhsa_fp16_overflow 0
		.amdhsa_workgroup_processor_mode 1
		.amdhsa_memory_ordered 1
		.amdhsa_forward_progress 0
		.amdhsa_shared_vgpr_count 0
		.amdhsa_exception_fp_ieee_invalid_op 0
		.amdhsa_exception_fp_denorm_src 0
		.amdhsa_exception_fp_ieee_div_zero 0
		.amdhsa_exception_fp_ieee_overflow 0
		.amdhsa_exception_fp_ieee_underflow 0
		.amdhsa_exception_fp_ieee_inexact 0
		.amdhsa_exception_int_div_zero 0
	.end_amdhsa_kernel
	.section	.text._ZN4vllm38concat_and_cache_mla_rope_fused_kernelIfN3c104HalfELb0EfhLNS_18Fp8KVCacheDataTypeE1EEEvPKlPT_S7_PKS6_PKT0_illlliPT3_S5_iiiiPKf,"axG",@progbits,_ZN4vllm38concat_and_cache_mla_rope_fused_kernelIfN3c104HalfELb0EfhLNS_18Fp8KVCacheDataTypeE1EEEvPKlPT_S7_PKS6_PKT0_illlliPT3_S5_iiiiPKf,comdat
.Lfunc_end57:
	.size	_ZN4vllm38concat_and_cache_mla_rope_fused_kernelIfN3c104HalfELb0EfhLNS_18Fp8KVCacheDataTypeE1EEEvPKlPT_S7_PKS6_PKT0_illlliPT3_S5_iiiiPKf, .Lfunc_end57-_ZN4vllm38concat_and_cache_mla_rope_fused_kernelIfN3c104HalfELb0EfhLNS_18Fp8KVCacheDataTypeE1EEEvPKlPT_S7_PKS6_PKT0_illlliPT3_S5_iiiiPKf
                                        ; -- End function
	.section	.AMDGPU.csdata,"",@progbits
; Kernel info:
; codeLenInByte = 4368
; NumSgprs: 45
; NumVgprs: 23
; ScratchSize: 0
; MemoryBound: 0
; FloatMode: 240
; IeeeMode: 1
; LDSByteSize: 0 bytes/workgroup (compile time only)
; SGPRBlocks: 5
; VGPRBlocks: 2
; NumSGPRsForWavesPerEU: 45
; NumVGPRsForWavesPerEU: 23
; Occupancy: 16
; WaveLimiterHint : 1
; COMPUTE_PGM_RSRC2:SCRATCH_EN: 0
; COMPUTE_PGM_RSRC2:USER_SGPR: 15
; COMPUTE_PGM_RSRC2:TRAP_HANDLER: 0
; COMPUTE_PGM_RSRC2:TGID_X_EN: 1
; COMPUTE_PGM_RSRC2:TGID_Y_EN: 0
; COMPUTE_PGM_RSRC2:TGID_Z_EN: 0
; COMPUTE_PGM_RSRC2:TIDIG_COMP_CNT: 0
	.section	.text._ZN4vllm38concat_and_cache_mla_rope_fused_kernelIfN3c108BFloat16ELb1EfhLNS_18Fp8KVCacheDataTypeE1EEEvPKlPT_S7_PKS6_PKT0_illlliPT3_S5_iiiiPKf,"axG",@progbits,_ZN4vllm38concat_and_cache_mla_rope_fused_kernelIfN3c108BFloat16ELb1EfhLNS_18Fp8KVCacheDataTypeE1EEEvPKlPT_S7_PKS6_PKT0_illlliPT3_S5_iiiiPKf,comdat
	.protected	_ZN4vllm38concat_and_cache_mla_rope_fused_kernelIfN3c108BFloat16ELb1EfhLNS_18Fp8KVCacheDataTypeE1EEEvPKlPT_S7_PKS6_PKT0_illlliPT3_S5_iiiiPKf ; -- Begin function _ZN4vllm38concat_and_cache_mla_rope_fused_kernelIfN3c108BFloat16ELb1EfhLNS_18Fp8KVCacheDataTypeE1EEEvPKlPT_S7_PKS6_PKT0_illlliPT3_S5_iiiiPKf
	.globl	_ZN4vllm38concat_and_cache_mla_rope_fused_kernelIfN3c108BFloat16ELb1EfhLNS_18Fp8KVCacheDataTypeE1EEEvPKlPT_S7_PKS6_PKT0_illlliPT3_S5_iiiiPKf
	.p2align	8
	.type	_ZN4vllm38concat_and_cache_mla_rope_fused_kernelIfN3c108BFloat16ELb1EfhLNS_18Fp8KVCacheDataTypeE1EEEvPKlPT_S7_PKS6_PKT0_illlliPT3_S5_iiiiPKf,@function
_ZN4vllm38concat_and_cache_mla_rope_fused_kernelIfN3c108BFloat16ELb1EfhLNS_18Fp8KVCacheDataTypeE1EEEvPKlPT_S7_PKS6_PKT0_illlliPT3_S5_iiiiPKf: ; @_ZN4vllm38concat_and_cache_mla_rope_fused_kernelIfN3c108BFloat16ELb1EfhLNS_18Fp8KVCacheDataTypeE1EEEvPKlPT_S7_PKS6_PKT0_illlliPT3_S5_iiiiPKf
; %bb.0:
	s_load_b64 s[4:5], s[0:1], 0x60
	s_mov_b32 s16, s15
	s_mov_b32 s17, 0
	s_delay_alu instid0(SALU_CYCLE_1)
	s_lshl_b64 s[2:3], s[16:17], 3
	s_waitcnt lgkmcnt(0)
	s_add_u32 s4, s4, s2
	s_addc_u32 s5, s5, s3
	s_load_b64 s[28:29], s[4:5], 0x0
	s_waitcnt lgkmcnt(0)
	v_cmp_lt_i64_e64 s4, s[28:29], 0
	s_delay_alu instid0(VALU_DEP_1)
	s_and_b32 vcc_lo, exec_lo, s4
	s_cbranch_vccnz .LBB58_67
; %bb.1:
	s_clause 0x3
	s_load_b32 s21, s[0:1], 0x28
	s_load_b64 s[4:5], s[0:1], 0x0
	s_load_b128 s[12:15], s[0:1], 0x10
	s_load_b32 s17, s[0:1], 0x50
	s_waitcnt lgkmcnt(0)
	s_ashr_i32 s24, s21, 31
	s_add_u32 s2, s4, s2
	s_addc_u32 s3, s5, s3
	s_lshr_b32 s20, s21, 31
	s_load_b64 s[22:23], s[2:3], 0x0
	s_clause 0x2
	s_load_b64 s[2:3], s[0:1], 0x20
	s_load_b64 s[18:19], s[0:1], 0x58
	s_load_b256 s[4:11], s[0:1], 0x30
	s_add_i32 s20, s21, s20
	s_delay_alu instid0(SALU_CYCLE_1) | instskip(NEXT) | instid1(SALU_CYCLE_1)
	s_ashr_i32 s20, s20, 1
	s_mul_i32 s17, s20, s17
	s_waitcnt lgkmcnt(0)
	s_mul_i32 s24, s22, s24
	s_mul_hi_u32 s25, s22, s21
	s_mul_i32 s23, s23, s21
	s_add_i32 s24, s25, s24
	s_mul_i32 s26, s22, s21
	s_add_i32 s27, s24, s23
	s_mov_b32 s24, exec_lo
	v_cmpx_gt_i32_e64 s17, v0
	s_cbranch_execz .LBB58_4
; %bb.2:
	s_clause 0x1
	s_load_b64 s[22:23], s[0:1], 0x8
	s_load_b32 s36, s[0:1], 0x8c
	s_lshl_b64 s[30:31], s[26:27], 1
	s_mul_i32 s5, s16, s5
	s_mul_hi_u32 s21, s16, s4
	s_add_u32 s25, s2, s30
	s_mul_i32 s4, s16, s4
	s_addc_u32 s30, s3, s31
	s_add_i32 s5, s21, s5
	s_ashr_i32 s21, s20, 31
	s_lshl_b64 s[4:5], s[4:5], 2
	s_mov_b32 s35, 0
	s_waitcnt lgkmcnt(0)
	s_add_u32 s31, s22, s4
	s_addc_u32 s33, s23, s5
	s_abs_i32 s34, s20
	s_and_b32 s36, s36, 0xffff
	v_cvt_f32_u32_e32 v1, s34
	s_sub_i32 s4, 0, s34
	s_sub_i32 s37, 0, s20
	s_lshl_b64 s[22:23], s[20:21], 2
	s_delay_alu instid0(VALU_DEP_1) | instskip(SKIP_2) | instid1(VALU_DEP_1)
	v_rcp_iflag_f32_e32 v1, v1
	s_waitcnt_depctr 0xfff
	v_mul_f32_e32 v1, 0x4f7ffffe, v1
	v_cvt_u32_f32_e32 v1, v1
	s_delay_alu instid0(VALU_DEP_1) | instskip(SKIP_1) | instid1(VALU_DEP_1)
	v_mul_lo_u32 v2, s4, v1
	s_lshl_b64 s[4:5], s[20:21], 1
	v_mul_hi_u32 v2, v1, v2
	s_delay_alu instid0(VALU_DEP_1)
	v_dual_mov_b32 v1, v0 :: v_dual_add_nc_u32 v2, v1, v2
.LBB58_3:                               ; =>This Inner Loop Header: Depth=1
	s_delay_alu instid0(VALU_DEP_1) | instskip(SKIP_1) | instid1(VALU_DEP_2)
	v_sub_nc_u32_e32 v3, 0, v1
	v_ashrrev_i32_e32 v4, 31, v1
	v_max_i32_e32 v3, v1, v3
	s_delay_alu instid0(VALU_DEP_2) | instskip(NEXT) | instid1(VALU_DEP_2)
	v_xor_b32_e32 v4, s21, v4
	v_mul_hi_u32 v5, v3, v2
	s_delay_alu instid0(VALU_DEP_1) | instskip(SKIP_1) | instid1(VALU_DEP_2)
	v_mul_lo_u32 v6, v5, s34
	v_add_nc_u32_e32 v7, 1, v5
	v_sub_nc_u32_e32 v3, v3, v6
	s_delay_alu instid0(VALU_DEP_1) | instskip(SKIP_1) | instid1(VALU_DEP_4)
	v_subrev_nc_u32_e32 v6, s34, v3
	v_cmp_le_u32_e32 vcc_lo, s34, v3
	v_cndmask_b32_e32 v5, v5, v7, vcc_lo
	s_delay_alu instid0(VALU_DEP_1) | instskip(NEXT) | instid1(VALU_DEP_1)
	v_dual_cndmask_b32 v3, v3, v6 :: v_dual_add_nc_u32 v6, 1, v5
	v_cmp_le_u32_e32 vcc_lo, s34, v3
	s_delay_alu instid0(VALU_DEP_2) | instskip(NEXT) | instid1(VALU_DEP_1)
	v_cndmask_b32_e32 v3, v5, v6, vcc_lo
	v_xor_b32_e32 v3, v3, v4
	s_delay_alu instid0(VALU_DEP_1) | instskip(NEXT) | instid1(VALU_DEP_1)
	v_sub_nc_u32_e32 v7, v3, v4
	v_ashrrev_i32_e32 v8, 31, v7
	v_mad_u64_u32 v[3:4], null, s37, v7, v[1:2]
	v_mul_lo_u32 v9, v7, s7
	v_mad_u64_u32 v[5:6], null, v7, s6, 0
	s_delay_alu instid0(VALU_DEP_4) | instskip(SKIP_2) | instid1(VALU_DEP_3)
	v_mul_lo_u32 v7, v8, s6
	v_add_nc_u32_e32 v1, s36, v1
	v_ashrrev_i32_e32 v4, 31, v3
	v_add3_u32 v6, v6, v9, v7
	s_delay_alu instid0(VALU_DEP_2) | instskip(SKIP_1) | instid1(VALU_DEP_3)
	v_lshlrev_b64 v[7:8], 1, v[3:4]
	v_lshlrev_b64 v[3:4], 2, v[3:4]
	v_lshlrev_b64 v[5:6], 2, v[5:6]
	s_delay_alu instid0(VALU_DEP_3) | instskip(NEXT) | instid1(VALU_DEP_4)
	v_add_co_u32 v7, vcc_lo, s25, v7
	v_add_co_ci_u32_e32 v8, vcc_lo, s30, v8, vcc_lo
	s_delay_alu instid0(VALU_DEP_3) | instskip(NEXT) | instid1(VALU_DEP_4)
	v_add_co_u32 v10, vcc_lo, s31, v5
	v_add_co_ci_u32_e32 v11, vcc_lo, s33, v6, vcc_lo
	s_delay_alu instid0(VALU_DEP_4) | instskip(NEXT) | instid1(VALU_DEP_4)
	v_add_co_u32 v5, vcc_lo, v7, s4
	v_add_co_ci_u32_e32 v6, vcc_lo, s5, v8, vcc_lo
	s_delay_alu instid0(VALU_DEP_4) | instskip(NEXT) | instid1(VALU_DEP_4)
	v_add_co_u32 v3, vcc_lo, v10, v3
	v_add_co_ci_u32_e32 v4, vcc_lo, v11, v4, vcc_lo
	s_clause 0x1
	global_load_u16 v9, v[7:8], off
	global_load_u16 v7, v[5:6], off
	v_add_co_u32 v5, vcc_lo, v3, s22
	v_add_co_ci_u32_e32 v6, vcc_lo, s23, v4, vcc_lo
	s_clause 0x1
	global_load_b32 v8, v[3:4], off
	global_load_b32 v10, v[5:6], off
	v_cmp_le_i32_e32 vcc_lo, s17, v1
	s_or_b32 s35, vcc_lo, s35
	s_waitcnt vmcnt(3)
	v_lshlrev_b32_e32 v9, 16, v9
	s_waitcnt vmcnt(2)
	v_lshlrev_b32_e32 v7, 16, v7
	s_waitcnt vmcnt(1)
	s_delay_alu instid0(VALU_DEP_1) | instskip(SKIP_2) | instid1(VALU_DEP_2)
	v_mul_f32_e32 v11, v8, v7
	s_waitcnt vmcnt(0)
	v_mul_f32_e32 v7, v10, v7
	v_fmac_f32_e32 v11, v10, v9
	s_delay_alu instid0(VALU_DEP_2)
	v_fma_f32 v7, v8, v9, -v7
	s_clause 0x1
	global_store_b32 v[3:4], v7, off
	global_store_b32 v[5:6], v11, off
	s_and_not1_b32 exec_lo, exec_lo, s35
	s_cbranch_execnz .LBB58_3
.LBB58_4:
	s_or_b32 exec_lo, exec_lo, s24
	s_load_b128 s[4:7], s[0:1], 0x68
	s_waitcnt lgkmcnt(0)
	s_ashr_i32 s31, s7, 31
	s_mov_b32 s30, s7
	s_delay_alu instid0(SALU_CYCLE_1) | instskip(SKIP_1) | instid1(SALU_CYCLE_1)
	s_or_b64 s[24:25], s[28:29], s[30:31]
	s_mov_b32 s24, 0
	s_cmp_lg_u64 s[24:25], 0
	s_cbranch_scc0 .LBB58_68
; %bb.5:
	s_add_u32 s34, s30, s31
	s_mov_b32 s22, s31
	s_mov_b32 s23, s31
	s_addc_u32 s35, s31, s31
	s_delay_alu instid0(SALU_CYCLE_1) | instskip(NEXT) | instid1(SALU_CYCLE_1)
	s_xor_b64 s[34:35], s[34:35], s[22:23]
	v_cvt_f32_u32_e32 v1, s34
	v_cvt_f32_u32_e32 v2, s35
	s_sub_u32 s21, 0, s34
	s_subb_u32 s25, 0, s35
	s_delay_alu instid0(VALU_DEP_1) | instskip(NEXT) | instid1(VALU_DEP_1)
	v_fmamk_f32 v1, v2, 0x4f800000, v1
	v_rcp_f32_e32 v1, v1
	s_waitcnt_depctr 0xfff
	v_mul_f32_e32 v1, 0x5f7ffffc, v1
	s_delay_alu instid0(VALU_DEP_1) | instskip(NEXT) | instid1(VALU_DEP_1)
	v_mul_f32_e32 v2, 0x2f800000, v1
	v_trunc_f32_e32 v2, v2
	s_delay_alu instid0(VALU_DEP_1) | instskip(SKIP_1) | instid1(VALU_DEP_2)
	v_fmamk_f32 v1, v2, 0xcf800000, v1
	v_cvt_u32_f32_e32 v2, v2
	v_cvt_u32_f32_e32 v1, v1
	s_delay_alu instid0(VALU_DEP_2) | instskip(NEXT) | instid1(VALU_DEP_2)
	v_readfirstlane_b32 s7, v2
	v_readfirstlane_b32 s17, v1
	s_delay_alu instid0(VALU_DEP_2) | instskip(NEXT) | instid1(VALU_DEP_1)
	s_mul_i32 s33, s21, s7
	s_mul_hi_u32 s37, s21, s17
	s_mul_i32 s36, s25, s17
	s_add_i32 s33, s37, s33
	s_mul_i32 s38, s21, s17
	s_add_i32 s33, s33, s36
	s_mul_hi_u32 s37, s17, s38
	s_mul_hi_u32 s39, s7, s38
	s_mul_i32 s36, s7, s38
	s_mul_hi_u32 s38, s17, s33
	s_mul_i32 s17, s17, s33
	s_mul_hi_u32 s40, s7, s33
	s_add_u32 s17, s37, s17
	s_addc_u32 s37, 0, s38
	s_add_u32 s17, s17, s36
	s_mul_i32 s33, s7, s33
	s_addc_u32 s17, s37, s39
	s_addc_u32 s36, s40, 0
	s_add_u32 s17, s17, s33
	s_addc_u32 s33, 0, s36
	v_add_co_u32 v1, s17, v1, s17
	s_delay_alu instid0(VALU_DEP_1) | instskip(SKIP_1) | instid1(VALU_DEP_1)
	s_cmp_lg_u32 s17, 0
	s_addc_u32 s7, s7, s33
	v_readfirstlane_b32 s17, v1
	s_mul_i32 s33, s21, s7
	s_delay_alu instid0(VALU_DEP_1)
	s_mul_hi_u32 s36, s21, s17
	s_mul_i32 s25, s25, s17
	s_add_i32 s33, s36, s33
	s_mul_i32 s21, s21, s17
	s_add_i32 s33, s33, s25
	s_mul_hi_u32 s36, s7, s21
	s_mul_i32 s37, s7, s21
	s_mul_hi_u32 s21, s17, s21
	s_mul_hi_u32 s38, s17, s33
	s_mul_i32 s17, s17, s33
	s_mul_hi_u32 s25, s7, s33
	s_add_u32 s17, s21, s17
	s_addc_u32 s21, 0, s38
	s_add_u32 s17, s17, s37
	s_mul_i32 s33, s7, s33
	s_addc_u32 s17, s21, s36
	s_addc_u32 s21, s25, 0
	s_add_u32 s17, s17, s33
	s_addc_u32 s21, 0, s21
	v_add_co_u32 v1, s17, v1, s17
	s_delay_alu instid0(VALU_DEP_1) | instskip(SKIP_2) | instid1(VALU_DEP_1)
	s_cmp_lg_u32 s17, 0
	s_addc_u32 s7, s7, s21
	s_ashr_i32 s36, s29, 31
	v_readfirstlane_b32 s17, v1
	s_add_u32 s38, s28, s36
	s_mov_b32 s37, s36
	s_addc_u32 s39, s29, s36
	s_delay_alu instid0(SALU_CYCLE_1) | instskip(NEXT) | instid1(SALU_CYCLE_1)
	s_xor_b64 s[38:39], s[38:39], s[36:37]
	s_mul_i32 s25, s38, s7
	s_mul_hi_u32 s33, s38, s17
	s_mul_hi_u32 s21, s38, s7
	;; [unrolled: 1-line block ×3, first 2 shown]
	s_mul_i32 s17, s39, s17
	s_add_u32 s25, s33, s25
	s_addc_u32 s21, 0, s21
	s_mul_hi_u32 s40, s39, s7
	s_add_u32 s17, s25, s17
	s_mul_i32 s7, s39, s7
	s_addc_u32 s17, s21, s41
	s_addc_u32 s21, s40, 0
	s_add_u32 s7, s17, s7
	s_addc_u32 s17, 0, s21
	s_mul_hi_u32 s21, s34, s7
	s_mul_i32 s33, s34, s17
	s_mul_i32 s40, s34, s7
	s_add_i32 s21, s21, s33
	v_sub_co_u32 v1, s33, s38, s40
	s_mul_i32 s25, s35, s7
	s_delay_alu instid0(SALU_CYCLE_1) | instskip(NEXT) | instid1(VALU_DEP_1)
	s_add_i32 s21, s21, s25
	v_sub_co_u32 v2, s38, v1, s34
	s_sub_i32 s25, s39, s21
	s_cmp_lg_u32 s33, 0
	s_subb_u32 s25, s25, s35
	s_cmp_lg_u32 s38, 0
	v_readfirstlane_b32 s38, v2
	s_subb_u32 s25, s25, 0
	s_delay_alu instid0(SALU_CYCLE_1) | instskip(SKIP_1) | instid1(VALU_DEP_1)
	s_cmp_ge_u32 s25, s35
	s_cselect_b32 s40, -1, 0
	s_cmp_ge_u32 s38, s34
	s_cselect_b32 s38, -1, 0
	s_cmp_eq_u32 s25, s35
	s_cselect_b32 s25, s38, s40
	s_add_u32 s38, s7, 1
	s_addc_u32 s40, s17, 0
	s_add_u32 s41, s7, 2
	s_addc_u32 s42, s17, 0
	s_cmp_lg_u32 s25, 0
	s_cselect_b32 s25, s41, s38
	s_cselect_b32 s38, s42, s40
	s_cmp_lg_u32 s33, 0
	v_readfirstlane_b32 s33, v1
	s_subb_u32 s21, s39, s21
	s_delay_alu instid0(SALU_CYCLE_1) | instskip(SKIP_1) | instid1(VALU_DEP_1)
	s_cmp_ge_u32 s21, s35
	s_cselect_b32 s39, -1, 0
	s_cmp_ge_u32 s33, s34
	s_cselect_b32 s33, -1, 0
	s_cmp_eq_u32 s21, s35
	s_cselect_b32 s21, s33, s39
	s_delay_alu instid0(SALU_CYCLE_1) | instskip(SKIP_3) | instid1(SALU_CYCLE_1)
	s_cmp_lg_u32 s21, 0
	s_cselect_b32 s35, s38, s17
	s_cselect_b32 s34, s25, s7
	s_xor_b64 s[22:23], s[36:37], s[22:23]
	s_xor_b64 s[34:35], s[34:35], s[22:23]
	s_delay_alu instid0(SALU_CYCLE_1)
	s_sub_u32 s22, s34, s22
	s_subb_u32 s23, s35, s23
	s_and_not1_b32 vcc_lo, exec_lo, s24
	s_cbranch_vccnz .LBB58_7
.LBB58_6:
	v_cvt_f32_u32_e32 v1, s30
	s_sub_i32 s17, 0, s30
	s_mov_b32 s23, 0
	s_delay_alu instid0(VALU_DEP_1) | instskip(SKIP_2) | instid1(VALU_DEP_1)
	v_rcp_iflag_f32_e32 v1, v1
	s_waitcnt_depctr 0xfff
	v_mul_f32_e32 v1, 0x4f7ffffe, v1
	v_cvt_u32_f32_e32 v1, v1
	s_delay_alu instid0(VALU_DEP_1) | instskip(NEXT) | instid1(VALU_DEP_1)
	v_readfirstlane_b32 s7, v1
	s_mul_i32 s17, s17, s7
	s_delay_alu instid0(SALU_CYCLE_1) | instskip(NEXT) | instid1(SALU_CYCLE_1)
	s_mul_hi_u32 s17, s7, s17
	s_add_i32 s7, s7, s17
	s_delay_alu instid0(SALU_CYCLE_1) | instskip(NEXT) | instid1(SALU_CYCLE_1)
	s_mul_hi_u32 s7, s28, s7
	s_mul_i32 s17, s7, s30
	s_add_i32 s21, s7, 1
	s_sub_i32 s17, s28, s17
	s_delay_alu instid0(SALU_CYCLE_1)
	s_sub_i32 s22, s17, s30
	s_cmp_ge_u32 s17, s30
	s_cselect_b32 s7, s21, s7
	s_cselect_b32 s17, s22, s17
	s_add_i32 s21, s7, 1
	s_cmp_ge_u32 s17, s30
	s_cselect_b32 s22, s21, s7
.LBB58_7:
	s_load_b64 s[24:25], s[0:1], 0x78
	s_mul_i32 s7, s22, s31
	s_mul_hi_u32 s17, s22, s30
	s_mul_i32 s21, s22, s30
	s_add_i32 s7, s17, s7
	s_mul_i32 s17, s23, s30
	s_mul_i32 s30, s23, s4
	s_add_i32 s17, s7, s17
	s_sub_u32 s7, s28, s21
	s_subb_u32 s17, s29, s17
	s_mul_hi_u32 s29, s22, s4
	s_mul_i32 s31, s22, s4
	s_mul_hi_u32 s28, s7, s5
	s_mul_i32 s17, s17, s5
	s_mul_i32 s23, s7, s5
	s_mov_b32 s33, exec_lo
	v_cmpx_gt_i32_e64 s20, v0
	s_cbranch_execz .LBB58_46
; %bb.8:
	s_load_b32 s38, s[0:1], 0x8c
	s_ashr_i32 s36, s4, 31
	s_ashr_i32 s37, s5, 31
	s_mul_i32 s36, s22, s36
	s_mul_i32 s37, s7, s37
	s_add_i32 s36, s29, s36
	s_add_i32 s37, s28, s37
	s_ashr_i32 s21, s20, 31
	s_add_i32 s36, s36, s30
	s_add_i32 s37, s37, s17
	s_add_u32 s42, s31, s23
	s_addc_u32 s43, s36, s37
	s_add_u32 s36, s42, s18
	s_addc_u32 s37, s43, s19
	s_ashr_i32 s44, s6, 31
	s_add_u32 s36, s36, s6
	v_dual_mov_b32 v2, 0 :: v_dual_lshlrev_b32 v1, 1, v0
	s_addc_u32 s37, s37, s44
	s_lshl_b64 s[26:27], s[26:27], 1
	s_waitcnt lgkmcnt(0)
	s_and_b32 s38, s38, 0xffff
	s_add_u32 s2, s2, s26
	s_load_b32 s34, s[24:25], 0x0
	s_addc_u32 s3, s3, s27
	v_add_co_u32 v3, s2, s2, v1
	s_delay_alu instid0(VALU_DEP_1)
	v_add_co_ci_u32_e64 v4, null, s3, 0, s2
	s_mul_i32 s2, s9, s16
	s_mul_hi_u32 s9, s8, s16
	s_mul_i32 s26, s8, s16
	s_add_i32 s27, s9, s2
	v_lshlrev_b32_e32 v1, 2, v0
	s_lshl_b64 s[40:41], s[26:27], 2
	s_lshl_b32 s3, s38, 1
	s_lshl_b64 s[8:9], s[20:21], 1
	s_lshl_b64 s[26:27], s[20:21], 2
	s_add_u32 s2, s12, s40
	s_addc_u32 s12, s13, s41
	v_add_co_u32 v5, s2, s2, v1
	s_lshl_b32 s39, s38, 2
	v_add_co_ci_u32_e64 v6, null, s12, 0, s2
	s_add_u32 s2, s42, s20
	s_addc_u32 s12, s43, s21
	s_add_u32 s2, s2, s6
	s_addc_u32 s12, s12, s44
	s_add_u32 s21, s18, s2
	s_mov_b32 s35, 0
	s_addc_u32 s40, s19, s12
	s_mov_b64 s[12:13], 0
	s_branch .LBB58_10
.LBB58_9:                               ;   in Loop: Header=BB58_10 Depth=1
	s_or_b32 exec_lo, exec_lo, s2
	s_add_u32 s12, s12, s38
	v_add_co_u32 v3, vcc_lo, v3, s3
	v_add_nc_u32_e32 v1, s12, v0
	v_add_co_ci_u32_e32 v4, vcc_lo, 0, v4, vcc_lo
	v_add_co_u32 v5, vcc_lo, v5, s39
	v_add_co_ci_u32_e32 v6, vcc_lo, 0, v6, vcc_lo
	v_add_co_u32 v7, s2, s21, v0
	s_addc_u32 s13, s13, 0
	v_cmp_le_i32_e32 vcc_lo, s20, v1
	s_add_u32 s21, s21, s38
	v_add_co_ci_u32_e64 v8, null, s40, 0, s2
	s_addc_u32 s40, s40, 0
	s_add_u32 s36, s36, s38
	s_addc_u32 s37, s37, 0
	s_or_b32 s35, vcc_lo, s35
	global_store_b8 v[7:8], v9, off
	s_and_not1_b32 exec_lo, exec_lo, s35
	s_cbranch_execz .LBB58_46
.LBB58_10:                              ; =>This Inner Loop Header: Depth=1
	v_add_co_u32 v7, vcc_lo, v3, s8
	v_add_co_ci_u32_e32 v8, vcc_lo, s9, v4, vcc_lo
	v_add_co_u32 v13, vcc_lo, v5, s26
	v_add_co_ci_u32_e32 v14, vcc_lo, s27, v6, vcc_lo
	s_clause 0x1
	global_load_u16 v1, v[7:8], off
	global_load_u16 v7, v[3:4], off
	s_clause 0x1
	global_load_b32 v8, v[13:14], off
	global_load_b32 v10, v[5:6], off
	s_mov_b32 s2, exec_lo
	s_waitcnt vmcnt(3)
	v_dual_mov_b32 v16, v2 :: v_dual_lshlrev_b32 v1, 16, v1
	s_waitcnt vmcnt(2)
	v_lshlrev_b32_e32 v17, 16, v7
	s_waitcnt vmcnt(1)
	s_delay_alu instid0(VALU_DEP_2) | instskip(SKIP_1) | instid1(VALU_DEP_1)
	v_mul_f32_e32 v7, v8, v1
	s_waitcnt vmcnt(0)
	v_fma_f32 v18, v10, v17, -v7
	s_waitcnt lgkmcnt(0)
	s_delay_alu instid0(VALU_DEP_1) | instskip(NEXT) | instid1(VALU_DEP_1)
	v_div_scale_f32 v7, null, s34, s34, v18
	v_rcp_f32_e32 v9, v7
	s_waitcnt_depctr 0xfff
	v_fma_f32 v11, -v7, v9, 1.0
	s_delay_alu instid0(VALU_DEP_1) | instskip(SKIP_1) | instid1(VALU_DEP_1)
	v_fmac_f32_e32 v9, v11, v9
	v_div_scale_f32 v11, vcc_lo, v18, s34, v18
	v_mul_f32_e32 v12, v11, v9
	s_delay_alu instid0(VALU_DEP_1) | instskip(NEXT) | instid1(VALU_DEP_1)
	v_fma_f32 v15, -v7, v12, v11
	v_fmac_f32_e32 v12, v15, v9
	s_delay_alu instid0(VALU_DEP_1) | instskip(SKIP_1) | instid1(VALU_DEP_2)
	v_fma_f32 v7, -v7, v12, v11
	v_mul_f32_e32 v11, v10, v1
	v_div_fmas_f32 v7, v7, v9, v12
	s_delay_alu instid0(VALU_DEP_2) | instskip(SKIP_4) | instid1(VALU_DEP_1)
	v_fmac_f32_e32 v11, v8, v17
	s_clause 0x1
	global_store_b32 v[5:6], v18, off
	global_store_b32 v[13:14], v11, off
	v_div_fixup_f32 v7, v7, s34, v18
	v_and_b32_e32 v15, 0x7f800000, v7
	v_lshrrev_b32_e32 v9, 24, v7
	v_and_b32_e32 v1, 0x7fffff, v7
	s_delay_alu instid0(VALU_DEP_2) | instskip(NEXT) | instid1(VALU_DEP_1)
	v_and_b32_e32 v12, 0x80, v9
	v_or_b32_e32 v8, 0x7e, v12
	v_cmpx_ne_u64_e32 0x7f800000, v[15:16]
	s_xor_b32 s41, exec_lo, s2
	s_cbranch_execz .LBB58_26
; %bb.11:                               ;   in Loop: Header=BB58_10 Depth=1
	v_dual_mov_b32 v10, v2 :: v_dual_and_b32 v9, 0x7fffffff, v7
	s_mov_b32 s2, exec_lo
	s_delay_alu instid0(VALU_DEP_1)
	v_cmpx_gt_u64_e32 0x43e00001, v[9:10]
	s_xor_b32 s42, exec_lo, s2
	s_cbranch_execz .LBB58_25
; %bb.12:                               ;   in Loop: Header=BB58_10 Depth=1
	v_mov_b32_e32 v8, 0
	s_mov_b32 s43, exec_lo
	v_cmpx_ne_u32_e32 0, v7
	s_cbranch_execz .LBB58_24
; %bb.13:                               ;   in Loop: Header=BB58_10 Depth=1
	v_bfe_u32 v13, v7, 23, 8
	v_or_b32_e32 v9, 0x800000, v1
	s_delay_alu instid0(VALU_DEP_2) | instskip(SKIP_1) | instid1(VALU_DEP_2)
	v_sub_nc_u32_e32 v7, 0x79, v13
	v_cmp_gt_u32_e32 vcc_lo, 0x7a, v13
	v_cndmask_b32_e32 v7, 0, v7, vcc_lo
	v_cmp_eq_u32_e32 vcc_lo, 0, v13
	s_delay_alu instid0(VALU_DEP_2) | instskip(SKIP_1) | instid1(VALU_DEP_2)
	v_cndmask_b32_e64 v14, v7, 0x78, vcc_lo
	v_cndmask_b32_e32 v1, v9, v1, vcc_lo
	v_add_nc_u32_e32 v7, 20, v14
	v_add_nc_u32_e32 v9, 19, v14
	s_delay_alu instid0(VALU_DEP_2) | instskip(NEXT) | instid1(VALU_DEP_2)
	v_lshlrev_b64 v[7:8], v7, -1
	v_lshlrev_b64 v[9:10], v9, 1
	s_delay_alu instid0(VALU_DEP_2) | instskip(NEXT) | instid1(VALU_DEP_3)
	v_not_b32_e32 v8, v8
	v_not_b32_e32 v7, v7
	s_delay_alu instid0(VALU_DEP_2) | instskip(NEXT) | instid1(VALU_DEP_2)
	v_and_b32_e32 v16, 0, v8
	v_and_b32_e32 v15, v1, v7
	v_lshrrev_b64 v[7:8], v14, v[1:2]
	s_delay_alu instid0(VALU_DEP_2) | instskip(NEXT) | instid1(VALU_DEP_2)
	v_cmp_eq_u64_e64 s2, v[15:16], v[9:10]
	v_dual_mov_b32 v10, v8 :: v_dual_mov_b32 v9, v7
	s_delay_alu instid0(VALU_DEP_2)
	s_and_saveexec_b32 s44, s2
; %bb.14:                               ;   in Loop: Header=BB58_10 Depth=1
	v_bfe_u32 v1, v7, 20, 1
	s_delay_alu instid0(VALU_DEP_1) | instskip(NEXT) | instid1(VALU_DEP_1)
	v_add_co_u32 v1, s2, v7, v1
	v_add_co_u32 v9, s2, v1, -1
; %bb.15:                               ;   in Loop: Header=BB58_10 Depth=1
	s_or_b32 exec_lo, exec_lo, s44
	v_add_nc_u32_e32 v1, 0xffffff81, v13
	v_lshrrev_b32_e32 v10, 23, v7
	s_mov_b32 s2, exec_lo
	s_delay_alu instid0(VALU_DEP_2) | instskip(NEXT) | instid1(VALU_DEP_1)
	v_cndmask_b32_e64 v1, v1, 0xffffff82, vcc_lo
	v_add3_u32 v10, v14, v1, v10
	v_and_b32_e32 v1, 0xfffff, v9
	s_delay_alu instid0(VALU_DEP_2) | instskip(NEXT) | instid1(VALU_DEP_2)
	v_add_nc_u32_e32 v9, 6, v10
	v_add_co_u32 v7, vcc_lo, v1, v7
	v_add_co_ci_u32_e32 v8, vcc_lo, 0, v8, vcc_lo
                                        ; implicit-def: $vgpr1
	s_delay_alu instid0(VALU_DEP_3)
	v_cmpx_ne_u32_e32 0, v9
	s_xor_b32 s2, exec_lo, s2
; %bb.16:                               ;   in Loop: Header=BB58_10 Depth=1
	s_delay_alu instid0(VALU_DEP_2) | instskip(SKIP_1) | instid1(VALU_DEP_1)
	v_cmp_lt_u64_e32 vcc_lo, 0xffffff, v[7:8]
	v_add_nc_u32_e32 v1, 7, v10
	v_cndmask_b32_e32 v1, v9, v1, vcc_lo
	v_cndmask_b32_e64 v9, 0, 1, vcc_lo
	s_delay_alu instid0(VALU_DEP_1)
	v_lshrrev_b64 v[7:8], v9, v[7:8]
; %bb.17:                               ;   in Loop: Header=BB58_10 Depth=1
	s_and_not1_saveexec_b32 s2, s2
; %bb.18:                               ;   in Loop: Header=BB58_10 Depth=1
	s_delay_alu instid0(VALU_DEP_1)
	v_bfe_u32 v1, v7, 23, 1
; %bb.19:                               ;   in Loop: Header=BB58_10 Depth=1
	s_or_b32 exec_lo, exec_lo, s2
	s_delay_alu instid0(VALU_DEP_2) | instskip(NEXT) | instid1(VALU_DEP_2)
	v_lshrrev_b64 v[7:8], 20, v[7:8]
	v_cmp_gt_i32_e32 vcc_lo, 16, v1
	v_cmp_ne_u32_e64 s2, 0, v1
	s_delay_alu instid0(VALU_DEP_3) | instskip(NEXT) | instid1(VALU_DEP_1)
	v_dual_cndmask_b32 v8, 0, v8 :: v_dual_cndmask_b32 v7, 7, v7
	v_cmp_ne_u64_e32 vcc_lo, 0, v[7:8]
                                        ; implicit-def: $vgpr8
	s_delay_alu instid0(VALU_DEP_3) | instskip(NEXT) | instid1(SALU_CYCLE_1)
	s_or_b32 s2, s2, vcc_lo
	s_and_saveexec_b32 s44, s2
	s_delay_alu instid0(SALU_CYCLE_1)
	s_xor_b32 s2, exec_lo, s44
; %bb.20:                               ;   in Loop: Header=BB58_10 Depth=1
	v_min_i32_e32 v1, 15, v1
	s_delay_alu instid0(VALU_DEP_1) | instskip(NEXT) | instid1(VALU_DEP_1)
	v_lshl_or_b32 v1, v1, 3, v12
                                        ; implicit-def: $vgpr12
	v_and_or_b32 v8, v7, 7, v1
; %bb.21:                               ;   in Loop: Header=BB58_10 Depth=1
	s_and_not1_saveexec_b32 s2, s2
; %bb.22:                               ;   in Loop: Header=BB58_10 Depth=1
	v_mov_b32_e32 v8, v12
; %bb.23:                               ;   in Loop: Header=BB58_10 Depth=1
	s_or_b32 exec_lo, exec_lo, s2
.LBB58_24:                              ;   in Loop: Header=BB58_10 Depth=1
	s_delay_alu instid0(SALU_CYCLE_1)
	s_or_b32 exec_lo, exec_lo, s43
.LBB58_25:                              ;   in Loop: Header=BB58_10 Depth=1
	s_and_not1_saveexec_b32 s2, s42
	s_delay_alu instid0(SALU_CYCLE_1)
	s_or_b32 exec_lo, exec_lo, s2
                                        ; implicit-def: $vgpr9
.LBB58_26:                              ;   in Loop: Header=BB58_10 Depth=1
	s_and_not1_saveexec_b32 s2, s41
; %bb.27:                               ;   in Loop: Header=BB58_10 Depth=1
	v_cmp_eq_u64_e32 vcc_lo, 0, v[1:2]
	v_or_b32_e32 v7, 0x7f, v9
	s_delay_alu instid0(VALU_DEP_1)
	v_cndmask_b32_e32 v8, v7, v8, vcc_lo
; %bb.28:                               ;   in Loop: Header=BB58_10 Depth=1
	s_or_b32 exec_lo, exec_lo, s2
	v_div_scale_f32 v1, null, s34, s34, v11
	v_div_scale_f32 v10, vcc_lo, v11, s34, v11
	v_add_co_u32 v14, s2, s36, v0
	s_delay_alu instid0(VALU_DEP_3) | instskip(SKIP_4) | instid1(VALU_DEP_1)
	v_rcp_f32_e32 v7, v1
	v_add_co_ci_u32_e64 v15, null, s37, 0, s2
	s_mov_b32 s2, exec_lo
	global_store_b8 v[14:15], v8, off
	v_fma_f32 v9, -v1, v7, 1.0
	v_fmac_f32_e32 v7, v9, v7
	s_delay_alu instid0(VALU_DEP_1) | instskip(NEXT) | instid1(VALU_DEP_1)
	v_mul_f32_e32 v9, v10, v7
	v_fma_f32 v12, -v1, v9, v10
	s_delay_alu instid0(VALU_DEP_1) | instskip(NEXT) | instid1(VALU_DEP_1)
	v_fmac_f32_e32 v9, v12, v7
	v_fma_f32 v1, -v1, v9, v10
	s_delay_alu instid0(VALU_DEP_1) | instskip(NEXT) | instid1(VALU_DEP_1)
	v_div_fmas_f32 v1, v1, v7, v9
	v_div_fixup_f32 v7, v1, s34, v11
	s_delay_alu instid0(VALU_DEP_1) | instskip(SKIP_2) | instid1(VALU_DEP_2)
	v_dual_mov_b32 v13, v2 :: v_dual_and_b32 v12, 0x7f800000, v7
	v_lshrrev_b32_e32 v10, 24, v7
	v_and_b32_e32 v1, 0x7fffff, v7
	v_and_b32_e32 v11, 0x80, v10
	s_delay_alu instid0(VALU_DEP_1)
	v_or_b32_e32 v9, 0x7e, v11
	v_cmpx_ne_u64_e32 0x7f800000, v[12:13]
	s_xor_b32 s41, exec_lo, s2
	s_cbranch_execz .LBB58_44
; %bb.29:                               ;   in Loop: Header=BB58_10 Depth=1
	v_dual_mov_b32 v13, v2 :: v_dual_and_b32 v12, 0x7fffffff, v7
	s_mov_b32 s2, exec_lo
	s_delay_alu instid0(VALU_DEP_1)
	v_cmpx_gt_u64_e32 0x43e00001, v[12:13]
	s_xor_b32 s42, exec_lo, s2
	s_cbranch_execz .LBB58_43
; %bb.30:                               ;   in Loop: Header=BB58_10 Depth=1
	v_mov_b32_e32 v9, 0
	s_mov_b32 s43, exec_lo
	v_cmpx_ne_u32_e32 0, v7
	s_cbranch_execz .LBB58_42
; %bb.31:                               ;   in Loop: Header=BB58_10 Depth=1
	v_bfe_u32 v12, v7, 23, 8
	v_or_b32_e32 v9, 0x800000, v1
	s_delay_alu instid0(VALU_DEP_2) | instskip(SKIP_1) | instid1(VALU_DEP_2)
	v_sub_nc_u32_e32 v7, 0x79, v12
	v_cmp_gt_u32_e32 vcc_lo, 0x7a, v12
	v_cndmask_b32_e32 v7, 0, v7, vcc_lo
	v_cmp_eq_u32_e32 vcc_lo, 0, v12
	s_delay_alu instid0(VALU_DEP_2) | instskip(SKIP_1) | instid1(VALU_DEP_2)
	v_cndmask_b32_e64 v13, v7, 0x78, vcc_lo
	v_cndmask_b32_e32 v1, v9, v1, vcc_lo
	v_add_nc_u32_e32 v7, 20, v13
	v_add_nc_u32_e32 v9, 19, v13
	s_delay_alu instid0(VALU_DEP_2) | instskip(NEXT) | instid1(VALU_DEP_2)
	v_lshlrev_b64 v[7:8], v7, -1
	v_lshlrev_b64 v[9:10], v9, 1
	s_delay_alu instid0(VALU_DEP_2) | instskip(NEXT) | instid1(VALU_DEP_3)
	v_not_b32_e32 v8, v8
	v_not_b32_e32 v7, v7
	s_delay_alu instid0(VALU_DEP_2) | instskip(NEXT) | instid1(VALU_DEP_2)
	v_and_b32_e32 v15, 0, v8
	v_and_b32_e32 v14, v1, v7
	v_lshrrev_b64 v[7:8], v13, v[1:2]
	s_delay_alu instid0(VALU_DEP_2) | instskip(NEXT) | instid1(VALU_DEP_2)
	v_cmp_eq_u64_e64 s2, v[14:15], v[9:10]
	v_dual_mov_b32 v10, v8 :: v_dual_mov_b32 v9, v7
	s_delay_alu instid0(VALU_DEP_2)
	s_and_saveexec_b32 s44, s2
; %bb.32:                               ;   in Loop: Header=BB58_10 Depth=1
	v_bfe_u32 v1, v7, 20, 1
	s_delay_alu instid0(VALU_DEP_1) | instskip(NEXT) | instid1(VALU_DEP_1)
	v_add_co_u32 v1, s2, v7, v1
	v_add_co_u32 v9, s2, v1, -1
; %bb.33:                               ;   in Loop: Header=BB58_10 Depth=1
	s_or_b32 exec_lo, exec_lo, s44
	v_add_nc_u32_e32 v1, 0xffffff81, v12
	v_lshrrev_b32_e32 v10, 23, v7
	s_mov_b32 s2, exec_lo
	s_delay_alu instid0(VALU_DEP_2) | instskip(NEXT) | instid1(VALU_DEP_1)
	v_cndmask_b32_e64 v1, v1, 0xffffff82, vcc_lo
	v_add3_u32 v10, v13, v1, v10
	v_and_b32_e32 v1, 0xfffff, v9
	s_delay_alu instid0(VALU_DEP_2) | instskip(NEXT) | instid1(VALU_DEP_2)
	v_add_nc_u32_e32 v9, 6, v10
	v_add_co_u32 v7, vcc_lo, v1, v7
	v_add_co_ci_u32_e32 v8, vcc_lo, 0, v8, vcc_lo
                                        ; implicit-def: $vgpr1
	s_delay_alu instid0(VALU_DEP_3)
	v_cmpx_ne_u32_e32 0, v9
	s_xor_b32 s2, exec_lo, s2
; %bb.34:                               ;   in Loop: Header=BB58_10 Depth=1
	s_delay_alu instid0(VALU_DEP_2) | instskip(SKIP_1) | instid1(VALU_DEP_1)
	v_cmp_lt_u64_e32 vcc_lo, 0xffffff, v[7:8]
	v_add_nc_u32_e32 v1, 7, v10
	v_cndmask_b32_e32 v1, v9, v1, vcc_lo
	v_cndmask_b32_e64 v9, 0, 1, vcc_lo
	s_delay_alu instid0(VALU_DEP_1)
	v_lshrrev_b64 v[7:8], v9, v[7:8]
; %bb.35:                               ;   in Loop: Header=BB58_10 Depth=1
	s_and_not1_saveexec_b32 s2, s2
; %bb.36:                               ;   in Loop: Header=BB58_10 Depth=1
	s_delay_alu instid0(VALU_DEP_1)
	v_bfe_u32 v1, v7, 23, 1
; %bb.37:                               ;   in Loop: Header=BB58_10 Depth=1
	s_or_b32 exec_lo, exec_lo, s2
	s_delay_alu instid0(VALU_DEP_2) | instskip(NEXT) | instid1(VALU_DEP_2)
	v_lshrrev_b64 v[7:8], 20, v[7:8]
	v_cmp_gt_i32_e32 vcc_lo, 16, v1
	v_cmp_ne_u32_e64 s2, 0, v1
                                        ; implicit-def: $vgpr9
	s_delay_alu instid0(VALU_DEP_3) | instskip(NEXT) | instid1(VALU_DEP_1)
	v_dual_cndmask_b32 v8, 0, v8 :: v_dual_cndmask_b32 v7, 7, v7
	v_cmp_ne_u64_e32 vcc_lo, 0, v[7:8]
	s_delay_alu instid0(VALU_DEP_3) | instskip(NEXT) | instid1(SALU_CYCLE_1)
	s_or_b32 s2, s2, vcc_lo
	s_and_saveexec_b32 s44, s2
	s_delay_alu instid0(SALU_CYCLE_1)
	s_xor_b32 s2, exec_lo, s44
; %bb.38:                               ;   in Loop: Header=BB58_10 Depth=1
	v_min_i32_e32 v1, 15, v1
	s_delay_alu instid0(VALU_DEP_1) | instskip(NEXT) | instid1(VALU_DEP_1)
	v_lshl_or_b32 v1, v1, 3, v11
                                        ; implicit-def: $vgpr11
	v_and_or_b32 v9, v7, 7, v1
; %bb.39:                               ;   in Loop: Header=BB58_10 Depth=1
	s_and_not1_saveexec_b32 s2, s2
; %bb.40:                               ;   in Loop: Header=BB58_10 Depth=1
	v_mov_b32_e32 v9, v11
; %bb.41:                               ;   in Loop: Header=BB58_10 Depth=1
	s_or_b32 exec_lo, exec_lo, s2
.LBB58_42:                              ;   in Loop: Header=BB58_10 Depth=1
	s_delay_alu instid0(SALU_CYCLE_1)
	s_or_b32 exec_lo, exec_lo, s43
.LBB58_43:                              ;   in Loop: Header=BB58_10 Depth=1
	s_and_not1_saveexec_b32 s2, s42
	s_delay_alu instid0(SALU_CYCLE_1)
	s_or_b32 exec_lo, exec_lo, s2
                                        ; implicit-def: $vgpr10
.LBB58_44:                              ;   in Loop: Header=BB58_10 Depth=1
	s_and_not1_saveexec_b32 s2, s41
	s_cbranch_execz .LBB58_9
; %bb.45:                               ;   in Loop: Header=BB58_10 Depth=1
	v_cmp_eq_u64_e32 vcc_lo, 0, v[1:2]
	v_or_b32_e32 v7, 0x7f, v10
	s_delay_alu instid0(VALU_DEP_1)
	v_cndmask_b32_e32 v9, v7, v9, vcc_lo
	s_branch .LBB58_9
.LBB58_46:
	s_or_b32 exec_lo, exec_lo, s33
	s_delay_alu instid0(SALU_CYCLE_1)
	s_mov_b32 s2, exec_lo
	v_cmpx_gt_i32_e64 s6, v0
	s_cbranch_execz .LBB58_67
; %bb.47:
	s_mul_i32 s3, s16, s11
	s_mul_hi_u32 s8, s16, s10
	s_mul_i32 s2, s16, s10
	s_add_i32 s3, s8, s3
	s_load_b32 s0, s[0:1], 0x8c
	s_lshl_b64 s[2:3], s[2:3], 2
	v_mov_b32_e32 v3, 0
	s_add_u32 s1, s14, s2
	s_addc_u32 s2, s15, s3
	s_waitcnt lgkmcnt(0)
	s_load_b32 s3, s[24:25], 0x0
	s_ashr_i32 s4, s4, 31
	s_delay_alu instid0(SALU_CYCLE_1) | instskip(NEXT) | instid1(SALU_CYCLE_1)
	s_mul_i32 s4, s22, s4
	s_add_i32 s4, s29, s4
	s_delay_alu instid0(SALU_CYCLE_1) | instskip(SKIP_3) | instid1(SALU_CYCLE_1)
	s_add_i32 s4, s4, s30
	s_add_u32 s8, s18, s31
	s_addc_u32 s9, s19, s4
	s_ashr_i32 s4, s5, 31
	s_mul_i32 s7, s7, s4
	s_delay_alu instid0(SALU_CYCLE_1) | instskip(NEXT) | instid1(SALU_CYCLE_1)
	s_add_i32 s4, s28, s7
	s_add_i32 s5, s4, s17
	s_add_u32 s4, s8, s23
	s_addc_u32 s5, s9, s5
	s_and_b32 s7, s0, 0xffff
	s_mov_b32 s8, 0
	s_branch .LBB58_49
.LBB58_48:                              ;   in Loop: Header=BB58_49 Depth=1
	s_or_b32 exec_lo, exec_lo, s0
	v_add_co_u32 v6, vcc_lo, s4, v0
	v_add_nc_u32_e32 v0, s7, v0
	v_add_co_ci_u32_e32 v7, vcc_lo, s5, v1, vcc_lo
	s_delay_alu instid0(VALU_DEP_2) | instskip(SKIP_2) | instid1(SALU_CYCLE_1)
	v_cmp_le_i32_e32 vcc_lo, s6, v0
	global_store_b8 v[6:7], v5, off
	s_or_b32 s8, vcc_lo, s8
	s_and_not1_b32 exec_lo, exec_lo, s8
	s_cbranch_execz .LBB58_67
.LBB58_49:                              ; =>This Inner Loop Header: Depth=1
	v_ashrrev_i32_e32 v1, 31, v0
	s_mov_b32 s0, exec_lo
	v_mov_b32_e32 v10, v3
	s_delay_alu instid0(VALU_DEP_2) | instskip(NEXT) | instid1(VALU_DEP_1)
	v_lshlrev_b64 v[4:5], 2, v[0:1]
	v_add_co_u32 v4, vcc_lo, s1, v4
	s_delay_alu instid0(VALU_DEP_2) | instskip(SKIP_3) | instid1(VALU_DEP_1)
	v_add_co_ci_u32_e32 v5, vcc_lo, s2, v5, vcc_lo
	global_load_b32 v2, v[4:5], off
	s_waitcnt vmcnt(0) lgkmcnt(0)
	v_div_scale_f32 v4, null, s3, s3, v2
	v_rcp_f32_e32 v5, v4
	s_waitcnt_depctr 0xfff
	v_fma_f32 v6, -v4, v5, 1.0
	s_delay_alu instid0(VALU_DEP_1) | instskip(SKIP_1) | instid1(VALU_DEP_1)
	v_fmac_f32_e32 v5, v6, v5
	v_div_scale_f32 v6, vcc_lo, v2, s3, v2
	v_mul_f32_e32 v7, v6, v5
	s_delay_alu instid0(VALU_DEP_1) | instskip(NEXT) | instid1(VALU_DEP_1)
	v_fma_f32 v8, -v4, v7, v6
	v_fmac_f32_e32 v7, v8, v5
	s_delay_alu instid0(VALU_DEP_1) | instskip(NEXT) | instid1(VALU_DEP_1)
	v_fma_f32 v4, -v4, v7, v6
	v_div_fmas_f32 v4, v4, v5, v7
	s_delay_alu instid0(VALU_DEP_1) | instskip(NEXT) | instid1(VALU_DEP_1)
	v_div_fixup_f32 v4, v4, s3, v2
	v_and_b32_e32 v2, 0x7fffff, v4
	v_lshrrev_b32_e32 v6, 24, v4
	v_and_b32_e32 v9, 0x7f800000, v4
	s_delay_alu instid0(VALU_DEP_2) | instskip(NEXT) | instid1(VALU_DEP_1)
	v_and_b32_e32 v8, 0x80, v6
	v_or_b32_e32 v5, 0x7e, v8
	s_delay_alu instid0(VALU_DEP_3)
	v_cmpx_ne_u64_e32 0x7f800000, v[9:10]
	s_xor_b32 s9, exec_lo, s0
	s_cbranch_execz .LBB58_65
; %bb.50:                               ;   in Loop: Header=BB58_49 Depth=1
	v_dual_mov_b32 v7, v3 :: v_dual_and_b32 v6, 0x7fffffff, v4
	s_mov_b32 s0, exec_lo
	s_delay_alu instid0(VALU_DEP_1)
	v_cmpx_gt_u64_e32 0x43e00001, v[6:7]
	s_xor_b32 s10, exec_lo, s0
	s_cbranch_execz .LBB58_64
; %bb.51:                               ;   in Loop: Header=BB58_49 Depth=1
	v_mov_b32_e32 v5, 0
	s_mov_b32 s11, exec_lo
	v_cmpx_ne_u32_e32 0, v4
	s_cbranch_execz .LBB58_63
; %bb.52:                               ;   in Loop: Header=BB58_49 Depth=1
	v_bfe_u32 v9, v4, 23, 8
	v_or_b32_e32 v6, 0x800000, v2
	s_delay_alu instid0(VALU_DEP_2) | instskip(SKIP_1) | instid1(VALU_DEP_2)
	v_sub_nc_u32_e32 v4, 0x79, v9
	v_cmp_gt_u32_e32 vcc_lo, 0x7a, v9
	v_cndmask_b32_e32 v4, 0, v4, vcc_lo
	v_cmp_eq_u32_e32 vcc_lo, 0, v9
	s_delay_alu instid0(VALU_DEP_2) | instskip(SKIP_1) | instid1(VALU_DEP_2)
	v_cndmask_b32_e64 v10, v4, 0x78, vcc_lo
	v_cndmask_b32_e32 v2, v6, v2, vcc_lo
	v_add_nc_u32_e32 v4, 20, v10
	v_add_nc_u32_e32 v6, 19, v10
	s_delay_alu instid0(VALU_DEP_2) | instskip(NEXT) | instid1(VALU_DEP_2)
	v_lshlrev_b64 v[4:5], v4, -1
	v_lshlrev_b64 v[6:7], v6, 1
	s_delay_alu instid0(VALU_DEP_2) | instskip(NEXT) | instid1(VALU_DEP_3)
	v_not_b32_e32 v5, v5
	v_not_b32_e32 v4, v4
	s_delay_alu instid0(VALU_DEP_2) | instskip(NEXT) | instid1(VALU_DEP_2)
	v_and_b32_e32 v12, 0, v5
	v_and_b32_e32 v11, v2, v4
	v_lshrrev_b64 v[4:5], v10, v[2:3]
	s_delay_alu instid0(VALU_DEP_2) | instskip(NEXT) | instid1(VALU_DEP_2)
	v_cmp_eq_u64_e64 s0, v[11:12], v[6:7]
	v_dual_mov_b32 v7, v5 :: v_dual_mov_b32 v6, v4
	s_delay_alu instid0(VALU_DEP_2)
	s_and_saveexec_b32 s12, s0
; %bb.53:                               ;   in Loop: Header=BB58_49 Depth=1
	v_bfe_u32 v2, v4, 20, 1
	s_delay_alu instid0(VALU_DEP_1) | instskip(NEXT) | instid1(VALU_DEP_1)
	v_add_co_u32 v2, s0, v4, v2
	v_add_co_u32 v6, s0, v2, -1
; %bb.54:                               ;   in Loop: Header=BB58_49 Depth=1
	s_or_b32 exec_lo, exec_lo, s12
	v_add_nc_u32_e32 v2, 0xffffff81, v9
	v_lshrrev_b32_e32 v7, 23, v4
	s_mov_b32 s0, exec_lo
	s_delay_alu instid0(VALU_DEP_2) | instskip(NEXT) | instid1(VALU_DEP_1)
	v_cndmask_b32_e64 v2, v2, 0xffffff82, vcc_lo
	v_add3_u32 v7, v10, v2, v7
	v_and_b32_e32 v2, 0xfffff, v6
	s_delay_alu instid0(VALU_DEP_2) | instskip(NEXT) | instid1(VALU_DEP_2)
	v_add_nc_u32_e32 v6, 6, v7
	v_add_co_u32 v4, vcc_lo, v2, v4
	v_add_co_ci_u32_e32 v5, vcc_lo, 0, v5, vcc_lo
                                        ; implicit-def: $vgpr2
	s_delay_alu instid0(VALU_DEP_3)
	v_cmpx_ne_u32_e32 0, v6
	s_xor_b32 s0, exec_lo, s0
; %bb.55:                               ;   in Loop: Header=BB58_49 Depth=1
	s_delay_alu instid0(VALU_DEP_2) | instskip(SKIP_1) | instid1(VALU_DEP_1)
	v_cmp_lt_u64_e32 vcc_lo, 0xffffff, v[4:5]
	v_add_nc_u32_e32 v2, 7, v7
	v_cndmask_b32_e32 v2, v6, v2, vcc_lo
	v_cndmask_b32_e64 v6, 0, 1, vcc_lo
	s_delay_alu instid0(VALU_DEP_1)
	v_lshrrev_b64 v[4:5], v6, v[4:5]
; %bb.56:                               ;   in Loop: Header=BB58_49 Depth=1
	s_and_not1_saveexec_b32 s0, s0
; %bb.57:                               ;   in Loop: Header=BB58_49 Depth=1
	s_delay_alu instid0(VALU_DEP_1)
	v_bfe_u32 v2, v4, 23, 1
; %bb.58:                               ;   in Loop: Header=BB58_49 Depth=1
	s_or_b32 exec_lo, exec_lo, s0
	s_delay_alu instid0(VALU_DEP_2) | instskip(NEXT) | instid1(VALU_DEP_2)
	v_lshrrev_b64 v[4:5], 20, v[4:5]
	v_cmp_gt_i32_e32 vcc_lo, 16, v2
	v_cmp_ne_u32_e64 s0, 0, v2
	s_delay_alu instid0(VALU_DEP_3) | instskip(NEXT) | instid1(VALU_DEP_1)
	v_dual_cndmask_b32 v5, 0, v5 :: v_dual_cndmask_b32 v4, 7, v4
	v_cmp_ne_u64_e32 vcc_lo, 0, v[4:5]
                                        ; implicit-def: $vgpr5
	s_delay_alu instid0(VALU_DEP_3) | instskip(NEXT) | instid1(SALU_CYCLE_1)
	s_or_b32 s0, s0, vcc_lo
	s_and_saveexec_b32 s12, s0
	s_delay_alu instid0(SALU_CYCLE_1)
	s_xor_b32 s0, exec_lo, s12
; %bb.59:                               ;   in Loop: Header=BB58_49 Depth=1
	v_min_i32_e32 v2, 15, v2
	s_delay_alu instid0(VALU_DEP_1) | instskip(NEXT) | instid1(VALU_DEP_1)
	v_lshl_or_b32 v2, v2, 3, v8
                                        ; implicit-def: $vgpr8
	v_and_or_b32 v5, v4, 7, v2
; %bb.60:                               ;   in Loop: Header=BB58_49 Depth=1
	s_and_not1_saveexec_b32 s0, s0
; %bb.61:                               ;   in Loop: Header=BB58_49 Depth=1
	v_mov_b32_e32 v5, v8
; %bb.62:                               ;   in Loop: Header=BB58_49 Depth=1
	s_or_b32 exec_lo, exec_lo, s0
.LBB58_63:                              ;   in Loop: Header=BB58_49 Depth=1
	s_delay_alu instid0(SALU_CYCLE_1)
	s_or_b32 exec_lo, exec_lo, s11
.LBB58_64:                              ;   in Loop: Header=BB58_49 Depth=1
	s_and_not1_saveexec_b32 s0, s10
	s_delay_alu instid0(SALU_CYCLE_1)
	s_or_b32 exec_lo, exec_lo, s0
                                        ; implicit-def: $vgpr6
.LBB58_65:                              ;   in Loop: Header=BB58_49 Depth=1
	s_and_not1_saveexec_b32 s0, s9
	s_cbranch_execz .LBB58_48
; %bb.66:                               ;   in Loop: Header=BB58_49 Depth=1
	v_cmp_eq_u64_e32 vcc_lo, 0, v[2:3]
	v_or_b32_e32 v4, 0x7f, v6
	s_delay_alu instid0(VALU_DEP_1)
	v_cndmask_b32_e32 v5, v4, v5, vcc_lo
	s_branch .LBB58_48
.LBB58_67:
	s_nop 0
	s_sendmsg sendmsg(MSG_DEALLOC_VGPRS)
	s_endpgm
.LBB58_68:
                                        ; implicit-def: $sgpr22_sgpr23
	s_branch .LBB58_6
	.section	.rodata,"a",@progbits
	.p2align	6, 0x0
	.amdhsa_kernel _ZN4vllm38concat_and_cache_mla_rope_fused_kernelIfN3c108BFloat16ELb1EfhLNS_18Fp8KVCacheDataTypeE1EEEvPKlPT_S7_PKS6_PKT0_illlliPT3_S5_iiiiPKf
		.amdhsa_group_segment_fixed_size 0
		.amdhsa_private_segment_fixed_size 0
		.amdhsa_kernarg_size 384
		.amdhsa_user_sgpr_count 15
		.amdhsa_user_sgpr_dispatch_ptr 0
		.amdhsa_user_sgpr_queue_ptr 0
		.amdhsa_user_sgpr_kernarg_segment_ptr 1
		.amdhsa_user_sgpr_dispatch_id 0
		.amdhsa_user_sgpr_private_segment_size 0
		.amdhsa_wavefront_size32 1
		.amdhsa_uses_dynamic_stack 0
		.amdhsa_enable_private_segment 0
		.amdhsa_system_sgpr_workgroup_id_x 1
		.amdhsa_system_sgpr_workgroup_id_y 0
		.amdhsa_system_sgpr_workgroup_id_z 0
		.amdhsa_system_sgpr_workgroup_info 0
		.amdhsa_system_vgpr_workitem_id 0
		.amdhsa_next_free_vgpr 19
		.amdhsa_next_free_sgpr 45
		.amdhsa_reserve_vcc 1
		.amdhsa_float_round_mode_32 0
		.amdhsa_float_round_mode_16_64 0
		.amdhsa_float_denorm_mode_32 3
		.amdhsa_float_denorm_mode_16_64 3
		.amdhsa_dx10_clamp 1
		.amdhsa_ieee_mode 1
		.amdhsa_fp16_overflow 0
		.amdhsa_workgroup_processor_mode 1
		.amdhsa_memory_ordered 1
		.amdhsa_forward_progress 0
		.amdhsa_shared_vgpr_count 0
		.amdhsa_exception_fp_ieee_invalid_op 0
		.amdhsa_exception_fp_denorm_src 0
		.amdhsa_exception_fp_ieee_div_zero 0
		.amdhsa_exception_fp_ieee_overflow 0
		.amdhsa_exception_fp_ieee_underflow 0
		.amdhsa_exception_fp_ieee_inexact 0
		.amdhsa_exception_int_div_zero 0
	.end_amdhsa_kernel
	.section	.text._ZN4vllm38concat_and_cache_mla_rope_fused_kernelIfN3c108BFloat16ELb1EfhLNS_18Fp8KVCacheDataTypeE1EEEvPKlPT_S7_PKS6_PKT0_illlliPT3_S5_iiiiPKf,"axG",@progbits,_ZN4vllm38concat_and_cache_mla_rope_fused_kernelIfN3c108BFloat16ELb1EfhLNS_18Fp8KVCacheDataTypeE1EEEvPKlPT_S7_PKS6_PKT0_illlliPT3_S5_iiiiPKf,comdat
.Lfunc_end58:
	.size	_ZN4vllm38concat_and_cache_mla_rope_fused_kernelIfN3c108BFloat16ELb1EfhLNS_18Fp8KVCacheDataTypeE1EEEvPKlPT_S7_PKS6_PKT0_illlliPT3_S5_iiiiPKf, .Lfunc_end58-_ZN4vllm38concat_and_cache_mla_rope_fused_kernelIfN3c108BFloat16ELb1EfhLNS_18Fp8KVCacheDataTypeE1EEEvPKlPT_S7_PKS6_PKT0_illlliPT3_S5_iiiiPKf
                                        ; -- End function
	.section	.AMDGPU.csdata,"",@progbits
; Kernel info:
; codeLenInByte = 4420
; NumSgprs: 47
; NumVgprs: 19
; ScratchSize: 0
; MemoryBound: 0
; FloatMode: 240
; IeeeMode: 1
; LDSByteSize: 0 bytes/workgroup (compile time only)
; SGPRBlocks: 5
; VGPRBlocks: 2
; NumSGPRsForWavesPerEU: 47
; NumVGPRsForWavesPerEU: 19
; Occupancy: 16
; WaveLimiterHint : 1
; COMPUTE_PGM_RSRC2:SCRATCH_EN: 0
; COMPUTE_PGM_RSRC2:USER_SGPR: 15
; COMPUTE_PGM_RSRC2:TRAP_HANDLER: 0
; COMPUTE_PGM_RSRC2:TGID_X_EN: 1
; COMPUTE_PGM_RSRC2:TGID_Y_EN: 0
; COMPUTE_PGM_RSRC2:TGID_Z_EN: 0
; COMPUTE_PGM_RSRC2:TIDIG_COMP_CNT: 0
	.section	.text._ZN4vllm38concat_and_cache_mla_rope_fused_kernelIfN3c108BFloat16ELb0EfhLNS_18Fp8KVCacheDataTypeE1EEEvPKlPT_S7_PKS6_PKT0_illlliPT3_S5_iiiiPKf,"axG",@progbits,_ZN4vllm38concat_and_cache_mla_rope_fused_kernelIfN3c108BFloat16ELb0EfhLNS_18Fp8KVCacheDataTypeE1EEEvPKlPT_S7_PKS6_PKT0_illlliPT3_S5_iiiiPKf,comdat
	.protected	_ZN4vllm38concat_and_cache_mla_rope_fused_kernelIfN3c108BFloat16ELb0EfhLNS_18Fp8KVCacheDataTypeE1EEEvPKlPT_S7_PKS6_PKT0_illlliPT3_S5_iiiiPKf ; -- Begin function _ZN4vllm38concat_and_cache_mla_rope_fused_kernelIfN3c108BFloat16ELb0EfhLNS_18Fp8KVCacheDataTypeE1EEEvPKlPT_S7_PKS6_PKT0_illlliPT3_S5_iiiiPKf
	.globl	_ZN4vllm38concat_and_cache_mla_rope_fused_kernelIfN3c108BFloat16ELb0EfhLNS_18Fp8KVCacheDataTypeE1EEEvPKlPT_S7_PKS6_PKT0_illlliPT3_S5_iiiiPKf
	.p2align	8
	.type	_ZN4vllm38concat_and_cache_mla_rope_fused_kernelIfN3c108BFloat16ELb0EfhLNS_18Fp8KVCacheDataTypeE1EEEvPKlPT_S7_PKS6_PKT0_illlliPT3_S5_iiiiPKf,@function
_ZN4vllm38concat_and_cache_mla_rope_fused_kernelIfN3c108BFloat16ELb0EfhLNS_18Fp8KVCacheDataTypeE1EEEvPKlPT_S7_PKS6_PKT0_illlliPT3_S5_iiiiPKf: ; @_ZN4vllm38concat_and_cache_mla_rope_fused_kernelIfN3c108BFloat16ELb0EfhLNS_18Fp8KVCacheDataTypeE1EEEvPKlPT_S7_PKS6_PKT0_illlliPT3_S5_iiiiPKf
; %bb.0:
	s_load_b64 s[4:5], s[0:1], 0x60
	s_mov_b32 s16, s15
	s_mov_b32 s17, 0
	s_delay_alu instid0(SALU_CYCLE_1)
	s_lshl_b64 s[2:3], s[16:17], 3
	s_waitcnt lgkmcnt(0)
	s_add_u32 s4, s4, s2
	s_addc_u32 s5, s5, s3
	s_load_b64 s[26:27], s[4:5], 0x0
	s_waitcnt lgkmcnt(0)
	v_cmp_lt_i64_e64 s4, s[26:27], 0
	s_delay_alu instid0(VALU_DEP_1)
	s_and_b32 vcc_lo, exec_lo, s4
	s_cbranch_vccnz .LBB59_67
; %bb.1:
	s_clause 0x3
	s_load_b32 s21, s[0:1], 0x28
	s_load_b64 s[4:5], s[0:1], 0x0
	s_load_b128 s[12:15], s[0:1], 0x10
	s_load_b32 s17, s[0:1], 0x50
	v_lshlrev_b32_e32 v3, 1, v0
	s_waitcnt lgkmcnt(0)
	s_ashr_i32 s24, s21, 31
	s_add_u32 s2, s4, s2
	s_addc_u32 s3, s5, s3
	s_lshr_b32 s20, s21, 31
	s_load_b64 s[22:23], s[2:3], 0x0
	s_clause 0x2
	s_load_b64 s[2:3], s[0:1], 0x20
	s_load_b64 s[18:19], s[0:1], 0x58
	s_load_b256 s[4:11], s[0:1], 0x30
	s_add_i32 s20, s21, s20
	s_delay_alu instid0(SALU_CYCLE_1) | instskip(NEXT) | instid1(SALU_CYCLE_1)
	s_ashr_i32 s20, s20, 1
	s_mul_i32 s17, s20, s17
	s_waitcnt lgkmcnt(0)
	s_mul_i32 s24, s22, s24
	s_mul_hi_u32 s25, s22, s21
	s_mul_i32 s23, s23, s21
	s_add_i32 s24, s25, s24
	s_mul_i32 s28, s22, s21
	s_add_i32 s29, s24, s23
	s_mov_b32 s22, exec_lo
	v_cmpx_gt_i32_e64 s17, v0
	s_cbranch_execz .LBB59_4
; %bb.2:
	s_clause 0x1
	s_load_b64 s[30:31], s[0:1], 0x8
	s_load_b32 s34, s[0:1], 0x8c
	s_lshl_b64 s[24:25], s[28:29], 1
	s_mul_i32 s5, s16, s5
	s_mul_hi_u32 s21, s16, s4
	s_add_u32 s23, s2, s24
	s_mul_i32 s4, s16, s4
	s_addc_u32 s24, s3, s25
	s_add_i32 s5, s21, s5
	s_ashr_i32 s21, s20, 31
	s_lshl_b64 s[4:5], s[4:5], 2
	s_mov_b32 s33, 0
	s_waitcnt lgkmcnt(0)
	s_add_u32 s25, s30, s4
	s_addc_u32 s30, s31, s5
	s_abs_i32 s31, s20
	s_and_b32 s34, s34, 0xffff
	v_cvt_f32_u32_e32 v1, s31
	s_sub_i32 s4, 0, s31
	s_sub_i32 s35, 0, s20
	s_lshl_b32 s37, s34, 1
	s_delay_alu instid0(VALU_DEP_1) | instskip(SKIP_2) | instid1(VALU_DEP_1)
	v_rcp_iflag_f32_e32 v1, v1
	s_waitcnt_depctr 0xfff
	v_mul_f32_e32 v1, 0x4f7ffffe, v1
	v_cvt_u32_f32_e32 v2, v1
	s_delay_alu instid0(VALU_DEP_1) | instskip(SKIP_1) | instid1(SALU_CYCLE_1)
	v_mul_lo_u32 v1, s4, v2
	s_lshl_b32 s4, s20, 1
	s_sub_i32 s36, 0, s4
	s_lshl_b64 s[4:5], s[20:21], 1
	s_delay_alu instid0(VALU_DEP_1) | instskip(NEXT) | instid1(VALU_DEP_1)
	v_mul_hi_u32 v4, v2, v1
	v_dual_mov_b32 v1, v3 :: v_dual_add_nc_u32 v4, v2, v4
	v_mov_b32_e32 v2, v0
.LBB59_3:                               ; =>This Inner Loop Header: Depth=1
	s_delay_alu instid0(VALU_DEP_1) | instskip(SKIP_1) | instid1(VALU_DEP_2)
	v_sub_nc_u32_e32 v5, 0, v2
	v_ashrrev_i32_e32 v6, 31, v2
	v_max_i32_e32 v5, v2, v5
	s_delay_alu instid0(VALU_DEP_2) | instskip(NEXT) | instid1(VALU_DEP_2)
	v_xor_b32_e32 v6, s21, v6
	v_mul_hi_u32 v7, v5, v4
	s_delay_alu instid0(VALU_DEP_1) | instskip(SKIP_1) | instid1(VALU_DEP_2)
	v_mul_lo_u32 v8, v7, s31
	v_add_nc_u32_e32 v9, 1, v7
	v_sub_nc_u32_e32 v5, v5, v8
	s_delay_alu instid0(VALU_DEP_1) | instskip(SKIP_1) | instid1(VALU_DEP_4)
	v_subrev_nc_u32_e32 v8, s31, v5
	v_cmp_le_u32_e32 vcc_lo, s31, v5
	v_cndmask_b32_e32 v7, v7, v9, vcc_lo
	s_delay_alu instid0(VALU_DEP_1) | instskip(NEXT) | instid1(VALU_DEP_1)
	v_dual_cndmask_b32 v5, v5, v8 :: v_dual_add_nc_u32 v8, 1, v7
	v_cmp_le_u32_e32 vcc_lo, s31, v5
	s_delay_alu instid0(VALU_DEP_2) | instskip(NEXT) | instid1(VALU_DEP_1)
	v_cndmask_b32_e32 v5, v7, v8, vcc_lo
	v_xor_b32_e32 v5, v5, v6
	s_delay_alu instid0(VALU_DEP_1) | instskip(NEXT) | instid1(VALU_DEP_1)
	v_sub_nc_u32_e32 v11, v5, v6
	v_mad_u64_u32 v[5:6], null, s35, v11, v[2:3]
	v_ashrrev_i32_e32 v6, 31, v11
	v_mul_lo_u32 v12, v11, s7
	v_mad_u64_u32 v[7:8], null, v11, s6, 0
	v_mad_u64_u32 v[9:10], null, s36, v11, v[1:2]
	s_delay_alu instid0(VALU_DEP_4) | instskip(SKIP_3) | instid1(VALU_DEP_3)
	v_mul_lo_u32 v11, v6, s6
	v_ashrrev_i32_e32 v6, 31, v5
	v_add_nc_u32_e32 v2, s34, v2
	v_add_nc_u32_e32 v1, s37, v1
	v_lshlrev_b64 v[5:6], 1, v[5:6]
	v_ashrrev_i32_e32 v10, 31, v9
	v_add3_u32 v8, v8, v12, v11
	s_delay_alu instid0(VALU_DEP_3) | instskip(NEXT) | instid1(VALU_DEP_2)
	v_add_co_u32 v5, vcc_lo, s23, v5
	v_lshlrev_b64 v[7:8], 2, v[7:8]
	v_add_co_ci_u32_e32 v6, vcc_lo, s24, v6, vcc_lo
	s_delay_alu instid0(VALU_DEP_3) | instskip(SKIP_1) | instid1(VALU_DEP_3)
	v_add_co_u32 v11, vcc_lo, v5, s4
	v_lshlrev_b64 v[9:10], 2, v[9:10]
	v_add_co_ci_u32_e32 v12, vcc_lo, s5, v6, vcc_lo
	v_add_co_u32 v7, vcc_lo, s25, v7
	v_add_co_ci_u32_e32 v8, vcc_lo, s30, v8, vcc_lo
	s_clause 0x1
	global_load_u16 v13, v[5:6], off
	global_load_u16 v11, v[11:12], off
	v_add_co_u32 v5, vcc_lo, v7, v9
	v_add_co_ci_u32_e32 v6, vcc_lo, v8, v10, vcc_lo
	v_cmp_le_i32_e32 vcc_lo, s17, v2
	global_load_b64 v[7:8], v[5:6], off
	s_or_b32 s33, vcc_lo, s33
	s_waitcnt vmcnt(1)
	v_lshlrev_b32_e32 v9, 16, v11
	v_lshlrev_b32_e32 v11, 16, v13
	s_waitcnt vmcnt(0)
	s_delay_alu instid0(VALU_DEP_2) | instskip(SKIP_1) | instid1(VALU_DEP_2)
	v_mul_f32_e32 v12, v8, v9
	v_mul_f32_e32 v10, v7, v9
	v_fma_f32 v9, v7, v11, -v12
	s_delay_alu instid0(VALU_DEP_2)
	v_fmac_f32_e32 v10, v8, v11
	global_store_b64 v[5:6], v[9:10], off
	s_and_not1_b32 exec_lo, exec_lo, s33
	s_cbranch_execnz .LBB59_3
.LBB59_4:
	s_or_b32 exec_lo, exec_lo, s22
	s_load_b128 s[4:7], s[0:1], 0x68
	s_waitcnt lgkmcnt(0)
	s_ashr_i32 s31, s7, 31
	s_mov_b32 s30, s7
	s_delay_alu instid0(SALU_CYCLE_1) | instskip(SKIP_1) | instid1(SALU_CYCLE_1)
	s_or_b64 s[24:25], s[26:27], s[30:31]
	s_mov_b32 s24, 0
	s_cmp_lg_u64 s[24:25], 0
	s_cbranch_scc0 .LBB59_68
; %bb.5:
	s_add_u32 s34, s30, s31
	s_mov_b32 s22, s31
	s_mov_b32 s23, s31
	s_addc_u32 s35, s31, s31
	s_delay_alu instid0(SALU_CYCLE_1) | instskip(NEXT) | instid1(SALU_CYCLE_1)
	s_xor_b64 s[34:35], s[34:35], s[22:23]
	v_cvt_f32_u32_e32 v1, s34
	v_cvt_f32_u32_e32 v2, s35
	s_sub_u32 s21, 0, s34
	s_subb_u32 s25, 0, s35
	s_delay_alu instid0(VALU_DEP_1) | instskip(NEXT) | instid1(VALU_DEP_1)
	v_fmamk_f32 v1, v2, 0x4f800000, v1
	v_rcp_f32_e32 v1, v1
	s_waitcnt_depctr 0xfff
	v_mul_f32_e32 v1, 0x5f7ffffc, v1
	s_delay_alu instid0(VALU_DEP_1) | instskip(NEXT) | instid1(VALU_DEP_1)
	v_mul_f32_e32 v2, 0x2f800000, v1
	v_trunc_f32_e32 v2, v2
	s_delay_alu instid0(VALU_DEP_1) | instskip(SKIP_1) | instid1(VALU_DEP_2)
	v_fmamk_f32 v1, v2, 0xcf800000, v1
	v_cvt_u32_f32_e32 v2, v2
	v_cvt_u32_f32_e32 v1, v1
	s_delay_alu instid0(VALU_DEP_2) | instskip(NEXT) | instid1(VALU_DEP_2)
	v_readfirstlane_b32 s7, v2
	v_readfirstlane_b32 s17, v1
	s_delay_alu instid0(VALU_DEP_2) | instskip(NEXT) | instid1(VALU_DEP_1)
	s_mul_i32 s33, s21, s7
	s_mul_hi_u32 s37, s21, s17
	s_mul_i32 s36, s25, s17
	s_add_i32 s33, s37, s33
	s_mul_i32 s38, s21, s17
	s_add_i32 s33, s33, s36
	s_mul_hi_u32 s37, s17, s38
	s_mul_hi_u32 s39, s7, s38
	s_mul_i32 s36, s7, s38
	s_mul_hi_u32 s38, s17, s33
	s_mul_i32 s17, s17, s33
	s_mul_hi_u32 s40, s7, s33
	s_add_u32 s17, s37, s17
	s_addc_u32 s37, 0, s38
	s_add_u32 s17, s17, s36
	s_mul_i32 s33, s7, s33
	s_addc_u32 s17, s37, s39
	s_addc_u32 s36, s40, 0
	s_add_u32 s17, s17, s33
	s_addc_u32 s33, 0, s36
	v_add_co_u32 v1, s17, v1, s17
	s_delay_alu instid0(VALU_DEP_1) | instskip(SKIP_1) | instid1(VALU_DEP_1)
	s_cmp_lg_u32 s17, 0
	s_addc_u32 s7, s7, s33
	v_readfirstlane_b32 s17, v1
	s_mul_i32 s33, s21, s7
	s_delay_alu instid0(VALU_DEP_1)
	s_mul_hi_u32 s36, s21, s17
	s_mul_i32 s25, s25, s17
	s_add_i32 s33, s36, s33
	s_mul_i32 s21, s21, s17
	s_add_i32 s33, s33, s25
	s_mul_hi_u32 s36, s7, s21
	s_mul_i32 s37, s7, s21
	s_mul_hi_u32 s21, s17, s21
	s_mul_hi_u32 s38, s17, s33
	s_mul_i32 s17, s17, s33
	s_mul_hi_u32 s25, s7, s33
	s_add_u32 s17, s21, s17
	s_addc_u32 s21, 0, s38
	s_add_u32 s17, s17, s37
	s_mul_i32 s33, s7, s33
	s_addc_u32 s17, s21, s36
	s_addc_u32 s21, s25, 0
	s_add_u32 s17, s17, s33
	s_addc_u32 s21, 0, s21
	v_add_co_u32 v1, s17, v1, s17
	s_delay_alu instid0(VALU_DEP_1) | instskip(SKIP_2) | instid1(VALU_DEP_1)
	s_cmp_lg_u32 s17, 0
	s_addc_u32 s7, s7, s21
	s_ashr_i32 s36, s27, 31
	v_readfirstlane_b32 s17, v1
	s_add_u32 s38, s26, s36
	s_mov_b32 s37, s36
	s_addc_u32 s39, s27, s36
	s_delay_alu instid0(SALU_CYCLE_1) | instskip(NEXT) | instid1(SALU_CYCLE_1)
	s_xor_b64 s[38:39], s[38:39], s[36:37]
	s_mul_i32 s25, s38, s7
	s_mul_hi_u32 s33, s38, s17
	s_mul_hi_u32 s21, s38, s7
	;; [unrolled: 1-line block ×3, first 2 shown]
	s_mul_i32 s17, s39, s17
	s_add_u32 s25, s33, s25
	s_addc_u32 s21, 0, s21
	s_mul_hi_u32 s40, s39, s7
	s_add_u32 s17, s25, s17
	s_mul_i32 s7, s39, s7
	s_addc_u32 s17, s21, s41
	s_addc_u32 s21, s40, 0
	s_add_u32 s7, s17, s7
	s_addc_u32 s17, 0, s21
	s_mul_hi_u32 s21, s34, s7
	s_mul_i32 s33, s34, s17
	s_mul_i32 s40, s34, s7
	s_add_i32 s21, s21, s33
	v_sub_co_u32 v1, s33, s38, s40
	s_mul_i32 s25, s35, s7
	s_delay_alu instid0(SALU_CYCLE_1) | instskip(NEXT) | instid1(VALU_DEP_1)
	s_add_i32 s21, s21, s25
	v_sub_co_u32 v2, s38, v1, s34
	s_sub_i32 s25, s39, s21
	s_cmp_lg_u32 s33, 0
	s_subb_u32 s25, s25, s35
	s_cmp_lg_u32 s38, 0
	v_readfirstlane_b32 s38, v2
	s_subb_u32 s25, s25, 0
	s_delay_alu instid0(SALU_CYCLE_1) | instskip(SKIP_1) | instid1(VALU_DEP_1)
	s_cmp_ge_u32 s25, s35
	s_cselect_b32 s40, -1, 0
	s_cmp_ge_u32 s38, s34
	s_cselect_b32 s38, -1, 0
	s_cmp_eq_u32 s25, s35
	s_cselect_b32 s25, s38, s40
	s_add_u32 s38, s7, 1
	s_addc_u32 s40, s17, 0
	s_add_u32 s41, s7, 2
	s_addc_u32 s42, s17, 0
	s_cmp_lg_u32 s25, 0
	s_cselect_b32 s25, s41, s38
	s_cselect_b32 s38, s42, s40
	s_cmp_lg_u32 s33, 0
	v_readfirstlane_b32 s33, v1
	s_subb_u32 s21, s39, s21
	s_delay_alu instid0(SALU_CYCLE_1) | instskip(SKIP_1) | instid1(VALU_DEP_1)
	s_cmp_ge_u32 s21, s35
	s_cselect_b32 s39, -1, 0
	s_cmp_ge_u32 s33, s34
	s_cselect_b32 s33, -1, 0
	s_cmp_eq_u32 s21, s35
	s_cselect_b32 s21, s33, s39
	s_delay_alu instid0(SALU_CYCLE_1) | instskip(SKIP_3) | instid1(SALU_CYCLE_1)
	s_cmp_lg_u32 s21, 0
	s_cselect_b32 s35, s38, s17
	s_cselect_b32 s34, s25, s7
	s_xor_b64 s[22:23], s[36:37], s[22:23]
	s_xor_b64 s[34:35], s[34:35], s[22:23]
	s_delay_alu instid0(SALU_CYCLE_1)
	s_sub_u32 s22, s34, s22
	s_subb_u32 s23, s35, s23
	s_and_not1_b32 vcc_lo, exec_lo, s24
	s_cbranch_vccnz .LBB59_7
.LBB59_6:
	v_cvt_f32_u32_e32 v1, s30
	s_sub_i32 s17, 0, s30
	s_mov_b32 s23, 0
	s_delay_alu instid0(VALU_DEP_1) | instskip(SKIP_2) | instid1(VALU_DEP_1)
	v_rcp_iflag_f32_e32 v1, v1
	s_waitcnt_depctr 0xfff
	v_mul_f32_e32 v1, 0x4f7ffffe, v1
	v_cvt_u32_f32_e32 v1, v1
	s_delay_alu instid0(VALU_DEP_1) | instskip(NEXT) | instid1(VALU_DEP_1)
	v_readfirstlane_b32 s7, v1
	s_mul_i32 s17, s17, s7
	s_delay_alu instid0(SALU_CYCLE_1) | instskip(NEXT) | instid1(SALU_CYCLE_1)
	s_mul_hi_u32 s17, s7, s17
	s_add_i32 s7, s7, s17
	s_delay_alu instid0(SALU_CYCLE_1) | instskip(NEXT) | instid1(SALU_CYCLE_1)
	s_mul_hi_u32 s7, s26, s7
	s_mul_i32 s17, s7, s30
	s_add_i32 s21, s7, 1
	s_sub_i32 s17, s26, s17
	s_delay_alu instid0(SALU_CYCLE_1)
	s_sub_i32 s22, s17, s30
	s_cmp_ge_u32 s17, s30
	s_cselect_b32 s7, s21, s7
	s_cselect_b32 s17, s22, s17
	s_add_i32 s21, s7, 1
	s_cmp_ge_u32 s17, s30
	s_cselect_b32 s22, s21, s7
.LBB59_7:
	s_load_b64 s[24:25], s[0:1], 0x78
	s_mul_i32 s7, s22, s31
	s_mul_hi_u32 s17, s22, s30
	s_mul_i32 s21, s22, s30
	s_add_i32 s7, s17, s7
	s_mul_i32 s17, s23, s30
	s_mul_i32 s30, s23, s4
	s_add_i32 s17, s7, s17
	s_sub_u32 s7, s26, s21
	s_subb_u32 s17, s27, s17
	s_mul_hi_u32 s27, s22, s4
	s_mul_i32 s31, s22, s4
	s_mul_hi_u32 s26, s7, s5
	s_mul_i32 s17, s17, s5
	s_mul_i32 s23, s7, s5
	s_mov_b32 s33, exec_lo
	v_cmpx_gt_i32_e64 s20, v0
	s_cbranch_execz .LBB59_46
; %bb.8:
	s_load_b32 s35, s[0:1], 0x8c
	s_ashr_i32 s38, s4, 31
	s_ashr_i32 s39, s5, 31
	s_lshl_b64 s[36:37], s[28:29], 1
	s_mul_i32 s28, s22, s38
	s_mul_i32 s29, s7, s39
	s_add_i32 s28, s27, s28
	s_add_i32 s29, s26, s29
	s_ashr_i32 s21, s20, 31
	s_ashr_i32 s40, s6, 31
	s_add_i32 s38, s28, s30
	s_add_i32 s29, s29, s17
	s_waitcnt lgkmcnt(0)
	s_load_b32 s34, s[24:25], 0x0
	s_mul_i32 s9, s9, s16
	v_lshlrev_b32_e32 v1, 3, v0
	v_mov_b32_e32 v17, v0
	s_and_b32 s28, s35, 0xffff
	s_add_u32 s2, s2, s36
	s_addc_u32 s35, s3, s37
	s_lshl_b32 s3, s28, 1
	s_lshl_b64 s[36:37], s[20:21], 1
	v_add_co_u32 v11, s2, s2, v3
	s_add_u32 s21, s31, s23
	v_add_co_ci_u32_e64 v12, null, s35, 0, s2
	s_addc_u32 s2, s38, s29
	s_add_u32 s29, s18, s6
	s_addc_u32 s35, s19, s40
	s_add_u32 s21, s29, s21
	s_mul_hi_u32 s29, s8, s16
	s_addc_u32 s2, s35, s2
	s_add_i32 s9, s29, s9
	s_mul_i32 s8, s8, s16
	v_add_co_u32 v2, s21, s21, v3
	s_lshl_b64 s[8:9], s[8:9], 2
	v_add_co_ci_u32_e64 v3, null, s2, 0, s21
	s_add_u32 s2, s12, s8
	v_add_co_u32 v13, vcc_lo, v11, s36
	s_addc_u32 s8, s13, s9
	v_add_co_u32 v1, s2, s2, v1
	v_add_co_ci_u32_e32 v14, vcc_lo, s37, v12, vcc_lo
	v_add_co_ci_u32_e64 v4, null, s8, 0, s2
	v_add_co_u32 v15, vcc_lo, v2, 1
	v_add_co_ci_u32_e32 v16, vcc_lo, 0, v3, vcc_lo
	v_add_co_u32 v1, vcc_lo, v1, 4
	s_delay_alu instid0(VALU_DEP_4)
	v_add_co_ci_u32_e32 v2, vcc_lo, 0, v4, vcc_lo
	v_mov_b32_e32 v4, 0
	s_mov_b32 s12, 0
	s_lshl_b32 s13, s28, 3
	s_mov_b64 s[8:9], 0
	s_branch .LBB59_10
.LBB59_9:                               ;   in Loop: Header=BB59_10 Depth=1
	s_or_b32 exec_lo, exec_lo, s2
	v_add_nc_u32_e32 v17, s28, v17
	v_add_co_u32 v1, s2, v1, s13
	s_delay_alu instid0(VALU_DEP_1) | instskip(NEXT) | instid1(VALU_DEP_3)
	v_add_co_ci_u32_e64 v2, s2, 0, v2, s2
	v_cmp_le_i32_e32 vcc_lo, s20, v17
	s_add_u32 s8, s8, s3
	s_addc_u32 s9, s9, 0
	global_store_b8 v[5:6], v9, off
	s_or_b32 s12, vcc_lo, s12
	s_delay_alu instid0(SALU_CYCLE_1)
	s_and_not1_b32 exec_lo, exec_lo, s12
	s_cbranch_execz .LBB59_46
.LBB59_10:                              ; =>This Inner Loop Header: Depth=1
	v_add_co_u32 v5, vcc_lo, v13, s8
	v_add_co_ci_u32_e32 v6, vcc_lo, s9, v14, vcc_lo
	v_add_co_u32 v7, vcc_lo, v11, s8
	v_add_co_ci_u32_e32 v8, vcc_lo, s9, v12, vcc_lo
	s_mov_b32 s2, exec_lo
	s_clause 0x1
	global_load_u16 v3, v[5:6], off
	global_load_u16 v5, v[7:8], off
	global_load_b64 v[18:19], v[1:2], off offset:-4
	s_waitcnt vmcnt(1)
	v_dual_mov_b32 v21, v4 :: v_dual_lshlrev_b32 v8, 16, v5
	v_lshlrev_b32_e32 v3, 16, v3
	s_waitcnt vmcnt(0)
	s_delay_alu instid0(VALU_DEP_1) | instskip(NEXT) | instid1(VALU_DEP_1)
	v_mul_f32_e32 v5, v19, v3
	v_fma_f32 v5, v18, v8, -v5
	s_waitcnt lgkmcnt(0)
	s_delay_alu instid0(VALU_DEP_1) | instskip(NEXT) | instid1(VALU_DEP_1)
	v_div_scale_f32 v6, null, s34, s34, v5
	v_rcp_f32_e32 v7, v6
	s_waitcnt_depctr 0xfff
	v_fma_f32 v9, -v6, v7, 1.0
	s_delay_alu instid0(VALU_DEP_1) | instskip(SKIP_1) | instid1(VALU_DEP_1)
	v_fmac_f32_e32 v7, v9, v7
	v_div_scale_f32 v9, vcc_lo, v5, s34, v5
	v_mul_f32_e32 v10, v9, v7
	s_delay_alu instid0(VALU_DEP_1) | instskip(NEXT) | instid1(VALU_DEP_1)
	v_fma_f32 v20, -v6, v10, v9
	v_fmac_f32_e32 v10, v20, v7
	s_delay_alu instid0(VALU_DEP_1) | instskip(NEXT) | instid1(VALU_DEP_1)
	v_fma_f32 v6, -v6, v10, v9
	v_div_fmas_f32 v6, v6, v7, v10
	s_delay_alu instid0(VALU_DEP_1) | instskip(SKIP_1) | instid1(VALU_DEP_2)
	v_div_fixup_f32 v7, v6, s34, v5
	v_mul_f32_e32 v6, v18, v3
	v_lshrrev_b32_e32 v9, 24, v7
	v_and_b32_e32 v20, 0x7f800000, v7
	s_delay_alu instid0(VALU_DEP_3) | instskip(NEXT) | instid1(VALU_DEP_3)
	v_dual_fmac_f32 v6, v19, v8 :: v_dual_and_b32 v3, 0x7fffff, v7
	v_and_b32_e32 v18, 0x80, v9
	global_store_b64 v[1:2], v[5:6], off offset:-4
	v_or_b32_e32 v8, 0x7e, v18
	v_cmpx_ne_u64_e32 0x7f800000, v[20:21]
	s_xor_b32 s21, exec_lo, s2
	s_cbranch_execz .LBB59_26
; %bb.11:                               ;   in Loop: Header=BB59_10 Depth=1
	v_dual_mov_b32 v10, v4 :: v_dual_and_b32 v9, 0x7fffffff, v7
	s_mov_b32 s2, exec_lo
	s_delay_alu instid0(VALU_DEP_1)
	v_cmpx_gt_u64_e32 0x43e00001, v[9:10]
	s_xor_b32 s29, exec_lo, s2
	s_cbranch_execz .LBB59_25
; %bb.12:                               ;   in Loop: Header=BB59_10 Depth=1
	v_mov_b32_e32 v8, 0
	s_mov_b32 s35, exec_lo
	v_cmpx_ne_u32_e32 0, v7
	s_cbranch_execz .LBB59_24
; %bb.13:                               ;   in Loop: Header=BB59_10 Depth=1
	v_bfe_u32 v5, v7, 23, 8
	v_or_b32_e32 v9, 0x800000, v3
	s_delay_alu instid0(VALU_DEP_2) | instskip(SKIP_1) | instid1(VALU_DEP_2)
	v_sub_nc_u32_e32 v7, 0x79, v5
	v_cmp_gt_u32_e32 vcc_lo, 0x7a, v5
	v_cndmask_b32_e32 v7, 0, v7, vcc_lo
	v_cmp_eq_u32_e32 vcc_lo, 0, v5
	s_delay_alu instid0(VALU_DEP_2) | instskip(SKIP_1) | instid1(VALU_DEP_2)
	v_cndmask_b32_e64 v19, v7, 0x78, vcc_lo
	v_cndmask_b32_e32 v3, v9, v3, vcc_lo
	v_add_nc_u32_e32 v7, 20, v19
	v_add_nc_u32_e32 v9, 19, v19
	s_delay_alu instid0(VALU_DEP_2) | instskip(NEXT) | instid1(VALU_DEP_2)
	v_lshlrev_b64 v[7:8], v7, -1
	v_lshlrev_b64 v[9:10], v9, 1
	s_delay_alu instid0(VALU_DEP_2) | instskip(NEXT) | instid1(VALU_DEP_3)
	v_not_b32_e32 v8, v8
	v_not_b32_e32 v7, v7
	s_delay_alu instid0(VALU_DEP_2) | instskip(NEXT) | instid1(VALU_DEP_2)
	v_and_b32_e32 v21, 0, v8
	v_and_b32_e32 v20, v3, v7
	v_lshrrev_b64 v[7:8], v19, v[3:4]
	s_delay_alu instid0(VALU_DEP_2) | instskip(NEXT) | instid1(VALU_DEP_2)
	v_cmp_eq_u64_e64 s2, v[20:21], v[9:10]
	v_dual_mov_b32 v10, v8 :: v_dual_mov_b32 v9, v7
	s_delay_alu instid0(VALU_DEP_2)
	s_and_saveexec_b32 s36, s2
; %bb.14:                               ;   in Loop: Header=BB59_10 Depth=1
	v_bfe_u32 v3, v7, 20, 1
	s_delay_alu instid0(VALU_DEP_1) | instskip(NEXT) | instid1(VALU_DEP_1)
	v_add_co_u32 v3, s2, v7, v3
	v_add_co_u32 v9, s2, v3, -1
; %bb.15:                               ;   in Loop: Header=BB59_10 Depth=1
	s_or_b32 exec_lo, exec_lo, s36
	v_add_nc_u32_e32 v3, 0xffffff81, v5
	v_lshrrev_b32_e32 v5, 23, v7
	s_mov_b32 s2, exec_lo
	s_delay_alu instid0(VALU_DEP_2) | instskip(NEXT) | instid1(VALU_DEP_1)
	v_cndmask_b32_e64 v3, v3, 0xffffff82, vcc_lo
	v_add3_u32 v5, v19, v3, v5
	v_and_b32_e32 v3, 0xfffff, v9
	s_delay_alu instid0(VALU_DEP_2) | instskip(NEXT) | instid1(VALU_DEP_2)
	v_add_nc_u32_e32 v9, 6, v5
	v_add_co_u32 v7, vcc_lo, v3, v7
	v_add_co_ci_u32_e32 v8, vcc_lo, 0, v8, vcc_lo
                                        ; implicit-def: $vgpr3
	s_delay_alu instid0(VALU_DEP_3)
	v_cmpx_ne_u32_e32 0, v9
	s_xor_b32 s2, exec_lo, s2
; %bb.16:                               ;   in Loop: Header=BB59_10 Depth=1
	s_delay_alu instid0(VALU_DEP_2) | instskip(SKIP_2) | instid1(VALU_DEP_2)
	v_cmp_lt_u64_e32 vcc_lo, 0xffffff, v[7:8]
	v_add_nc_u32_e32 v3, 7, v5
	v_cndmask_b32_e64 v5, 0, 1, vcc_lo
	v_cndmask_b32_e32 v3, v9, v3, vcc_lo
	s_delay_alu instid0(VALU_DEP_2)
	v_lshrrev_b64 v[7:8], v5, v[7:8]
; %bb.17:                               ;   in Loop: Header=BB59_10 Depth=1
	s_and_not1_saveexec_b32 s2, s2
; %bb.18:                               ;   in Loop: Header=BB59_10 Depth=1
	s_delay_alu instid0(VALU_DEP_1)
	v_bfe_u32 v3, v7, 23, 1
; %bb.19:                               ;   in Loop: Header=BB59_10 Depth=1
	s_or_b32 exec_lo, exec_lo, s2
	s_delay_alu instid0(VALU_DEP_2) | instskip(NEXT) | instid1(VALU_DEP_2)
	v_lshrrev_b64 v[7:8], 20, v[7:8]
	v_cmp_gt_i32_e32 vcc_lo, 16, v3
	v_cmp_ne_u32_e64 s2, 0, v3
	s_delay_alu instid0(VALU_DEP_3) | instskip(NEXT) | instid1(VALU_DEP_1)
	v_dual_cndmask_b32 v8, 0, v8 :: v_dual_cndmask_b32 v7, 7, v7
	v_cmp_ne_u64_e32 vcc_lo, 0, v[7:8]
                                        ; implicit-def: $vgpr8
	s_delay_alu instid0(VALU_DEP_3) | instskip(NEXT) | instid1(SALU_CYCLE_1)
	s_or_b32 s2, s2, vcc_lo
	s_and_saveexec_b32 s36, s2
	s_delay_alu instid0(SALU_CYCLE_1)
	s_xor_b32 s2, exec_lo, s36
; %bb.20:                               ;   in Loop: Header=BB59_10 Depth=1
	v_min_i32_e32 v3, 15, v3
	s_delay_alu instid0(VALU_DEP_1) | instskip(NEXT) | instid1(VALU_DEP_1)
	v_lshl_or_b32 v3, v3, 3, v18
                                        ; implicit-def: $vgpr18
	v_and_or_b32 v8, v7, 7, v3
; %bb.21:                               ;   in Loop: Header=BB59_10 Depth=1
	s_and_not1_saveexec_b32 s2, s2
; %bb.22:                               ;   in Loop: Header=BB59_10 Depth=1
	v_mov_b32_e32 v8, v18
; %bb.23:                               ;   in Loop: Header=BB59_10 Depth=1
	s_or_b32 exec_lo, exec_lo, s2
.LBB59_24:                              ;   in Loop: Header=BB59_10 Depth=1
	s_delay_alu instid0(SALU_CYCLE_1)
	s_or_b32 exec_lo, exec_lo, s35
.LBB59_25:                              ;   in Loop: Header=BB59_10 Depth=1
	s_and_not1_saveexec_b32 s2, s29
	s_delay_alu instid0(SALU_CYCLE_1)
	s_or_b32 exec_lo, exec_lo, s2
                                        ; implicit-def: $vgpr9
.LBB59_26:                              ;   in Loop: Header=BB59_10 Depth=1
	s_and_not1_saveexec_b32 s2, s21
; %bb.27:                               ;   in Loop: Header=BB59_10 Depth=1
	v_cmp_eq_u64_e32 vcc_lo, 0, v[3:4]
	v_or_b32_e32 v5, 0x7f, v9
	s_delay_alu instid0(VALU_DEP_1)
	v_cndmask_b32_e32 v8, v5, v8, vcc_lo
; %bb.28:                               ;   in Loop: Header=BB59_10 Depth=1
	s_or_b32 exec_lo, exec_lo, s2
	v_div_scale_f32 v3, null, s34, s34, v6
	v_div_scale_f32 v9, vcc_lo, v6, s34, v6
	s_mov_b32 s2, exec_lo
	s_delay_alu instid0(VALU_DEP_2) | instskip(SKIP_3) | instid1(VALU_DEP_1)
	v_rcp_f32_e32 v5, v3
	v_mov_b32_e32 v20, v4
	s_waitcnt_depctr 0xfff
	v_fma_f32 v7, -v3, v5, 1.0
	v_fmac_f32_e32 v5, v7, v5
	s_delay_alu instid0(VALU_DEP_1) | instskip(NEXT) | instid1(VALU_DEP_1)
	v_mul_f32_e32 v7, v9, v5
	v_fma_f32 v10, -v3, v7, v9
	s_delay_alu instid0(VALU_DEP_1) | instskip(NEXT) | instid1(VALU_DEP_1)
	v_fmac_f32_e32 v7, v10, v5
	v_fma_f32 v3, -v3, v7, v9
	s_delay_alu instid0(VALU_DEP_1) | instskip(SKIP_1) | instid1(VALU_DEP_2)
	v_div_fmas_f32 v3, v3, v5, v7
	v_add_co_u32 v5, vcc_lo, v15, s8
	v_div_fixup_f32 v7, v3, s34, v6
	v_add_co_ci_u32_e32 v6, vcc_lo, s9, v16, vcc_lo
	s_delay_alu instid0(VALU_DEP_2) | instskip(SKIP_4) | instid1(VALU_DEP_1)
	v_lshrrev_b32_e32 v10, 24, v7
	v_and_b32_e32 v19, 0x7f800000, v7
	v_and_b32_e32 v3, 0x7fffff, v7
	global_store_b8 v[5:6], v8, off offset:-1
	v_and_b32_e32 v18, 0x80, v10
	v_or_b32_e32 v9, 0x7e, v18
	v_cmpx_ne_u64_e32 0x7f800000, v[19:20]
	s_xor_b32 s21, exec_lo, s2
	s_cbranch_execz .LBB59_44
; %bb.29:                               ;   in Loop: Header=BB59_10 Depth=1
	v_dual_mov_b32 v20, v4 :: v_dual_and_b32 v19, 0x7fffffff, v7
	s_mov_b32 s2, exec_lo
	s_delay_alu instid0(VALU_DEP_1)
	v_cmpx_gt_u64_e32 0x43e00001, v[19:20]
	s_xor_b32 s29, exec_lo, s2
	s_cbranch_execz .LBB59_43
; %bb.30:                               ;   in Loop: Header=BB59_10 Depth=1
	v_mov_b32_e32 v9, 0
	s_mov_b32 s35, exec_lo
	v_cmpx_ne_u32_e32 0, v7
	s_cbranch_execz .LBB59_42
; %bb.31:                               ;   in Loop: Header=BB59_10 Depth=1
	v_bfe_u32 v19, v7, 23, 8
	v_or_b32_e32 v9, 0x800000, v3
	s_delay_alu instid0(VALU_DEP_2) | instskip(SKIP_1) | instid1(VALU_DEP_2)
	v_sub_nc_u32_e32 v7, 0x79, v19
	v_cmp_gt_u32_e32 vcc_lo, 0x7a, v19
	v_cndmask_b32_e32 v7, 0, v7, vcc_lo
	v_cmp_eq_u32_e32 vcc_lo, 0, v19
	s_delay_alu instid0(VALU_DEP_2) | instskip(SKIP_1) | instid1(VALU_DEP_2)
	v_cndmask_b32_e64 v20, v7, 0x78, vcc_lo
	v_cndmask_b32_e32 v3, v9, v3, vcc_lo
	v_add_nc_u32_e32 v7, 20, v20
	v_add_nc_u32_e32 v9, 19, v20
	s_delay_alu instid0(VALU_DEP_2) | instskip(NEXT) | instid1(VALU_DEP_2)
	v_lshlrev_b64 v[7:8], v7, -1
	v_lshlrev_b64 v[9:10], v9, 1
	s_delay_alu instid0(VALU_DEP_2) | instskip(NEXT) | instid1(VALU_DEP_3)
	v_not_b32_e32 v8, v8
	v_not_b32_e32 v7, v7
	s_delay_alu instid0(VALU_DEP_2) | instskip(NEXT) | instid1(VALU_DEP_2)
	v_and_b32_e32 v22, 0, v8
	v_and_b32_e32 v21, v3, v7
	v_lshrrev_b64 v[7:8], v20, v[3:4]
	s_delay_alu instid0(VALU_DEP_2) | instskip(NEXT) | instid1(VALU_DEP_2)
	v_cmp_eq_u64_e64 s2, v[21:22], v[9:10]
	v_dual_mov_b32 v10, v8 :: v_dual_mov_b32 v9, v7
	s_delay_alu instid0(VALU_DEP_2)
	s_and_saveexec_b32 s36, s2
; %bb.32:                               ;   in Loop: Header=BB59_10 Depth=1
	v_bfe_u32 v3, v7, 20, 1
	s_delay_alu instid0(VALU_DEP_1) | instskip(NEXT) | instid1(VALU_DEP_1)
	v_add_co_u32 v3, s2, v7, v3
	v_add_co_u32 v9, s2, v3, -1
; %bb.33:                               ;   in Loop: Header=BB59_10 Depth=1
	s_or_b32 exec_lo, exec_lo, s36
	v_add_nc_u32_e32 v3, 0xffffff81, v19
	v_lshrrev_b32_e32 v10, 23, v7
	s_mov_b32 s2, exec_lo
	s_delay_alu instid0(VALU_DEP_2) | instskip(NEXT) | instid1(VALU_DEP_1)
	v_cndmask_b32_e64 v3, v3, 0xffffff82, vcc_lo
	v_add3_u32 v10, v20, v3, v10
	v_and_b32_e32 v3, 0xfffff, v9
	s_delay_alu instid0(VALU_DEP_2) | instskip(NEXT) | instid1(VALU_DEP_2)
	v_add_nc_u32_e32 v9, 6, v10
	v_add_co_u32 v7, vcc_lo, v3, v7
	v_add_co_ci_u32_e32 v8, vcc_lo, 0, v8, vcc_lo
                                        ; implicit-def: $vgpr3
	s_delay_alu instid0(VALU_DEP_3)
	v_cmpx_ne_u32_e32 0, v9
	s_xor_b32 s2, exec_lo, s2
; %bb.34:                               ;   in Loop: Header=BB59_10 Depth=1
	s_delay_alu instid0(VALU_DEP_2) | instskip(SKIP_1) | instid1(VALU_DEP_1)
	v_cmp_lt_u64_e32 vcc_lo, 0xffffff, v[7:8]
	v_add_nc_u32_e32 v3, 7, v10
	v_cndmask_b32_e32 v3, v9, v3, vcc_lo
	v_cndmask_b32_e64 v9, 0, 1, vcc_lo
	s_delay_alu instid0(VALU_DEP_1)
	v_lshrrev_b64 v[7:8], v9, v[7:8]
; %bb.35:                               ;   in Loop: Header=BB59_10 Depth=1
	s_and_not1_saveexec_b32 s2, s2
; %bb.36:                               ;   in Loop: Header=BB59_10 Depth=1
	s_delay_alu instid0(VALU_DEP_1)
	v_bfe_u32 v3, v7, 23, 1
; %bb.37:                               ;   in Loop: Header=BB59_10 Depth=1
	s_or_b32 exec_lo, exec_lo, s2
	s_delay_alu instid0(VALU_DEP_2) | instskip(NEXT) | instid1(VALU_DEP_2)
	v_lshrrev_b64 v[7:8], 20, v[7:8]
	v_cmp_gt_i32_e32 vcc_lo, 16, v3
	v_cmp_ne_u32_e64 s2, 0, v3
                                        ; implicit-def: $vgpr9
	s_delay_alu instid0(VALU_DEP_3) | instskip(NEXT) | instid1(VALU_DEP_1)
	v_dual_cndmask_b32 v8, 0, v8 :: v_dual_cndmask_b32 v7, 7, v7
	v_cmp_ne_u64_e32 vcc_lo, 0, v[7:8]
	s_delay_alu instid0(VALU_DEP_3) | instskip(NEXT) | instid1(SALU_CYCLE_1)
	s_or_b32 s2, s2, vcc_lo
	s_and_saveexec_b32 s36, s2
	s_delay_alu instid0(SALU_CYCLE_1)
	s_xor_b32 s2, exec_lo, s36
; %bb.38:                               ;   in Loop: Header=BB59_10 Depth=1
	v_min_i32_e32 v3, 15, v3
	s_delay_alu instid0(VALU_DEP_1) | instskip(NEXT) | instid1(VALU_DEP_1)
	v_lshl_or_b32 v3, v3, 3, v18
                                        ; implicit-def: $vgpr18
	v_and_or_b32 v9, v7, 7, v3
; %bb.39:                               ;   in Loop: Header=BB59_10 Depth=1
	s_and_not1_saveexec_b32 s2, s2
; %bb.40:                               ;   in Loop: Header=BB59_10 Depth=1
	v_mov_b32_e32 v9, v18
; %bb.41:                               ;   in Loop: Header=BB59_10 Depth=1
	s_or_b32 exec_lo, exec_lo, s2
.LBB59_42:                              ;   in Loop: Header=BB59_10 Depth=1
	s_delay_alu instid0(SALU_CYCLE_1)
	s_or_b32 exec_lo, exec_lo, s35
.LBB59_43:                              ;   in Loop: Header=BB59_10 Depth=1
	s_and_not1_saveexec_b32 s2, s29
	s_delay_alu instid0(SALU_CYCLE_1)
	s_or_b32 exec_lo, exec_lo, s2
                                        ; implicit-def: $vgpr10
.LBB59_44:                              ;   in Loop: Header=BB59_10 Depth=1
	s_and_not1_saveexec_b32 s2, s21
	s_cbranch_execz .LBB59_9
; %bb.45:                               ;   in Loop: Header=BB59_10 Depth=1
	v_cmp_eq_u64_e32 vcc_lo, 0, v[3:4]
	v_or_b32_e32 v7, 0x7f, v10
	s_delay_alu instid0(VALU_DEP_1)
	v_cndmask_b32_e32 v9, v7, v9, vcc_lo
	s_branch .LBB59_9
.LBB59_46:
	s_or_b32 exec_lo, exec_lo, s33
	s_delay_alu instid0(SALU_CYCLE_1)
	s_mov_b32 s2, exec_lo
	v_cmpx_gt_i32_e64 s6, v0
	s_cbranch_execz .LBB59_67
; %bb.47:
	s_mul_i32 s3, s16, s11
	s_mul_hi_u32 s8, s16, s10
	s_mul_i32 s2, s16, s10
	s_add_i32 s3, s8, s3
	s_load_b32 s0, s[0:1], 0x8c
	s_lshl_b64 s[2:3], s[2:3], 2
	v_mov_b32_e32 v3, 0
	s_add_u32 s1, s14, s2
	s_addc_u32 s2, s15, s3
	s_waitcnt lgkmcnt(0)
	s_load_b32 s3, s[24:25], 0x0
	s_ashr_i32 s4, s4, 31
	s_delay_alu instid0(SALU_CYCLE_1) | instskip(NEXT) | instid1(SALU_CYCLE_1)
	s_mul_i32 s4, s22, s4
	s_add_i32 s4, s27, s4
	s_delay_alu instid0(SALU_CYCLE_1) | instskip(SKIP_3) | instid1(SALU_CYCLE_1)
	s_add_i32 s4, s4, s30
	s_add_u32 s8, s18, s31
	s_addc_u32 s9, s19, s4
	s_ashr_i32 s4, s5, 31
	s_mul_i32 s7, s7, s4
	s_delay_alu instid0(SALU_CYCLE_1) | instskip(NEXT) | instid1(SALU_CYCLE_1)
	s_add_i32 s4, s26, s7
	s_add_i32 s5, s4, s17
	s_add_u32 s4, s8, s23
	s_addc_u32 s5, s9, s5
	s_and_b32 s7, s0, 0xffff
	s_mov_b32 s8, 0
	s_branch .LBB59_49
.LBB59_48:                              ;   in Loop: Header=BB59_49 Depth=1
	s_or_b32 exec_lo, exec_lo, s0
	v_add_co_u32 v6, vcc_lo, s4, v0
	v_add_nc_u32_e32 v0, s7, v0
	v_add_co_ci_u32_e32 v7, vcc_lo, s5, v1, vcc_lo
	s_delay_alu instid0(VALU_DEP_2) | instskip(SKIP_2) | instid1(SALU_CYCLE_1)
	v_cmp_le_i32_e32 vcc_lo, s6, v0
	global_store_b8 v[6:7], v5, off
	s_or_b32 s8, vcc_lo, s8
	s_and_not1_b32 exec_lo, exec_lo, s8
	s_cbranch_execz .LBB59_67
.LBB59_49:                              ; =>This Inner Loop Header: Depth=1
	v_ashrrev_i32_e32 v1, 31, v0
	s_mov_b32 s0, exec_lo
	v_mov_b32_e32 v10, v3
	s_delay_alu instid0(VALU_DEP_2) | instskip(NEXT) | instid1(VALU_DEP_1)
	v_lshlrev_b64 v[4:5], 2, v[0:1]
	v_add_co_u32 v4, vcc_lo, s1, v4
	s_delay_alu instid0(VALU_DEP_2) | instskip(SKIP_3) | instid1(VALU_DEP_1)
	v_add_co_ci_u32_e32 v5, vcc_lo, s2, v5, vcc_lo
	global_load_b32 v2, v[4:5], off
	s_waitcnt vmcnt(0) lgkmcnt(0)
	v_div_scale_f32 v4, null, s3, s3, v2
	v_rcp_f32_e32 v5, v4
	s_waitcnt_depctr 0xfff
	v_fma_f32 v6, -v4, v5, 1.0
	s_delay_alu instid0(VALU_DEP_1) | instskip(SKIP_1) | instid1(VALU_DEP_1)
	v_fmac_f32_e32 v5, v6, v5
	v_div_scale_f32 v6, vcc_lo, v2, s3, v2
	v_mul_f32_e32 v7, v6, v5
	s_delay_alu instid0(VALU_DEP_1) | instskip(NEXT) | instid1(VALU_DEP_1)
	v_fma_f32 v8, -v4, v7, v6
	v_fmac_f32_e32 v7, v8, v5
	s_delay_alu instid0(VALU_DEP_1) | instskip(NEXT) | instid1(VALU_DEP_1)
	v_fma_f32 v4, -v4, v7, v6
	v_div_fmas_f32 v4, v4, v5, v7
	s_delay_alu instid0(VALU_DEP_1) | instskip(NEXT) | instid1(VALU_DEP_1)
	v_div_fixup_f32 v4, v4, s3, v2
	v_and_b32_e32 v2, 0x7fffff, v4
	v_lshrrev_b32_e32 v6, 24, v4
	v_and_b32_e32 v9, 0x7f800000, v4
	s_delay_alu instid0(VALU_DEP_2) | instskip(NEXT) | instid1(VALU_DEP_1)
	v_and_b32_e32 v8, 0x80, v6
	v_or_b32_e32 v5, 0x7e, v8
	s_delay_alu instid0(VALU_DEP_3)
	v_cmpx_ne_u64_e32 0x7f800000, v[9:10]
	s_xor_b32 s9, exec_lo, s0
	s_cbranch_execz .LBB59_65
; %bb.50:                               ;   in Loop: Header=BB59_49 Depth=1
	v_dual_mov_b32 v7, v3 :: v_dual_and_b32 v6, 0x7fffffff, v4
	s_mov_b32 s0, exec_lo
	s_delay_alu instid0(VALU_DEP_1)
	v_cmpx_gt_u64_e32 0x43e00001, v[6:7]
	s_xor_b32 s10, exec_lo, s0
	s_cbranch_execz .LBB59_64
; %bb.51:                               ;   in Loop: Header=BB59_49 Depth=1
	v_mov_b32_e32 v5, 0
	s_mov_b32 s11, exec_lo
	v_cmpx_ne_u32_e32 0, v4
	s_cbranch_execz .LBB59_63
; %bb.52:                               ;   in Loop: Header=BB59_49 Depth=1
	v_bfe_u32 v9, v4, 23, 8
	v_or_b32_e32 v6, 0x800000, v2
	s_delay_alu instid0(VALU_DEP_2) | instskip(SKIP_1) | instid1(VALU_DEP_2)
	v_sub_nc_u32_e32 v4, 0x79, v9
	v_cmp_gt_u32_e32 vcc_lo, 0x7a, v9
	v_cndmask_b32_e32 v4, 0, v4, vcc_lo
	v_cmp_eq_u32_e32 vcc_lo, 0, v9
	s_delay_alu instid0(VALU_DEP_2) | instskip(SKIP_1) | instid1(VALU_DEP_2)
	v_cndmask_b32_e64 v10, v4, 0x78, vcc_lo
	v_cndmask_b32_e32 v2, v6, v2, vcc_lo
	v_add_nc_u32_e32 v4, 20, v10
	v_add_nc_u32_e32 v6, 19, v10
	s_delay_alu instid0(VALU_DEP_2) | instskip(NEXT) | instid1(VALU_DEP_2)
	v_lshlrev_b64 v[4:5], v4, -1
	v_lshlrev_b64 v[6:7], v6, 1
	s_delay_alu instid0(VALU_DEP_2) | instskip(NEXT) | instid1(VALU_DEP_3)
	v_not_b32_e32 v5, v5
	v_not_b32_e32 v4, v4
	s_delay_alu instid0(VALU_DEP_2) | instskip(NEXT) | instid1(VALU_DEP_2)
	v_and_b32_e32 v12, 0, v5
	v_and_b32_e32 v11, v2, v4
	v_lshrrev_b64 v[4:5], v10, v[2:3]
	s_delay_alu instid0(VALU_DEP_2) | instskip(NEXT) | instid1(VALU_DEP_2)
	v_cmp_eq_u64_e64 s0, v[11:12], v[6:7]
	v_dual_mov_b32 v7, v5 :: v_dual_mov_b32 v6, v4
	s_delay_alu instid0(VALU_DEP_2)
	s_and_saveexec_b32 s12, s0
; %bb.53:                               ;   in Loop: Header=BB59_49 Depth=1
	v_bfe_u32 v2, v4, 20, 1
	s_delay_alu instid0(VALU_DEP_1) | instskip(NEXT) | instid1(VALU_DEP_1)
	v_add_co_u32 v2, s0, v4, v2
	v_add_co_u32 v6, s0, v2, -1
; %bb.54:                               ;   in Loop: Header=BB59_49 Depth=1
	s_or_b32 exec_lo, exec_lo, s12
	v_add_nc_u32_e32 v2, 0xffffff81, v9
	v_lshrrev_b32_e32 v7, 23, v4
	s_mov_b32 s0, exec_lo
	s_delay_alu instid0(VALU_DEP_2) | instskip(NEXT) | instid1(VALU_DEP_1)
	v_cndmask_b32_e64 v2, v2, 0xffffff82, vcc_lo
	v_add3_u32 v7, v10, v2, v7
	v_and_b32_e32 v2, 0xfffff, v6
	s_delay_alu instid0(VALU_DEP_2) | instskip(NEXT) | instid1(VALU_DEP_2)
	v_add_nc_u32_e32 v6, 6, v7
	v_add_co_u32 v4, vcc_lo, v2, v4
	v_add_co_ci_u32_e32 v5, vcc_lo, 0, v5, vcc_lo
                                        ; implicit-def: $vgpr2
	s_delay_alu instid0(VALU_DEP_3)
	v_cmpx_ne_u32_e32 0, v6
	s_xor_b32 s0, exec_lo, s0
; %bb.55:                               ;   in Loop: Header=BB59_49 Depth=1
	s_delay_alu instid0(VALU_DEP_2) | instskip(SKIP_1) | instid1(VALU_DEP_1)
	v_cmp_lt_u64_e32 vcc_lo, 0xffffff, v[4:5]
	v_add_nc_u32_e32 v2, 7, v7
	v_cndmask_b32_e32 v2, v6, v2, vcc_lo
	v_cndmask_b32_e64 v6, 0, 1, vcc_lo
	s_delay_alu instid0(VALU_DEP_1)
	v_lshrrev_b64 v[4:5], v6, v[4:5]
; %bb.56:                               ;   in Loop: Header=BB59_49 Depth=1
	s_and_not1_saveexec_b32 s0, s0
; %bb.57:                               ;   in Loop: Header=BB59_49 Depth=1
	s_delay_alu instid0(VALU_DEP_1)
	v_bfe_u32 v2, v4, 23, 1
; %bb.58:                               ;   in Loop: Header=BB59_49 Depth=1
	s_or_b32 exec_lo, exec_lo, s0
	s_delay_alu instid0(VALU_DEP_2) | instskip(NEXT) | instid1(VALU_DEP_2)
	v_lshrrev_b64 v[4:5], 20, v[4:5]
	v_cmp_gt_i32_e32 vcc_lo, 16, v2
	v_cmp_ne_u32_e64 s0, 0, v2
	s_delay_alu instid0(VALU_DEP_3) | instskip(NEXT) | instid1(VALU_DEP_1)
	v_dual_cndmask_b32 v5, 0, v5 :: v_dual_cndmask_b32 v4, 7, v4
	v_cmp_ne_u64_e32 vcc_lo, 0, v[4:5]
                                        ; implicit-def: $vgpr5
	s_delay_alu instid0(VALU_DEP_3) | instskip(NEXT) | instid1(SALU_CYCLE_1)
	s_or_b32 s0, s0, vcc_lo
	s_and_saveexec_b32 s12, s0
	s_delay_alu instid0(SALU_CYCLE_1)
	s_xor_b32 s0, exec_lo, s12
; %bb.59:                               ;   in Loop: Header=BB59_49 Depth=1
	v_min_i32_e32 v2, 15, v2
	s_delay_alu instid0(VALU_DEP_1) | instskip(NEXT) | instid1(VALU_DEP_1)
	v_lshl_or_b32 v2, v2, 3, v8
                                        ; implicit-def: $vgpr8
	v_and_or_b32 v5, v4, 7, v2
; %bb.60:                               ;   in Loop: Header=BB59_49 Depth=1
	s_and_not1_saveexec_b32 s0, s0
; %bb.61:                               ;   in Loop: Header=BB59_49 Depth=1
	v_mov_b32_e32 v5, v8
; %bb.62:                               ;   in Loop: Header=BB59_49 Depth=1
	s_or_b32 exec_lo, exec_lo, s0
.LBB59_63:                              ;   in Loop: Header=BB59_49 Depth=1
	s_delay_alu instid0(SALU_CYCLE_1)
	s_or_b32 exec_lo, exec_lo, s11
.LBB59_64:                              ;   in Loop: Header=BB59_49 Depth=1
	s_and_not1_saveexec_b32 s0, s10
	s_delay_alu instid0(SALU_CYCLE_1)
	s_or_b32 exec_lo, exec_lo, s0
                                        ; implicit-def: $vgpr6
.LBB59_65:                              ;   in Loop: Header=BB59_49 Depth=1
	s_and_not1_saveexec_b32 s0, s9
	s_cbranch_execz .LBB59_48
; %bb.66:                               ;   in Loop: Header=BB59_49 Depth=1
	v_cmp_eq_u64_e32 vcc_lo, 0, v[2:3]
	v_or_b32_e32 v4, 0x7f, v6
	s_delay_alu instid0(VALU_DEP_1)
	v_cndmask_b32_e32 v5, v4, v5, vcc_lo
	s_branch .LBB59_48
.LBB59_67:
	s_nop 0
	s_sendmsg sendmsg(MSG_DEALLOC_VGPRS)
	s_endpgm
.LBB59_68:
                                        ; implicit-def: $sgpr22_sgpr23
	s_branch .LBB59_6
	.section	.rodata,"a",@progbits
	.p2align	6, 0x0
	.amdhsa_kernel _ZN4vllm38concat_and_cache_mla_rope_fused_kernelIfN3c108BFloat16ELb0EfhLNS_18Fp8KVCacheDataTypeE1EEEvPKlPT_S7_PKS6_PKT0_illlliPT3_S5_iiiiPKf
		.amdhsa_group_segment_fixed_size 0
		.amdhsa_private_segment_fixed_size 0
		.amdhsa_kernarg_size 384
		.amdhsa_user_sgpr_count 15
		.amdhsa_user_sgpr_dispatch_ptr 0
		.amdhsa_user_sgpr_queue_ptr 0
		.amdhsa_user_sgpr_kernarg_segment_ptr 1
		.amdhsa_user_sgpr_dispatch_id 0
		.amdhsa_user_sgpr_private_segment_size 0
		.amdhsa_wavefront_size32 1
		.amdhsa_uses_dynamic_stack 0
		.amdhsa_enable_private_segment 0
		.amdhsa_system_sgpr_workgroup_id_x 1
		.amdhsa_system_sgpr_workgroup_id_y 0
		.amdhsa_system_sgpr_workgroup_id_z 0
		.amdhsa_system_sgpr_workgroup_info 0
		.amdhsa_system_vgpr_workitem_id 0
		.amdhsa_next_free_vgpr 23
		.amdhsa_next_free_sgpr 43
		.amdhsa_reserve_vcc 1
		.amdhsa_float_round_mode_32 0
		.amdhsa_float_round_mode_16_64 0
		.amdhsa_float_denorm_mode_32 3
		.amdhsa_float_denorm_mode_16_64 3
		.amdhsa_dx10_clamp 1
		.amdhsa_ieee_mode 1
		.amdhsa_fp16_overflow 0
		.amdhsa_workgroup_processor_mode 1
		.amdhsa_memory_ordered 1
		.amdhsa_forward_progress 0
		.amdhsa_shared_vgpr_count 0
		.amdhsa_exception_fp_ieee_invalid_op 0
		.amdhsa_exception_fp_denorm_src 0
		.amdhsa_exception_fp_ieee_div_zero 0
		.amdhsa_exception_fp_ieee_overflow 0
		.amdhsa_exception_fp_ieee_underflow 0
		.amdhsa_exception_fp_ieee_inexact 0
		.amdhsa_exception_int_div_zero 0
	.end_amdhsa_kernel
	.section	.text._ZN4vllm38concat_and_cache_mla_rope_fused_kernelIfN3c108BFloat16ELb0EfhLNS_18Fp8KVCacheDataTypeE1EEEvPKlPT_S7_PKS6_PKT0_illlliPT3_S5_iiiiPKf,"axG",@progbits,_ZN4vllm38concat_and_cache_mla_rope_fused_kernelIfN3c108BFloat16ELb0EfhLNS_18Fp8KVCacheDataTypeE1EEEvPKlPT_S7_PKS6_PKT0_illlliPT3_S5_iiiiPKf,comdat
.Lfunc_end59:
	.size	_ZN4vllm38concat_and_cache_mla_rope_fused_kernelIfN3c108BFloat16ELb0EfhLNS_18Fp8KVCacheDataTypeE1EEEvPKlPT_S7_PKS6_PKT0_illlliPT3_S5_iiiiPKf, .Lfunc_end59-_ZN4vllm38concat_and_cache_mla_rope_fused_kernelIfN3c108BFloat16ELb0EfhLNS_18Fp8KVCacheDataTypeE1EEEvPKlPT_S7_PKS6_PKT0_illlliPT3_S5_iiiiPKf
                                        ; -- End function
	.section	.AMDGPU.csdata,"",@progbits
; Kernel info:
; codeLenInByte = 4352
; NumSgprs: 45
; NumVgprs: 23
; ScratchSize: 0
; MemoryBound: 0
; FloatMode: 240
; IeeeMode: 1
; LDSByteSize: 0 bytes/workgroup (compile time only)
; SGPRBlocks: 5
; VGPRBlocks: 2
; NumSGPRsForWavesPerEU: 45
; NumVGPRsForWavesPerEU: 23
; Occupancy: 16
; WaveLimiterHint : 1
; COMPUTE_PGM_RSRC2:SCRATCH_EN: 0
; COMPUTE_PGM_RSRC2:USER_SGPR: 15
; COMPUTE_PGM_RSRC2:TRAP_HANDLER: 0
; COMPUTE_PGM_RSRC2:TGID_X_EN: 1
; COMPUTE_PGM_RSRC2:TGID_Y_EN: 0
; COMPUTE_PGM_RSRC2:TGID_Z_EN: 0
; COMPUTE_PGM_RSRC2:TIDIG_COMP_CNT: 0
	.section	.text._ZN4vllm38concat_and_cache_mla_rope_fused_kernelIN3c104HalfEfLb1EfhLNS_18Fp8KVCacheDataTypeE1EEEvPKlPT_S7_PKS6_PKT0_illlliPT3_S5_iiiiPKf,"axG",@progbits,_ZN4vllm38concat_and_cache_mla_rope_fused_kernelIN3c104HalfEfLb1EfhLNS_18Fp8KVCacheDataTypeE1EEEvPKlPT_S7_PKS6_PKT0_illlliPT3_S5_iiiiPKf,comdat
	.protected	_ZN4vllm38concat_and_cache_mla_rope_fused_kernelIN3c104HalfEfLb1EfhLNS_18Fp8KVCacheDataTypeE1EEEvPKlPT_S7_PKS6_PKT0_illlliPT3_S5_iiiiPKf ; -- Begin function _ZN4vllm38concat_and_cache_mla_rope_fused_kernelIN3c104HalfEfLb1EfhLNS_18Fp8KVCacheDataTypeE1EEEvPKlPT_S7_PKS6_PKT0_illlliPT3_S5_iiiiPKf
	.globl	_ZN4vllm38concat_and_cache_mla_rope_fused_kernelIN3c104HalfEfLb1EfhLNS_18Fp8KVCacheDataTypeE1EEEvPKlPT_S7_PKS6_PKT0_illlliPT3_S5_iiiiPKf
	.p2align	8
	.type	_ZN4vllm38concat_and_cache_mla_rope_fused_kernelIN3c104HalfEfLb1EfhLNS_18Fp8KVCacheDataTypeE1EEEvPKlPT_S7_PKS6_PKT0_illlliPT3_S5_iiiiPKf,@function
_ZN4vllm38concat_and_cache_mla_rope_fused_kernelIN3c104HalfEfLb1EfhLNS_18Fp8KVCacheDataTypeE1EEEvPKlPT_S7_PKS6_PKT0_illlliPT3_S5_iiiiPKf: ; @_ZN4vllm38concat_and_cache_mla_rope_fused_kernelIN3c104HalfEfLb1EfhLNS_18Fp8KVCacheDataTypeE1EEEvPKlPT_S7_PKS6_PKT0_illlliPT3_S5_iiiiPKf
; %bb.0:
	s_load_b64 s[6:7], s[2:3], 0x60
	s_mov_b32 s16, s15
	s_mov_b32 s17, 0
	s_delay_alu instid0(SALU_CYCLE_1)
	s_lshl_b64 s[4:5], s[16:17], 3
	s_waitcnt lgkmcnt(0)
	s_add_u32 s6, s6, s4
	s_addc_u32 s7, s7, s5
	s_load_b64 s[30:31], s[6:7], 0x0
	s_waitcnt lgkmcnt(0)
	v_cmp_lt_i64_e64 s6, s[30:31], 0
	s_delay_alu instid0(VALU_DEP_1)
	s_and_b32 vcc_lo, exec_lo, s6
	s_cbranch_vccnz .LBB60_67
; %bb.1:
	s_clause 0x3
	s_load_b32 s21, s[2:3], 0x28
	s_load_b64 s[6:7], s[2:3], 0x0
	s_load_b128 s[12:15], s[2:3], 0x10
	s_load_b32 s17, s[2:3], 0x50
	v_and_b32_e32 v1, 0x3ff, v0
	s_waitcnt lgkmcnt(0)
	s_ashr_i32 s24, s21, 31
	s_add_u32 s4, s6, s4
	s_addc_u32 s5, s7, s5
	s_lshr_b32 s20, s21, 31
	s_load_b64 s[22:23], s[4:5], 0x0
	s_clause 0x2
	s_load_b64 s[26:27], s[2:3], 0x20
	s_load_b64 s[18:19], s[2:3], 0x58
	s_load_b256 s[4:11], s[2:3], 0x30
	s_add_i32 s20, s21, s20
	s_delay_alu instid0(SALU_CYCLE_1) | instskip(NEXT) | instid1(SALU_CYCLE_1)
	s_ashr_i32 s20, s20, 1
	s_mul_i32 s17, s20, s17
	s_waitcnt lgkmcnt(0)
	s_mul_i32 s24, s22, s24
	s_mul_hi_u32 s25, s22, s21
	s_mul_i32 s23, s23, s21
	s_add_i32 s24, s25, s24
	s_mul_i32 s28, s22, s21
	s_add_i32 s29, s24, s23
	s_mov_b32 s24, exec_lo
	v_cmpx_gt_i32_e64 s17, v1
	s_cbranch_execz .LBB60_4
; %bb.2:
	s_clause 0x1
	s_load_b64 s[22:23], s[2:3], 0x8
	s_load_b32 s38, s[2:3], 0x8c
	s_lshl_b64 s[34:35], s[28:29], 2
	s_mul_i32 s5, s16, s5
	s_mul_hi_u32 s21, s16, s4
	s_add_u32 s25, s26, s34
	s_mul_i32 s4, s16, s4
	s_addc_u32 s33, s27, s35
	s_add_i32 s5, s21, s5
	s_ashr_i32 s21, s20, 31
	s_lshl_b64 s[4:5], s[4:5], 1
	s_mov_b32 s37, 0
	s_waitcnt lgkmcnt(0)
	s_add_u32 s34, s22, s4
	s_addc_u32 s35, s23, s5
	s_abs_i32 s36, s20
	s_and_b32 s38, s38, 0xffff
	v_cvt_f32_u32_e32 v2, s36
	s_sub_i32 s4, 0, s36
	s_sub_i32 s39, 0, s20
	s_lshl_b64 s[22:23], s[20:21], 1
	s_delay_alu instid0(VALU_DEP_1) | instskip(SKIP_2) | instid1(VALU_DEP_1)
	v_rcp_iflag_f32_e32 v2, v2
	s_waitcnt_depctr 0xfff
	v_mul_f32_e32 v2, 0x4f7ffffe, v2
	v_cvt_u32_f32_e32 v2, v2
	s_delay_alu instid0(VALU_DEP_1) | instskip(SKIP_1) | instid1(VALU_DEP_1)
	v_mul_lo_u32 v3, s4, v2
	s_lshl_b64 s[4:5], s[20:21], 2
	v_mul_hi_u32 v3, v2, v3
	s_delay_alu instid0(VALU_DEP_1)
	v_dual_mov_b32 v2, v1 :: v_dual_add_nc_u32 v3, v2, v3
.LBB60_3:                               ; =>This Inner Loop Header: Depth=1
	s_delay_alu instid0(VALU_DEP_1) | instskip(SKIP_1) | instid1(VALU_DEP_2)
	v_sub_nc_u32_e32 v4, 0, v2
	v_ashrrev_i32_e32 v5, 31, v2
	v_max_i32_e32 v4, v2, v4
	s_delay_alu instid0(VALU_DEP_2) | instskip(NEXT) | instid1(VALU_DEP_2)
	v_xor_b32_e32 v5, s21, v5
	v_mul_hi_u32 v6, v4, v3
	s_delay_alu instid0(VALU_DEP_1) | instskip(SKIP_1) | instid1(VALU_DEP_2)
	v_mul_lo_u32 v7, v6, s36
	v_add_nc_u32_e32 v8, 1, v6
	v_sub_nc_u32_e32 v4, v4, v7
	s_delay_alu instid0(VALU_DEP_1) | instskip(SKIP_1) | instid1(VALU_DEP_4)
	v_subrev_nc_u32_e32 v7, s36, v4
	v_cmp_le_u32_e32 vcc_lo, s36, v4
	v_cndmask_b32_e32 v6, v6, v8, vcc_lo
	s_delay_alu instid0(VALU_DEP_1) | instskip(NEXT) | instid1(VALU_DEP_1)
	v_dual_cndmask_b32 v4, v4, v7 :: v_dual_add_nc_u32 v7, 1, v6
	v_cmp_le_u32_e32 vcc_lo, s36, v4
	s_delay_alu instid0(VALU_DEP_2) | instskip(NEXT) | instid1(VALU_DEP_1)
	v_cndmask_b32_e32 v4, v6, v7, vcc_lo
	v_xor_b32_e32 v4, v4, v5
	s_delay_alu instid0(VALU_DEP_1) | instskip(NEXT) | instid1(VALU_DEP_1)
	v_sub_nc_u32_e32 v8, v4, v5
	v_ashrrev_i32_e32 v9, 31, v8
	v_mad_u64_u32 v[4:5], null, s39, v8, v[2:3]
	v_mul_lo_u32 v10, v8, s7
	v_mad_u64_u32 v[6:7], null, v8, s6, 0
	s_delay_alu instid0(VALU_DEP_4) | instskip(SKIP_2) | instid1(VALU_DEP_3)
	v_mul_lo_u32 v8, v9, s6
	v_add_nc_u32_e32 v2, s38, v2
	v_ashrrev_i32_e32 v5, 31, v4
	v_add3_u32 v7, v7, v10, v8
	s_delay_alu instid0(VALU_DEP_2) | instskip(SKIP_1) | instid1(VALU_DEP_3)
	v_lshlrev_b64 v[8:9], 2, v[4:5]
	v_lshlrev_b64 v[4:5], 1, v[4:5]
	;; [unrolled: 1-line block ×3, first 2 shown]
	s_delay_alu instid0(VALU_DEP_3) | instskip(NEXT) | instid1(VALU_DEP_4)
	v_add_co_u32 v8, vcc_lo, s25, v8
	v_add_co_ci_u32_e32 v9, vcc_lo, s33, v9, vcc_lo
	s_delay_alu instid0(VALU_DEP_3) | instskip(NEXT) | instid1(VALU_DEP_4)
	v_add_co_u32 v11, vcc_lo, s34, v6
	v_add_co_ci_u32_e32 v12, vcc_lo, s35, v7, vcc_lo
	s_delay_alu instid0(VALU_DEP_4) | instskip(NEXT) | instid1(VALU_DEP_4)
	v_add_co_u32 v6, vcc_lo, v8, s4
	v_add_co_ci_u32_e32 v7, vcc_lo, s5, v9, vcc_lo
	s_delay_alu instid0(VALU_DEP_4) | instskip(NEXT) | instid1(VALU_DEP_4)
	v_add_co_u32 v4, vcc_lo, v11, v4
	v_add_co_ci_u32_e32 v5, vcc_lo, v12, v5, vcc_lo
	s_clause 0x1
	global_load_b32 v10, v[8:9], off
	global_load_b32 v8, v[6:7], off
	v_add_co_u32 v6, vcc_lo, v4, s22
	v_add_co_ci_u32_e32 v7, vcc_lo, s23, v5, vcc_lo
	s_clause 0x1
	global_load_u16 v9, v[4:5], off
	global_load_u16 v11, v[6:7], off
	v_cmp_le_i32_e32 vcc_lo, s17, v2
	s_or_b32 s37, vcc_lo, s37
	s_waitcnt vmcnt(3)
	v_cvt_f16_f32_e32 v10, v10
	s_waitcnt vmcnt(2)
	v_cvt_f16_f32_e32 v8, v8
	s_waitcnt vmcnt(0)
	s_delay_alu instid0(VALU_DEP_1) | instskip(SKIP_1) | instid1(VALU_DEP_2)
	v_mul_f16_e32 v12, v11, v8
	v_mul_f16_e32 v11, v11, v10
	v_fma_f16 v10, v9, v10, -v12
	s_delay_alu instid0(VALU_DEP_2)
	v_fmac_f16_e32 v11, v9, v8
	s_clause 0x1
	global_store_b16 v[4:5], v10, off
	global_store_b16 v[6:7], v11, off
	s_and_not1_b32 exec_lo, exec_lo, s37
	s_cbranch_execnz .LBB60_3
.LBB60_4:
	s_or_b32 exec_lo, exec_lo, s24
	s_load_b128 s[4:7], s[2:3], 0x68
	s_waitcnt lgkmcnt(0)
	s_ashr_i32 s35, s7, 31
	s_mov_b32 s34, s7
	s_delay_alu instid0(SALU_CYCLE_1) | instskip(SKIP_1) | instid1(SALU_CYCLE_1)
	s_or_b64 s[24:25], s[30:31], s[34:35]
	s_mov_b32 s24, 0
	s_cmp_lg_u64 s[24:25], 0
	s_cbranch_scc0 .LBB60_68
; %bb.5:
	s_add_u32 s36, s34, s35
	s_mov_b32 s22, s35
	s_mov_b32 s23, s35
	s_addc_u32 s37, s35, s35
	s_delay_alu instid0(SALU_CYCLE_1) | instskip(NEXT) | instid1(SALU_CYCLE_1)
	s_xor_b64 s[36:37], s[36:37], s[22:23]
	v_cvt_f32_u32_e32 v2, s36
	v_cvt_f32_u32_e32 v3, s37
	s_sub_u32 s21, 0, s36
	s_subb_u32 s25, 0, s37
	s_delay_alu instid0(VALU_DEP_1) | instskip(NEXT) | instid1(VALU_DEP_1)
	v_fmamk_f32 v2, v3, 0x4f800000, v2
	v_rcp_f32_e32 v2, v2
	s_waitcnt_depctr 0xfff
	v_mul_f32_e32 v2, 0x5f7ffffc, v2
	s_delay_alu instid0(VALU_DEP_1) | instskip(NEXT) | instid1(VALU_DEP_1)
	v_mul_f32_e32 v3, 0x2f800000, v2
	v_trunc_f32_e32 v3, v3
	s_delay_alu instid0(VALU_DEP_1) | instskip(SKIP_1) | instid1(VALU_DEP_2)
	v_fmamk_f32 v2, v3, 0xcf800000, v2
	v_cvt_u32_f32_e32 v3, v3
	v_cvt_u32_f32_e32 v2, v2
	s_delay_alu instid0(VALU_DEP_2) | instskip(NEXT) | instid1(VALU_DEP_2)
	v_readfirstlane_b32 s7, v3
	v_readfirstlane_b32 s17, v2
	s_delay_alu instid0(VALU_DEP_2) | instskip(NEXT) | instid1(VALU_DEP_1)
	s_mul_i32 s33, s21, s7
	s_mul_hi_u32 s39, s21, s17
	s_mul_i32 s38, s25, s17
	s_add_i32 s33, s39, s33
	s_mul_i32 s40, s21, s17
	s_add_i32 s33, s33, s38
	s_mul_hi_u32 s39, s17, s40
	s_mul_hi_u32 s41, s7, s40
	s_mul_i32 s38, s7, s40
	s_mul_hi_u32 s40, s17, s33
	s_mul_i32 s17, s17, s33
	s_mul_hi_u32 s42, s7, s33
	s_add_u32 s17, s39, s17
	s_addc_u32 s39, 0, s40
	s_add_u32 s17, s17, s38
	s_mul_i32 s33, s7, s33
	s_addc_u32 s17, s39, s41
	s_addc_u32 s38, s42, 0
	s_add_u32 s17, s17, s33
	s_addc_u32 s33, 0, s38
	v_add_co_u32 v2, s17, v2, s17
	s_delay_alu instid0(VALU_DEP_1) | instskip(SKIP_1) | instid1(VALU_DEP_1)
	s_cmp_lg_u32 s17, 0
	s_addc_u32 s7, s7, s33
	v_readfirstlane_b32 s17, v2
	s_mul_i32 s33, s21, s7
	s_delay_alu instid0(VALU_DEP_1)
	s_mul_hi_u32 s38, s21, s17
	s_mul_i32 s25, s25, s17
	s_add_i32 s33, s38, s33
	s_mul_i32 s21, s21, s17
	s_add_i32 s33, s33, s25
	s_mul_hi_u32 s38, s7, s21
	s_mul_i32 s39, s7, s21
	s_mul_hi_u32 s21, s17, s21
	s_mul_hi_u32 s40, s17, s33
	s_mul_i32 s17, s17, s33
	s_mul_hi_u32 s25, s7, s33
	s_add_u32 s17, s21, s17
	s_addc_u32 s21, 0, s40
	s_add_u32 s17, s17, s39
	s_mul_i32 s33, s7, s33
	s_addc_u32 s17, s21, s38
	s_addc_u32 s21, s25, 0
	s_add_u32 s17, s17, s33
	s_addc_u32 s21, 0, s21
	v_add_co_u32 v2, s17, v2, s17
	s_delay_alu instid0(VALU_DEP_1) | instskip(SKIP_2) | instid1(VALU_DEP_1)
	s_cmp_lg_u32 s17, 0
	s_addc_u32 s7, s7, s21
	s_ashr_i32 s38, s31, 31
	v_readfirstlane_b32 s17, v2
	s_add_u32 s40, s30, s38
	s_mov_b32 s39, s38
	s_addc_u32 s41, s31, s38
	s_delay_alu instid0(SALU_CYCLE_1) | instskip(NEXT) | instid1(SALU_CYCLE_1)
	s_xor_b64 s[40:41], s[40:41], s[38:39]
	s_mul_i32 s25, s40, s7
	s_mul_hi_u32 s33, s40, s17
	s_mul_hi_u32 s21, s40, s7
	;; [unrolled: 1-line block ×3, first 2 shown]
	s_mul_i32 s17, s41, s17
	s_add_u32 s25, s33, s25
	s_addc_u32 s21, 0, s21
	s_mul_hi_u32 s42, s41, s7
	s_add_u32 s17, s25, s17
	s_mul_i32 s7, s41, s7
	s_addc_u32 s17, s21, s43
	s_addc_u32 s21, s42, 0
	s_add_u32 s7, s17, s7
	s_addc_u32 s17, 0, s21
	s_mul_hi_u32 s21, s36, s7
	s_mul_i32 s33, s36, s17
	s_mul_i32 s42, s36, s7
	s_add_i32 s21, s21, s33
	v_sub_co_u32 v2, s33, s40, s42
	s_mul_i32 s25, s37, s7
	s_delay_alu instid0(SALU_CYCLE_1) | instskip(NEXT) | instid1(VALU_DEP_1)
	s_add_i32 s21, s21, s25
	v_sub_co_u32 v3, s40, v2, s36
	s_sub_i32 s25, s41, s21
	s_cmp_lg_u32 s33, 0
	s_subb_u32 s25, s25, s37
	s_cmp_lg_u32 s40, 0
	v_readfirstlane_b32 s40, v3
	s_subb_u32 s25, s25, 0
	s_delay_alu instid0(SALU_CYCLE_1) | instskip(SKIP_1) | instid1(VALU_DEP_1)
	s_cmp_ge_u32 s25, s37
	s_cselect_b32 s42, -1, 0
	s_cmp_ge_u32 s40, s36
	s_cselect_b32 s40, -1, 0
	s_cmp_eq_u32 s25, s37
	s_cselect_b32 s25, s40, s42
	s_add_u32 s40, s7, 1
	s_addc_u32 s42, s17, 0
	s_add_u32 s43, s7, 2
	s_addc_u32 s44, s17, 0
	s_cmp_lg_u32 s25, 0
	s_cselect_b32 s25, s43, s40
	s_cselect_b32 s40, s44, s42
	s_cmp_lg_u32 s33, 0
	v_readfirstlane_b32 s33, v2
	s_subb_u32 s21, s41, s21
	s_delay_alu instid0(SALU_CYCLE_1) | instskip(SKIP_1) | instid1(VALU_DEP_1)
	s_cmp_ge_u32 s21, s37
	s_cselect_b32 s41, -1, 0
	s_cmp_ge_u32 s33, s36
	s_cselect_b32 s33, -1, 0
	s_cmp_eq_u32 s21, s37
	s_cselect_b32 s21, s33, s41
	s_delay_alu instid0(SALU_CYCLE_1) | instskip(SKIP_3) | instid1(SALU_CYCLE_1)
	s_cmp_lg_u32 s21, 0
	s_cselect_b32 s37, s40, s17
	s_cselect_b32 s36, s25, s7
	s_xor_b64 s[22:23], s[38:39], s[22:23]
	s_xor_b64 s[36:37], s[36:37], s[22:23]
	s_delay_alu instid0(SALU_CYCLE_1)
	s_sub_u32 s22, s36, s22
	s_subb_u32 s23, s37, s23
	s_and_not1_b32 vcc_lo, exec_lo, s24
	s_cbranch_vccnz .LBB60_7
.LBB60_6:
	v_cvt_f32_u32_e32 v2, s34
	s_sub_i32 s17, 0, s34
	s_mov_b32 s23, 0
	s_delay_alu instid0(VALU_DEP_1) | instskip(SKIP_2) | instid1(VALU_DEP_1)
	v_rcp_iflag_f32_e32 v2, v2
	s_waitcnt_depctr 0xfff
	v_mul_f32_e32 v2, 0x4f7ffffe, v2
	v_cvt_u32_f32_e32 v2, v2
	s_delay_alu instid0(VALU_DEP_1) | instskip(NEXT) | instid1(VALU_DEP_1)
	v_readfirstlane_b32 s7, v2
	s_mul_i32 s17, s17, s7
	s_delay_alu instid0(SALU_CYCLE_1) | instskip(NEXT) | instid1(SALU_CYCLE_1)
	s_mul_hi_u32 s17, s7, s17
	s_add_i32 s7, s7, s17
	s_delay_alu instid0(SALU_CYCLE_1) | instskip(NEXT) | instid1(SALU_CYCLE_1)
	s_mul_hi_u32 s7, s30, s7
	s_mul_i32 s17, s7, s34
	s_add_i32 s21, s7, 1
	s_sub_i32 s17, s30, s17
	s_delay_alu instid0(SALU_CYCLE_1)
	s_sub_i32 s22, s17, s34
	s_cmp_ge_u32 s17, s34
	s_cselect_b32 s7, s21, s7
	s_cselect_b32 s17, s22, s17
	s_add_i32 s21, s7, 1
	s_cmp_ge_u32 s17, s34
	s_cselect_b32 s22, s21, s7
.LBB60_7:
	s_load_b64 s[24:25], s[2:3], 0x78
	s_mul_i32 s7, s22, s35
	s_mul_hi_u32 s17, s22, s34
	s_mul_i32 s21, s22, s34
	s_add_i32 s7, s17, s7
	s_mul_i32 s17, s23, s34
	s_mul_i32 s33, s23, s4
	s_add_i32 s17, s7, s17
	s_sub_u32 s7, s30, s21
	s_subb_u32 s17, s31, s17
	s_mul_hi_u32 s31, s22, s4
	s_mul_i32 s34, s22, s4
	s_mul_hi_u32 s30, s7, s5
	s_mul_i32 s17, s17, s5
	s_mul_i32 s23, s7, s5
	s_mov_b32 s35, exec_lo
	v_cmpx_gt_i32_e64 s20, v1
	s_cbranch_execz .LBB60_46
; %bb.8:
	s_load_b64 s[40:41], s[0:1], 0x4
	s_waitcnt lgkmcnt(0)
	s_load_b32 s1, s[24:25], 0x0
	s_load_b32 s39, s[2:3], 0x8c
	s_mul_i32 s43, s9, s16
	s_ashr_i32 s0, s4, 31
	s_ashr_i32 s37, s5, 31
	s_mul_hi_u32 s44, s8, s16
	s_mul_i32 s42, s8, s16
	s_mul_i32 s0, s22, s0
	;; [unrolled: 1-line block ×3, first 2 shown]
	s_add_i32 s0, s31, s0
	s_add_i32 s8, s30, s8
	v_bfe_u32 v2, v0, 10, 10
	s_ashr_i32 s21, s20, 31
	s_add_i32 s0, s0, s33
	s_add_i32 s8, s8, s17
	v_bfe_u32 v0, v0, 20, 10
	v_dual_mov_b32 v3, 0 :: v_dual_lshlrev_b32 v4, 2, v1
	s_mov_b32 s36, 0
	s_lshr_b32 s9, s40, 16
	s_add_u32 s45, s34, s23
	s_mul_i32 s9, s9, s41
	s_addc_u32 s0, s0, s8
	v_mul_lo_u32 v5, s9, v1
	s_add_u32 s8, s45, s18
	s_addc_u32 s9, s0, s19
	s_ashr_i32 s46, s6, 31
	s_add_u32 s37, s8, s6
	s_addc_u32 s38, s9, s46
	s_lshl_b64 s[8:9], s[28:29], 2
	s_waitcnt lgkmcnt(0)
	s_and_b32 s39, s39, 0xffff
	v_mad_u32_u24 v2, v2, s41, v5
	s_add_u32 s8, s26, s8
	s_addc_u32 s9, s27, s9
	s_add_i32 s43, s44, s43
	v_add_co_u32 v4, s8, s8, v4
	v_add_lshl_u32 v0, v2, v0, 1
	v_lshlrev_b32_e32 v2, 1, v1
	s_lshl_b64 s[40:41], s[42:43], 1
	s_lshl_b32 s28, s39, 2
	v_add_co_ci_u32_e64 v5, null, s9, 0, s8
	s_lshl_b64 s[8:9], s[20:21], 2
	s_lshl_b64 s[26:27], s[20:21], 1
	s_add_u32 s12, s12, s40
	s_addc_u32 s13, s13, s41
	v_add_co_u32 v6, s12, s12, v2
	s_lshl_b32 s29, s39, 1
	v_add_co_ci_u32_e64 v7, null, s13, 0, s12
	s_add_u32 s12, s45, s20
	s_addc_u32 s0, s0, s21
	v_add_nc_u32_e32 v12, 0x800, v0
	s_add_u32 s12, s12, s6
	s_addc_u32 s0, s0, s46
	s_add_u32 s21, s18, s12
	s_addc_u32 s40, s19, s0
	s_mov_b64 s[12:13], 0
	s_branch .LBB60_10
.LBB60_9:                               ;   in Loop: Header=BB60_10 Depth=1
	s_or_b32 exec_lo, exec_lo, s0
	s_add_u32 s12, s12, s39
	v_add_co_u32 v4, vcc_lo, v4, s28
	v_add_nc_u32_e32 v2, s12, v1
	v_add_co_ci_u32_e32 v5, vcc_lo, 0, v5, vcc_lo
	v_add_co_u32 v6, vcc_lo, v6, s29
	v_add_co_ci_u32_e32 v7, vcc_lo, 0, v7, vcc_lo
	v_add_co_u32 v8, s0, s21, v1
	s_addc_u32 s13, s13, 0
	v_cmp_le_i32_e32 vcc_lo, s20, v2
	s_add_u32 s21, s21, s39
	v_add_co_ci_u32_e64 v9, null, s40, 0, s0
	s_addc_u32 s40, s40, 0
	s_add_u32 s37, s37, s39
	s_addc_u32 s38, s38, 0
	s_or_b32 s36, vcc_lo, s36
	global_store_b8 v[8:9], v10, off
	s_and_not1_b32 exec_lo, exec_lo, s36
	s_cbranch_execz .LBB60_46
.LBB60_10:                              ; =>This Inner Loop Header: Depth=1
	v_add_co_u32 v8, vcc_lo, v4, s8
	v_add_co_ci_u32_e32 v9, vcc_lo, s9, v5, vcc_lo
	v_add_co_u32 v15, vcc_lo, v6, s26
	v_add_co_ci_u32_e32 v16, vcc_lo, s27, v7, vcc_lo
	s_clause 0x1
	global_load_b32 v2, v[8:9], off
	global_load_b32 v8, v[4:5], off
	s_clause 0x1
	global_load_u16 v9, v[15:16], off
	global_load_u16 v10, v[6:7], off
	s_mov_b32 s0, exec_lo
	s_waitcnt vmcnt(3)
	v_cvt_f16_f32_e32 v2, v2
	s_waitcnt vmcnt(2)
	v_cvt_f16_f32_e32 v8, v8
	s_waitcnt vmcnt(1)
	s_delay_alu instid0(VALU_DEP_2) | instskip(SKIP_1) | instid1(VALU_DEP_1)
	v_mul_f16_e32 v11, v9, v2
	s_waitcnt vmcnt(0)
	v_fma_f16 v11, v10, v8, -v11
	ds_store_b16 v12, v11
	ds_load_b32 v14, v12
	s_waitcnt lgkmcnt(0)
	v_div_scale_f32 v13, null, s1, s1, v14
	s_delay_alu instid0(VALU_DEP_1) | instskip(SKIP_2) | instid1(VALU_DEP_1)
	v_rcp_f32_e32 v17, v13
	s_waitcnt_depctr 0xfff
	v_fma_f32 v18, -v13, v17, 1.0
	v_fmac_f32_e32 v17, v18, v17
	v_div_scale_f32 v18, vcc_lo, v14, s1, v14
	s_delay_alu instid0(VALU_DEP_1) | instskip(NEXT) | instid1(VALU_DEP_1)
	v_mul_f32_e32 v19, v18, v17
	v_fma_f32 v20, -v13, v19, v18
	s_delay_alu instid0(VALU_DEP_1) | instskip(SKIP_1) | instid1(VALU_DEP_2)
	v_fmac_f32_e32 v19, v20, v17
	v_mul_f16_e32 v20, v9, v8
	v_fma_f32 v8, -v13, v19, v18
	s_delay_alu instid0(VALU_DEP_2) | instskip(SKIP_1) | instid1(VALU_DEP_3)
	v_fmac_f16_e32 v20, v10, v2
	v_mov_b32_e32 v18, v3
	v_div_fmas_f32 v2, v8, v17, v19
	ds_store_b16 v0, v20
	ds_load_b32 v13, v0
	s_clause 0x1
	global_store_b16 v[6:7], v11, off
	global_store_b16 v[15:16], v20, off
	v_div_fixup_f32 v8, v2, s1, v14
	s_delay_alu instid0(VALU_DEP_1) | instskip(SKIP_2) | instid1(VALU_DEP_2)
	v_and_b32_e32 v2, 0x7fffff, v8
	v_lshrrev_b32_e32 v10, 24, v8
	v_and_b32_e32 v17, 0x7f800000, v8
	v_and_b32_e32 v14, 0x80, v10
	s_delay_alu instid0(VALU_DEP_1) | instskip(NEXT) | instid1(VALU_DEP_3)
	v_or_b32_e32 v9, 0x7e, v14
	v_cmpx_ne_u64_e32 0x7f800000, v[17:18]
	s_xor_b32 s41, exec_lo, s0
	s_cbranch_execz .LBB60_26
; %bb.11:                               ;   in Loop: Header=BB60_10 Depth=1
	v_dual_mov_b32 v11, v3 :: v_dual_and_b32 v10, 0x7fffffff, v8
	s_mov_b32 s0, exec_lo
	s_delay_alu instid0(VALU_DEP_1)
	v_cmpx_gt_u64_e32 0x43e00001, v[10:11]
	s_xor_b32 s42, exec_lo, s0
	s_cbranch_execz .LBB60_25
; %bb.12:                               ;   in Loop: Header=BB60_10 Depth=1
	v_mov_b32_e32 v9, 0
	s_mov_b32 s43, exec_lo
	v_cmpx_ne_u32_e32 0, v8
	s_cbranch_execz .LBB60_24
; %bb.13:                               ;   in Loop: Header=BB60_10 Depth=1
	v_bfe_u32 v15, v8, 23, 8
	v_or_b32_e32 v10, 0x800000, v2
	s_delay_alu instid0(VALU_DEP_2) | instskip(SKIP_1) | instid1(VALU_DEP_2)
	v_sub_nc_u32_e32 v8, 0x79, v15
	v_cmp_gt_u32_e32 vcc_lo, 0x7a, v15
	v_cndmask_b32_e32 v8, 0, v8, vcc_lo
	v_cmp_eq_u32_e32 vcc_lo, 0, v15
	s_delay_alu instid0(VALU_DEP_2) | instskip(SKIP_1) | instid1(VALU_DEP_2)
	v_cndmask_b32_e64 v16, v8, 0x78, vcc_lo
	v_cndmask_b32_e32 v2, v10, v2, vcc_lo
	v_add_nc_u32_e32 v8, 20, v16
	v_add_nc_u32_e32 v10, 19, v16
	s_delay_alu instid0(VALU_DEP_2) | instskip(NEXT) | instid1(VALU_DEP_2)
	v_lshlrev_b64 v[8:9], v8, -1
	v_lshlrev_b64 v[10:11], v10, 1
	s_delay_alu instid0(VALU_DEP_2) | instskip(NEXT) | instid1(VALU_DEP_3)
	v_not_b32_e32 v9, v9
	v_not_b32_e32 v8, v8
	s_delay_alu instid0(VALU_DEP_2) | instskip(NEXT) | instid1(VALU_DEP_2)
	v_and_b32_e32 v18, 0, v9
	v_and_b32_e32 v17, v2, v8
	v_lshrrev_b64 v[8:9], v16, v[2:3]
	s_delay_alu instid0(VALU_DEP_2) | instskip(NEXT) | instid1(VALU_DEP_2)
	v_cmp_eq_u64_e64 s0, v[17:18], v[10:11]
	v_dual_mov_b32 v11, v9 :: v_dual_mov_b32 v10, v8
	s_delay_alu instid0(VALU_DEP_2)
	s_and_saveexec_b32 s44, s0
; %bb.14:                               ;   in Loop: Header=BB60_10 Depth=1
	v_bfe_u32 v2, v8, 20, 1
	s_delay_alu instid0(VALU_DEP_1) | instskip(NEXT) | instid1(VALU_DEP_1)
	v_add_co_u32 v2, s0, v8, v2
	v_add_co_u32 v10, s0, v2, -1
; %bb.15:                               ;   in Loop: Header=BB60_10 Depth=1
	s_or_b32 exec_lo, exec_lo, s44
	v_add_nc_u32_e32 v2, 0xffffff81, v15
	v_lshrrev_b32_e32 v11, 23, v8
	s_mov_b32 s0, exec_lo
	s_delay_alu instid0(VALU_DEP_2) | instskip(NEXT) | instid1(VALU_DEP_1)
	v_cndmask_b32_e64 v2, v2, 0xffffff82, vcc_lo
	v_add3_u32 v11, v16, v2, v11
	v_and_b32_e32 v2, 0xfffff, v10
	s_delay_alu instid0(VALU_DEP_2) | instskip(NEXT) | instid1(VALU_DEP_2)
	v_add_nc_u32_e32 v10, 6, v11
	v_add_co_u32 v8, vcc_lo, v2, v8
	v_add_co_ci_u32_e32 v9, vcc_lo, 0, v9, vcc_lo
                                        ; implicit-def: $vgpr2
	s_delay_alu instid0(VALU_DEP_3)
	v_cmpx_ne_u32_e32 0, v10
	s_xor_b32 s0, exec_lo, s0
; %bb.16:                               ;   in Loop: Header=BB60_10 Depth=1
	s_delay_alu instid0(VALU_DEP_2) | instskip(SKIP_1) | instid1(VALU_DEP_1)
	v_cmp_lt_u64_e32 vcc_lo, 0xffffff, v[8:9]
	v_add_nc_u32_e32 v2, 7, v11
	v_cndmask_b32_e32 v2, v10, v2, vcc_lo
	v_cndmask_b32_e64 v10, 0, 1, vcc_lo
	s_delay_alu instid0(VALU_DEP_1)
	v_lshrrev_b64 v[8:9], v10, v[8:9]
; %bb.17:                               ;   in Loop: Header=BB60_10 Depth=1
	s_and_not1_saveexec_b32 s0, s0
; %bb.18:                               ;   in Loop: Header=BB60_10 Depth=1
	s_delay_alu instid0(VALU_DEP_1)
	v_bfe_u32 v2, v8, 23, 1
; %bb.19:                               ;   in Loop: Header=BB60_10 Depth=1
	s_or_b32 exec_lo, exec_lo, s0
	s_delay_alu instid0(VALU_DEP_2) | instskip(NEXT) | instid1(VALU_DEP_2)
	v_lshrrev_b64 v[8:9], 20, v[8:9]
	v_cmp_gt_i32_e32 vcc_lo, 16, v2
	v_cmp_ne_u32_e64 s0, 0, v2
	s_delay_alu instid0(VALU_DEP_3) | instskip(NEXT) | instid1(VALU_DEP_1)
	v_dual_cndmask_b32 v9, 0, v9 :: v_dual_cndmask_b32 v8, 7, v8
	v_cmp_ne_u64_e32 vcc_lo, 0, v[8:9]
                                        ; implicit-def: $vgpr9
	s_delay_alu instid0(VALU_DEP_3) | instskip(NEXT) | instid1(SALU_CYCLE_1)
	s_or_b32 s0, s0, vcc_lo
	s_and_saveexec_b32 s44, s0
	s_delay_alu instid0(SALU_CYCLE_1)
	s_xor_b32 s0, exec_lo, s44
; %bb.20:                               ;   in Loop: Header=BB60_10 Depth=1
	v_min_i32_e32 v2, 15, v2
	s_delay_alu instid0(VALU_DEP_1) | instskip(NEXT) | instid1(VALU_DEP_1)
	v_lshl_or_b32 v2, v2, 3, v14
                                        ; implicit-def: $vgpr14
	v_and_or_b32 v9, v8, 7, v2
; %bb.21:                               ;   in Loop: Header=BB60_10 Depth=1
	s_and_not1_saveexec_b32 s0, s0
; %bb.22:                               ;   in Loop: Header=BB60_10 Depth=1
	v_mov_b32_e32 v9, v14
; %bb.23:                               ;   in Loop: Header=BB60_10 Depth=1
	s_or_b32 exec_lo, exec_lo, s0
.LBB60_24:                              ;   in Loop: Header=BB60_10 Depth=1
	s_delay_alu instid0(SALU_CYCLE_1)
	s_or_b32 exec_lo, exec_lo, s43
.LBB60_25:                              ;   in Loop: Header=BB60_10 Depth=1
	s_and_not1_saveexec_b32 s0, s42
	s_delay_alu instid0(SALU_CYCLE_1)
	s_or_b32 exec_lo, exec_lo, s0
                                        ; implicit-def: $vgpr10
.LBB60_26:                              ;   in Loop: Header=BB60_10 Depth=1
	s_and_not1_saveexec_b32 s0, s41
; %bb.27:                               ;   in Loop: Header=BB60_10 Depth=1
	v_cmp_eq_u64_e32 vcc_lo, 0, v[2:3]
	v_or_b32_e32 v8, 0x7f, v10
	s_delay_alu instid0(VALU_DEP_1)
	v_cndmask_b32_e32 v9, v8, v9, vcc_lo
; %bb.28:                               ;   in Loop: Header=BB60_10 Depth=1
	s_or_b32 exec_lo, exec_lo, s0
	s_waitcnt lgkmcnt(0)
	v_div_scale_f32 v2, null, s1, s1, v13
	v_div_scale_f32 v11, vcc_lo, v13, s1, v13
	v_add_co_u32 v16, s0, s37, v1
	s_delay_alu instid0(VALU_DEP_3)
	v_rcp_f32_e32 v8, v2
	v_add_co_ci_u32_e64 v17, null, s38, 0, s0
	s_mov_b32 s0, exec_lo
	v_mov_b32_e32 v15, v3
	global_store_b8 v[16:17], v9, off
	v_fma_f32 v10, -v2, v8, 1.0
	s_delay_alu instid0(VALU_DEP_1) | instskip(NEXT) | instid1(VALU_DEP_1)
	v_fmac_f32_e32 v8, v10, v8
	v_mul_f32_e32 v10, v11, v8
	s_delay_alu instid0(VALU_DEP_1) | instskip(NEXT) | instid1(VALU_DEP_1)
	v_fma_f32 v14, -v2, v10, v11
	v_fmac_f32_e32 v10, v14, v8
	s_delay_alu instid0(VALU_DEP_1) | instskip(NEXT) | instid1(VALU_DEP_1)
	v_fma_f32 v2, -v2, v10, v11
	v_div_fmas_f32 v2, v2, v8, v10
	s_delay_alu instid0(VALU_DEP_1) | instskip(NEXT) | instid1(VALU_DEP_1)
	v_div_fixup_f32 v8, v2, s1, v13
	v_lshrrev_b32_e32 v11, 24, v8
	v_and_b32_e32 v14, 0x7f800000, v8
	v_and_b32_e32 v2, 0x7fffff, v8
	s_delay_alu instid0(VALU_DEP_3) | instskip(NEXT) | instid1(VALU_DEP_1)
	v_and_b32_e32 v13, 0x80, v11
	v_or_b32_e32 v10, 0x7e, v13
	s_delay_alu instid0(VALU_DEP_4)
	v_cmpx_ne_u64_e32 0x7f800000, v[14:15]
	s_xor_b32 s41, exec_lo, s0
	s_cbranch_execz .LBB60_44
; %bb.29:                               ;   in Loop: Header=BB60_10 Depth=1
	v_dual_mov_b32 v15, v3 :: v_dual_and_b32 v14, 0x7fffffff, v8
	s_mov_b32 s0, exec_lo
	s_delay_alu instid0(VALU_DEP_1)
	v_cmpx_gt_u64_e32 0x43e00001, v[14:15]
	s_xor_b32 s42, exec_lo, s0
	s_cbranch_execz .LBB60_43
; %bb.30:                               ;   in Loop: Header=BB60_10 Depth=1
	v_mov_b32_e32 v10, 0
	s_mov_b32 s43, exec_lo
	v_cmpx_ne_u32_e32 0, v8
	s_cbranch_execz .LBB60_42
; %bb.31:                               ;   in Loop: Header=BB60_10 Depth=1
	v_bfe_u32 v14, v8, 23, 8
	v_or_b32_e32 v10, 0x800000, v2
	s_delay_alu instid0(VALU_DEP_2) | instskip(SKIP_1) | instid1(VALU_DEP_2)
	v_sub_nc_u32_e32 v8, 0x79, v14
	v_cmp_gt_u32_e32 vcc_lo, 0x7a, v14
	v_cndmask_b32_e32 v8, 0, v8, vcc_lo
	v_cmp_eq_u32_e32 vcc_lo, 0, v14
	s_delay_alu instid0(VALU_DEP_2) | instskip(SKIP_1) | instid1(VALU_DEP_2)
	v_cndmask_b32_e64 v15, v8, 0x78, vcc_lo
	v_cndmask_b32_e32 v2, v10, v2, vcc_lo
	v_add_nc_u32_e32 v8, 20, v15
	v_add_nc_u32_e32 v10, 19, v15
	s_delay_alu instid0(VALU_DEP_2) | instskip(NEXT) | instid1(VALU_DEP_2)
	v_lshlrev_b64 v[8:9], v8, -1
	v_lshlrev_b64 v[10:11], v10, 1
	s_delay_alu instid0(VALU_DEP_2) | instskip(NEXT) | instid1(VALU_DEP_3)
	v_not_b32_e32 v9, v9
	v_not_b32_e32 v8, v8
	s_delay_alu instid0(VALU_DEP_2) | instskip(NEXT) | instid1(VALU_DEP_2)
	v_and_b32_e32 v17, 0, v9
	v_and_b32_e32 v16, v2, v8
	v_lshrrev_b64 v[8:9], v15, v[2:3]
	s_delay_alu instid0(VALU_DEP_2) | instskip(NEXT) | instid1(VALU_DEP_2)
	v_cmp_eq_u64_e64 s0, v[16:17], v[10:11]
	v_dual_mov_b32 v11, v9 :: v_dual_mov_b32 v10, v8
	s_delay_alu instid0(VALU_DEP_2)
	s_and_saveexec_b32 s44, s0
; %bb.32:                               ;   in Loop: Header=BB60_10 Depth=1
	v_bfe_u32 v2, v8, 20, 1
	s_delay_alu instid0(VALU_DEP_1) | instskip(NEXT) | instid1(VALU_DEP_1)
	v_add_co_u32 v2, s0, v8, v2
	v_add_co_u32 v10, s0, v2, -1
; %bb.33:                               ;   in Loop: Header=BB60_10 Depth=1
	s_or_b32 exec_lo, exec_lo, s44
	v_add_nc_u32_e32 v2, 0xffffff81, v14
	v_lshrrev_b32_e32 v11, 23, v8
	s_mov_b32 s0, exec_lo
	s_delay_alu instid0(VALU_DEP_2) | instskip(NEXT) | instid1(VALU_DEP_1)
	v_cndmask_b32_e64 v2, v2, 0xffffff82, vcc_lo
	v_add3_u32 v11, v15, v2, v11
	v_and_b32_e32 v2, 0xfffff, v10
	s_delay_alu instid0(VALU_DEP_2) | instskip(NEXT) | instid1(VALU_DEP_2)
	v_add_nc_u32_e32 v10, 6, v11
	v_add_co_u32 v8, vcc_lo, v2, v8
	v_add_co_ci_u32_e32 v9, vcc_lo, 0, v9, vcc_lo
                                        ; implicit-def: $vgpr2
	s_delay_alu instid0(VALU_DEP_3)
	v_cmpx_ne_u32_e32 0, v10
	s_xor_b32 s0, exec_lo, s0
; %bb.34:                               ;   in Loop: Header=BB60_10 Depth=1
	s_delay_alu instid0(VALU_DEP_2) | instskip(SKIP_1) | instid1(VALU_DEP_1)
	v_cmp_lt_u64_e32 vcc_lo, 0xffffff, v[8:9]
	v_add_nc_u32_e32 v2, 7, v11
	v_cndmask_b32_e32 v2, v10, v2, vcc_lo
	v_cndmask_b32_e64 v10, 0, 1, vcc_lo
	s_delay_alu instid0(VALU_DEP_1)
	v_lshrrev_b64 v[8:9], v10, v[8:9]
; %bb.35:                               ;   in Loop: Header=BB60_10 Depth=1
	s_and_not1_saveexec_b32 s0, s0
; %bb.36:                               ;   in Loop: Header=BB60_10 Depth=1
	s_delay_alu instid0(VALU_DEP_1)
	v_bfe_u32 v2, v8, 23, 1
; %bb.37:                               ;   in Loop: Header=BB60_10 Depth=1
	s_or_b32 exec_lo, exec_lo, s0
	s_delay_alu instid0(VALU_DEP_2) | instskip(NEXT) | instid1(VALU_DEP_2)
	v_lshrrev_b64 v[8:9], 20, v[8:9]
	v_cmp_gt_i32_e32 vcc_lo, 16, v2
	v_cmp_ne_u32_e64 s0, 0, v2
                                        ; implicit-def: $vgpr10
	s_delay_alu instid0(VALU_DEP_3) | instskip(NEXT) | instid1(VALU_DEP_1)
	v_dual_cndmask_b32 v9, 0, v9 :: v_dual_cndmask_b32 v8, 7, v8
	v_cmp_ne_u64_e32 vcc_lo, 0, v[8:9]
	s_delay_alu instid0(VALU_DEP_3) | instskip(NEXT) | instid1(SALU_CYCLE_1)
	s_or_b32 s0, s0, vcc_lo
	s_and_saveexec_b32 s44, s0
	s_delay_alu instid0(SALU_CYCLE_1)
	s_xor_b32 s0, exec_lo, s44
; %bb.38:                               ;   in Loop: Header=BB60_10 Depth=1
	v_min_i32_e32 v2, 15, v2
	s_delay_alu instid0(VALU_DEP_1) | instskip(NEXT) | instid1(VALU_DEP_1)
	v_lshl_or_b32 v2, v2, 3, v13
                                        ; implicit-def: $vgpr13
	v_and_or_b32 v10, v8, 7, v2
; %bb.39:                               ;   in Loop: Header=BB60_10 Depth=1
	s_and_not1_saveexec_b32 s0, s0
; %bb.40:                               ;   in Loop: Header=BB60_10 Depth=1
	v_mov_b32_e32 v10, v13
; %bb.41:                               ;   in Loop: Header=BB60_10 Depth=1
	s_or_b32 exec_lo, exec_lo, s0
.LBB60_42:                              ;   in Loop: Header=BB60_10 Depth=1
	s_delay_alu instid0(SALU_CYCLE_1)
	s_or_b32 exec_lo, exec_lo, s43
.LBB60_43:                              ;   in Loop: Header=BB60_10 Depth=1
	s_and_not1_saveexec_b32 s0, s42
	s_delay_alu instid0(SALU_CYCLE_1)
	s_or_b32 exec_lo, exec_lo, s0
                                        ; implicit-def: $vgpr11
.LBB60_44:                              ;   in Loop: Header=BB60_10 Depth=1
	s_and_not1_saveexec_b32 s0, s41
	s_cbranch_execz .LBB60_9
; %bb.45:                               ;   in Loop: Header=BB60_10 Depth=1
	v_cmp_eq_u64_e32 vcc_lo, 0, v[2:3]
	v_or_b32_e32 v8, 0x7f, v11
	s_delay_alu instid0(VALU_DEP_1)
	v_cndmask_b32_e32 v10, v8, v10, vcc_lo
	s_branch .LBB60_9
.LBB60_46:
	s_or_b32 exec_lo, exec_lo, s35
	s_delay_alu instid0(SALU_CYCLE_1)
	s_mov_b32 s0, exec_lo
	v_cmpx_gt_i32_e64 s6, v1
	s_cbranch_execz .LBB60_67
; %bb.47:
	s_mul_i32 s1, s16, s11
	s_mul_hi_u32 s8, s16, s10
	s_mul_i32 s0, s16, s10
	s_add_i32 s1, s8, s1
	v_mov_b32_e32 v4, 0
	s_lshl_b64 s[8:9], s[0:1], 1
	s_load_b32 s0, s[2:3], 0x8c
	s_waitcnt lgkmcnt(0)
	s_load_b32 s3, s[24:25], 0x0
	s_add_u32 s1, s14, s8
	s_addc_u32 s2, s15, s9
	s_ashr_i32 s4, s4, 31
	s_delay_alu instid0(SALU_CYCLE_1) | instskip(NEXT) | instid1(SALU_CYCLE_1)
	s_mul_i32 s4, s22, s4
	s_add_i32 s4, s31, s4
	s_delay_alu instid0(SALU_CYCLE_1) | instskip(SKIP_3) | instid1(SALU_CYCLE_1)
	s_add_i32 s4, s4, s33
	s_add_u32 s8, s18, s34
	s_addc_u32 s9, s19, s4
	s_ashr_i32 s4, s5, 31
	s_mul_i32 s7, s7, s4
	s_delay_alu instid0(SALU_CYCLE_1) | instskip(NEXT) | instid1(SALU_CYCLE_1)
	s_add_i32 s4, s30, s7
	s_add_i32 s5, s4, s17
	s_add_u32 s4, s8, s23
	s_addc_u32 s5, s9, s5
	s_and_b32 s7, s0, 0xffff
	s_mov_b32 s8, 0
	s_branch .LBB60_49
.LBB60_48:                              ;   in Loop: Header=BB60_49 Depth=1
	s_or_b32 exec_lo, exec_lo, s0
	v_add_co_u32 v7, vcc_lo, s4, v1
	v_add_nc_u32_e32 v1, s7, v1
	v_add_co_ci_u32_e32 v8, vcc_lo, s5, v2, vcc_lo
	s_delay_alu instid0(VALU_DEP_2) | instskip(SKIP_2) | instid1(SALU_CYCLE_1)
	v_cmp_le_i32_e32 vcc_lo, s6, v1
	global_store_b8 v[7:8], v6, off
	s_or_b32 s8, vcc_lo, s8
	s_and_not1_b32 exec_lo, exec_lo, s8
	s_cbranch_execz .LBB60_67
.LBB60_49:                              ; =>This Inner Loop Header: Depth=1
	v_ashrrev_i32_e32 v2, 31, v1
	s_mov_b32 s0, exec_lo
	v_mov_b32_e32 v9, v4
	s_delay_alu instid0(VALU_DEP_2) | instskip(NEXT) | instid1(VALU_DEP_1)
	v_lshlrev_b64 v[5:6], 1, v[1:2]
	v_add_co_u32 v5, vcc_lo, s1, v5
	s_delay_alu instid0(VALU_DEP_2) | instskip(SKIP_3) | instid1(VALU_DEP_1)
	v_add_co_ci_u32_e32 v6, vcc_lo, s2, v6, vcc_lo
	global_load_b32 v0, v[5:6], off
	s_waitcnt vmcnt(0) lgkmcnt(0)
	v_div_scale_f32 v3, null, s3, s3, v0
	v_rcp_f32_e32 v5, v3
	s_waitcnt_depctr 0xfff
	v_fma_f32 v6, -v3, v5, 1.0
	s_delay_alu instid0(VALU_DEP_1) | instskip(SKIP_1) | instid1(VALU_DEP_1)
	v_fmac_f32_e32 v5, v6, v5
	v_div_scale_f32 v6, vcc_lo, v0, s3, v0
	v_mul_f32_e32 v7, v6, v5
	s_delay_alu instid0(VALU_DEP_1) | instskip(NEXT) | instid1(VALU_DEP_1)
	v_fma_f32 v8, -v3, v7, v6
	v_fmac_f32_e32 v7, v8, v5
	s_delay_alu instid0(VALU_DEP_1) | instskip(NEXT) | instid1(VALU_DEP_1)
	v_fma_f32 v3, -v3, v7, v6
	v_div_fmas_f32 v3, v3, v5, v7
	s_delay_alu instid0(VALU_DEP_1) | instskip(NEXT) | instid1(VALU_DEP_1)
	v_div_fixup_f32 v5, v3, s3, v0
	v_lshrrev_b32_e32 v7, 24, v5
	v_and_b32_e32 v8, 0x7f800000, v5
	v_and_b32_e32 v3, 0x7fffff, v5
	s_delay_alu instid0(VALU_DEP_3) | instskip(NEXT) | instid1(VALU_DEP_1)
	v_and_b32_e32 v0, 0x80, v7
	v_or_b32_e32 v6, 0x7e, v0
	s_delay_alu instid0(VALU_DEP_4)
	v_cmpx_ne_u64_e32 0x7f800000, v[8:9]
	s_xor_b32 s9, exec_lo, s0
	s_cbranch_execz .LBB60_65
; %bb.50:                               ;   in Loop: Header=BB60_49 Depth=1
	v_dual_mov_b32 v8, v4 :: v_dual_and_b32 v7, 0x7fffffff, v5
	s_mov_b32 s0, exec_lo
	s_delay_alu instid0(VALU_DEP_1)
	v_cmpx_gt_u64_e32 0x43e00001, v[7:8]
	s_xor_b32 s10, exec_lo, s0
	s_cbranch_execz .LBB60_64
; %bb.51:                               ;   in Loop: Header=BB60_49 Depth=1
	v_mov_b32_e32 v6, 0
	s_mov_b32 s11, exec_lo
	v_cmpx_ne_u32_e32 0, v5
	s_cbranch_execz .LBB60_63
; %bb.52:                               ;   in Loop: Header=BB60_49 Depth=1
	v_bfe_u32 v9, v5, 23, 8
	v_or_b32_e32 v7, 0x800000, v3
	s_delay_alu instid0(VALU_DEP_2) | instskip(SKIP_1) | instid1(VALU_DEP_2)
	v_sub_nc_u32_e32 v5, 0x79, v9
	v_cmp_gt_u32_e32 vcc_lo, 0x7a, v9
	v_cndmask_b32_e32 v5, 0, v5, vcc_lo
	v_cmp_eq_u32_e32 vcc_lo, 0, v9
	s_delay_alu instid0(VALU_DEP_2) | instskip(SKIP_1) | instid1(VALU_DEP_2)
	v_cndmask_b32_e64 v10, v5, 0x78, vcc_lo
	v_cndmask_b32_e32 v3, v7, v3, vcc_lo
	v_add_nc_u32_e32 v5, 20, v10
	v_add_nc_u32_e32 v7, 19, v10
	s_delay_alu instid0(VALU_DEP_2) | instskip(NEXT) | instid1(VALU_DEP_2)
	v_lshlrev_b64 v[5:6], v5, -1
	v_lshlrev_b64 v[7:8], v7, 1
	s_delay_alu instid0(VALU_DEP_2) | instskip(NEXT) | instid1(VALU_DEP_3)
	v_not_b32_e32 v6, v6
	v_not_b32_e32 v5, v5
	s_delay_alu instid0(VALU_DEP_2) | instskip(NEXT) | instid1(VALU_DEP_2)
	v_and_b32_e32 v12, 0, v6
	v_and_b32_e32 v11, v3, v5
	v_lshrrev_b64 v[5:6], v10, v[3:4]
	s_delay_alu instid0(VALU_DEP_2) | instskip(NEXT) | instid1(VALU_DEP_2)
	v_cmp_eq_u64_e64 s0, v[11:12], v[7:8]
	v_dual_mov_b32 v8, v6 :: v_dual_mov_b32 v7, v5
	s_delay_alu instid0(VALU_DEP_2)
	s_and_saveexec_b32 s12, s0
; %bb.53:                               ;   in Loop: Header=BB60_49 Depth=1
	v_bfe_u32 v3, v5, 20, 1
	s_delay_alu instid0(VALU_DEP_1) | instskip(NEXT) | instid1(VALU_DEP_1)
	v_add_co_u32 v3, s0, v5, v3
	v_add_co_u32 v7, s0, v3, -1
; %bb.54:                               ;   in Loop: Header=BB60_49 Depth=1
	s_or_b32 exec_lo, exec_lo, s12
	v_add_nc_u32_e32 v3, 0xffffff81, v9
	v_lshrrev_b32_e32 v8, 23, v5
	s_mov_b32 s0, exec_lo
	s_delay_alu instid0(VALU_DEP_2) | instskip(NEXT) | instid1(VALU_DEP_1)
	v_cndmask_b32_e64 v3, v3, 0xffffff82, vcc_lo
	v_add3_u32 v8, v10, v3, v8
	v_and_b32_e32 v3, 0xfffff, v7
	s_delay_alu instid0(VALU_DEP_2) | instskip(NEXT) | instid1(VALU_DEP_2)
	v_add_nc_u32_e32 v7, 6, v8
	v_add_co_u32 v5, vcc_lo, v3, v5
	v_add_co_ci_u32_e32 v6, vcc_lo, 0, v6, vcc_lo
                                        ; implicit-def: $vgpr3
	s_delay_alu instid0(VALU_DEP_3)
	v_cmpx_ne_u32_e32 0, v7
	s_xor_b32 s0, exec_lo, s0
; %bb.55:                               ;   in Loop: Header=BB60_49 Depth=1
	s_delay_alu instid0(VALU_DEP_2) | instskip(SKIP_1) | instid1(VALU_DEP_1)
	v_cmp_lt_u64_e32 vcc_lo, 0xffffff, v[5:6]
	v_add_nc_u32_e32 v3, 7, v8
	v_cndmask_b32_e32 v3, v7, v3, vcc_lo
	v_cndmask_b32_e64 v7, 0, 1, vcc_lo
	s_delay_alu instid0(VALU_DEP_1)
	v_lshrrev_b64 v[5:6], v7, v[5:6]
; %bb.56:                               ;   in Loop: Header=BB60_49 Depth=1
	s_and_not1_saveexec_b32 s0, s0
; %bb.57:                               ;   in Loop: Header=BB60_49 Depth=1
	s_delay_alu instid0(VALU_DEP_1)
	v_bfe_u32 v3, v5, 23, 1
; %bb.58:                               ;   in Loop: Header=BB60_49 Depth=1
	s_or_b32 exec_lo, exec_lo, s0
	s_delay_alu instid0(VALU_DEP_2) | instskip(NEXT) | instid1(VALU_DEP_2)
	v_lshrrev_b64 v[5:6], 20, v[5:6]
	v_cmp_gt_i32_e32 vcc_lo, 16, v3
	v_cmp_ne_u32_e64 s0, 0, v3
	s_delay_alu instid0(VALU_DEP_3) | instskip(NEXT) | instid1(VALU_DEP_1)
	v_dual_cndmask_b32 v6, 0, v6 :: v_dual_cndmask_b32 v5, 7, v5
	v_cmp_ne_u64_e32 vcc_lo, 0, v[5:6]
                                        ; implicit-def: $vgpr6
	s_delay_alu instid0(VALU_DEP_3) | instskip(NEXT) | instid1(SALU_CYCLE_1)
	s_or_b32 s0, s0, vcc_lo
	s_and_saveexec_b32 s12, s0
	s_delay_alu instid0(SALU_CYCLE_1)
	s_xor_b32 s0, exec_lo, s12
; %bb.59:                               ;   in Loop: Header=BB60_49 Depth=1
	v_min_i32_e32 v3, 15, v3
	s_delay_alu instid0(VALU_DEP_1) | instskip(NEXT) | instid1(VALU_DEP_1)
	v_lshl_or_b32 v0, v3, 3, v0
	v_and_or_b32 v6, v5, 7, v0
                                        ; implicit-def: $vgpr0
; %bb.60:                               ;   in Loop: Header=BB60_49 Depth=1
	s_and_not1_saveexec_b32 s0, s0
; %bb.61:                               ;   in Loop: Header=BB60_49 Depth=1
	v_mov_b32_e32 v6, v0
; %bb.62:                               ;   in Loop: Header=BB60_49 Depth=1
	s_or_b32 exec_lo, exec_lo, s0
.LBB60_63:                              ;   in Loop: Header=BB60_49 Depth=1
	s_delay_alu instid0(SALU_CYCLE_1)
	s_or_b32 exec_lo, exec_lo, s11
.LBB60_64:                              ;   in Loop: Header=BB60_49 Depth=1
	s_and_not1_saveexec_b32 s0, s10
	s_delay_alu instid0(SALU_CYCLE_1)
	s_or_b32 exec_lo, exec_lo, s0
                                        ; implicit-def: $vgpr7
.LBB60_65:                              ;   in Loop: Header=BB60_49 Depth=1
	s_and_not1_saveexec_b32 s0, s9
	s_cbranch_execz .LBB60_48
; %bb.66:                               ;   in Loop: Header=BB60_49 Depth=1
	v_cmp_eq_u64_e32 vcc_lo, 0, v[3:4]
	v_or_b32_e32 v0, 0x7f, v7
	s_delay_alu instid0(VALU_DEP_1)
	v_cndmask_b32_e32 v6, v0, v6, vcc_lo
	s_branch .LBB60_48
.LBB60_67:
	s_nop 0
	s_sendmsg sendmsg(MSG_DEALLOC_VGPRS)
	s_endpgm
.LBB60_68:
                                        ; implicit-def: $sgpr22_sgpr23
	s_branch .LBB60_6
	.section	.rodata,"a",@progbits
	.p2align	6, 0x0
	.amdhsa_kernel _ZN4vllm38concat_and_cache_mla_rope_fused_kernelIN3c104HalfEfLb1EfhLNS_18Fp8KVCacheDataTypeE1EEEvPKlPT_S7_PKS6_PKT0_illlliPT3_S5_iiiiPKf
		.amdhsa_group_segment_fixed_size 4096
		.amdhsa_private_segment_fixed_size 0
		.amdhsa_kernarg_size 384
		.amdhsa_user_sgpr_count 15
		.amdhsa_user_sgpr_dispatch_ptr 1
		.amdhsa_user_sgpr_queue_ptr 0
		.amdhsa_user_sgpr_kernarg_segment_ptr 1
		.amdhsa_user_sgpr_dispatch_id 0
		.amdhsa_user_sgpr_private_segment_size 0
		.amdhsa_wavefront_size32 1
		.amdhsa_uses_dynamic_stack 0
		.amdhsa_enable_private_segment 0
		.amdhsa_system_sgpr_workgroup_id_x 1
		.amdhsa_system_sgpr_workgroup_id_y 0
		.amdhsa_system_sgpr_workgroup_id_z 0
		.amdhsa_system_sgpr_workgroup_info 0
		.amdhsa_system_vgpr_workitem_id 2
		.amdhsa_next_free_vgpr 21
		.amdhsa_next_free_sgpr 47
		.amdhsa_reserve_vcc 1
		.amdhsa_float_round_mode_32 0
		.amdhsa_float_round_mode_16_64 0
		.amdhsa_float_denorm_mode_32 3
		.amdhsa_float_denorm_mode_16_64 3
		.amdhsa_dx10_clamp 1
		.amdhsa_ieee_mode 1
		.amdhsa_fp16_overflow 0
		.amdhsa_workgroup_processor_mode 1
		.amdhsa_memory_ordered 1
		.amdhsa_forward_progress 0
		.amdhsa_shared_vgpr_count 0
		.amdhsa_exception_fp_ieee_invalid_op 0
		.amdhsa_exception_fp_denorm_src 0
		.amdhsa_exception_fp_ieee_div_zero 0
		.amdhsa_exception_fp_ieee_overflow 0
		.amdhsa_exception_fp_ieee_underflow 0
		.amdhsa_exception_fp_ieee_inexact 0
		.amdhsa_exception_int_div_zero 0
	.end_amdhsa_kernel
	.section	.text._ZN4vllm38concat_and_cache_mla_rope_fused_kernelIN3c104HalfEfLb1EfhLNS_18Fp8KVCacheDataTypeE1EEEvPKlPT_S7_PKS6_PKT0_illlliPT3_S5_iiiiPKf,"axG",@progbits,_ZN4vllm38concat_and_cache_mla_rope_fused_kernelIN3c104HalfEfLb1EfhLNS_18Fp8KVCacheDataTypeE1EEEvPKlPT_S7_PKS6_PKT0_illlliPT3_S5_iiiiPKf,comdat
.Lfunc_end60:
	.size	_ZN4vllm38concat_and_cache_mla_rope_fused_kernelIN3c104HalfEfLb1EfhLNS_18Fp8KVCacheDataTypeE1EEEvPKlPT_S7_PKS6_PKT0_illlliPT3_S5_iiiiPKf, .Lfunc_end60-_ZN4vllm38concat_and_cache_mla_rope_fused_kernelIN3c104HalfEfLb1EfhLNS_18Fp8KVCacheDataTypeE1EEEvPKlPT_S7_PKS6_PKT0_illlliPT3_S5_iiiiPKf
                                        ; -- End function
	.section	.AMDGPU.csdata,"",@progbits
; Kernel info:
; codeLenInByte = 4528
; NumSgprs: 49
; NumVgprs: 21
; ScratchSize: 0
; MemoryBound: 0
; FloatMode: 240
; IeeeMode: 1
; LDSByteSize: 4096 bytes/workgroup (compile time only)
; SGPRBlocks: 6
; VGPRBlocks: 2
; NumSGPRsForWavesPerEU: 49
; NumVGPRsForWavesPerEU: 21
; Occupancy: 16
; WaveLimiterHint : 1
; COMPUTE_PGM_RSRC2:SCRATCH_EN: 0
; COMPUTE_PGM_RSRC2:USER_SGPR: 15
; COMPUTE_PGM_RSRC2:TRAP_HANDLER: 0
; COMPUTE_PGM_RSRC2:TGID_X_EN: 1
; COMPUTE_PGM_RSRC2:TGID_Y_EN: 0
; COMPUTE_PGM_RSRC2:TGID_Z_EN: 0
; COMPUTE_PGM_RSRC2:TIDIG_COMP_CNT: 2
	.section	.text._ZN4vllm38concat_and_cache_mla_rope_fused_kernelIN3c104HalfEfLb0EfhLNS_18Fp8KVCacheDataTypeE1EEEvPKlPT_S7_PKS6_PKT0_illlliPT3_S5_iiiiPKf,"axG",@progbits,_ZN4vllm38concat_and_cache_mla_rope_fused_kernelIN3c104HalfEfLb0EfhLNS_18Fp8KVCacheDataTypeE1EEEvPKlPT_S7_PKS6_PKT0_illlliPT3_S5_iiiiPKf,comdat
	.protected	_ZN4vllm38concat_and_cache_mla_rope_fused_kernelIN3c104HalfEfLb0EfhLNS_18Fp8KVCacheDataTypeE1EEEvPKlPT_S7_PKS6_PKT0_illlliPT3_S5_iiiiPKf ; -- Begin function _ZN4vllm38concat_and_cache_mla_rope_fused_kernelIN3c104HalfEfLb0EfhLNS_18Fp8KVCacheDataTypeE1EEEvPKlPT_S7_PKS6_PKT0_illlliPT3_S5_iiiiPKf
	.globl	_ZN4vllm38concat_and_cache_mla_rope_fused_kernelIN3c104HalfEfLb0EfhLNS_18Fp8KVCacheDataTypeE1EEEvPKlPT_S7_PKS6_PKT0_illlliPT3_S5_iiiiPKf
	.p2align	8
	.type	_ZN4vllm38concat_and_cache_mla_rope_fused_kernelIN3c104HalfEfLb0EfhLNS_18Fp8KVCacheDataTypeE1EEEvPKlPT_S7_PKS6_PKT0_illlliPT3_S5_iiiiPKf,@function
_ZN4vllm38concat_and_cache_mla_rope_fused_kernelIN3c104HalfEfLb0EfhLNS_18Fp8KVCacheDataTypeE1EEEvPKlPT_S7_PKS6_PKT0_illlliPT3_S5_iiiiPKf: ; @_ZN4vllm38concat_and_cache_mla_rope_fused_kernelIN3c104HalfEfLb0EfhLNS_18Fp8KVCacheDataTypeE1EEEvPKlPT_S7_PKS6_PKT0_illlliPT3_S5_iiiiPKf
; %bb.0:
	s_load_b64 s[6:7], s[2:3], 0x60
	s_mov_b32 s16, s15
	s_mov_b32 s17, 0
	s_delay_alu instid0(SALU_CYCLE_1)
	s_lshl_b64 s[4:5], s[16:17], 3
	s_waitcnt lgkmcnt(0)
	s_add_u32 s6, s6, s4
	s_addc_u32 s7, s7, s5
	s_load_b64 s[28:29], s[6:7], 0x0
	s_waitcnt lgkmcnt(0)
	v_cmp_lt_i64_e64 s6, s[28:29], 0
	s_delay_alu instid0(VALU_DEP_1)
	s_and_b32 vcc_lo, exec_lo, s6
	s_cbranch_vccnz .LBB61_67
; %bb.1:
	s_clause 0x3
	s_load_b32 s21, s[2:3], 0x28
	s_load_b64 s[6:7], s[2:3], 0x0
	s_load_b128 s[12:15], s[2:3], 0x10
	s_load_b32 s17, s[2:3], 0x50
	v_and_b32_e32 v1, 0x3ff, v0
	s_delay_alu instid0(VALU_DEP_1)
	v_lshlrev_b32_e32 v4, 1, v1
	s_waitcnt lgkmcnt(0)
	s_ashr_i32 s24, s21, 31
	s_add_u32 s4, s6, s4
	s_addc_u32 s5, s7, s5
	s_lshr_b32 s20, s21, 31
	s_load_b64 s[22:23], s[4:5], 0x0
	s_clause 0x2
	s_load_b64 s[26:27], s[2:3], 0x20
	s_load_b64 s[18:19], s[2:3], 0x58
	s_load_b256 s[4:11], s[2:3], 0x30
	s_add_i32 s20, s21, s20
	s_delay_alu instid0(SALU_CYCLE_1) | instskip(NEXT) | instid1(SALU_CYCLE_1)
	s_ashr_i32 s20, s20, 1
	s_mul_i32 s17, s20, s17
	s_waitcnt lgkmcnt(0)
	s_mul_i32 s24, s22, s24
	s_mul_hi_u32 s25, s22, s21
	s_mul_i32 s23, s23, s21
	s_add_i32 s24, s25, s24
	s_mul_i32 s30, s22, s21
	s_add_i32 s31, s24, s23
	s_mov_b32 s22, exec_lo
	v_cmpx_gt_i32_e64 s17, v1
	s_cbranch_execz .LBB61_4
; %bb.2:
	s_clause 0x1
	s_load_b64 s[34:35], s[2:3], 0x8
	s_load_b32 s36, s[2:3], 0x8c
	s_lshl_b64 s[24:25], s[30:31], 2
	s_mul_i32 s5, s16, s5
	s_mul_hi_u32 s21, s16, s4
	s_add_u32 s23, s26, s24
	s_mul_i32 s4, s16, s4
	s_addc_u32 s24, s27, s25
	s_add_i32 s5, s21, s5
	s_ashr_i32 s21, s20, 31
	s_lshl_b64 s[4:5], s[4:5], 1
	s_waitcnt lgkmcnt(0)
	s_add_u32 s25, s34, s4
	s_addc_u32 s33, s35, s5
	s_abs_i32 s34, s20
	s_and_b32 s36, s36, 0xffff
	v_cvt_f32_u32_e32 v2, s34
	s_sub_i32 s4, 0, s34
	s_mov_b32 s35, 0
	s_sub_i32 s37, 0, s20
	s_lshl_b32 s39, s36, 1
	v_rcp_iflag_f32_e32 v2, v2
	s_waitcnt_depctr 0xfff
	v_mul_f32_e32 v2, 0x4f7ffffe, v2
	s_delay_alu instid0(VALU_DEP_1) | instskip(NEXT) | instid1(VALU_DEP_1)
	v_cvt_u32_f32_e32 v3, v2
	v_mul_lo_u32 v2, s4, v3
	s_lshl_b32 s4, s20, 1
	s_delay_alu instid0(SALU_CYCLE_1) | instskip(SKIP_1) | instid1(VALU_DEP_1)
	s_sub_i32 s38, 0, s4
	s_lshl_b64 s[4:5], s[20:21], 2
	v_mul_hi_u32 v5, v3, v2
	s_delay_alu instid0(VALU_DEP_1)
	v_dual_mov_b32 v2, v4 :: v_dual_add_nc_u32 v5, v3, v5
	v_mov_b32_e32 v3, v1
.LBB61_3:                               ; =>This Inner Loop Header: Depth=1
	s_delay_alu instid0(VALU_DEP_1) | instskip(SKIP_1) | instid1(VALU_DEP_2)
	v_sub_nc_u32_e32 v6, 0, v3
	v_ashrrev_i32_e32 v7, 31, v3
	v_max_i32_e32 v6, v3, v6
	s_delay_alu instid0(VALU_DEP_2) | instskip(NEXT) | instid1(VALU_DEP_2)
	v_xor_b32_e32 v7, s21, v7
	v_mul_hi_u32 v8, v6, v5
	s_delay_alu instid0(VALU_DEP_1) | instskip(SKIP_1) | instid1(VALU_DEP_2)
	v_mul_lo_u32 v9, v8, s34
	v_add_nc_u32_e32 v10, 1, v8
	v_sub_nc_u32_e32 v6, v6, v9
	s_delay_alu instid0(VALU_DEP_1) | instskip(SKIP_1) | instid1(VALU_DEP_4)
	v_subrev_nc_u32_e32 v9, s34, v6
	v_cmp_le_u32_e32 vcc_lo, s34, v6
	v_cndmask_b32_e32 v8, v8, v10, vcc_lo
	s_delay_alu instid0(VALU_DEP_1) | instskip(NEXT) | instid1(VALU_DEP_1)
	v_dual_cndmask_b32 v6, v6, v9 :: v_dual_add_nc_u32 v9, 1, v8
	v_cmp_le_u32_e32 vcc_lo, s34, v6
	s_delay_alu instid0(VALU_DEP_2) | instskip(NEXT) | instid1(VALU_DEP_1)
	v_cndmask_b32_e32 v6, v8, v9, vcc_lo
	v_xor_b32_e32 v6, v6, v7
	s_delay_alu instid0(VALU_DEP_1) | instskip(NEXT) | instid1(VALU_DEP_1)
	v_sub_nc_u32_e32 v12, v6, v7
	v_mad_u64_u32 v[6:7], null, s37, v12, v[3:4]
	v_ashrrev_i32_e32 v7, 31, v12
	v_mul_lo_u32 v13, v12, s7
	v_mad_u64_u32 v[8:9], null, v12, s6, 0
	v_mad_u64_u32 v[10:11], null, s38, v12, v[2:3]
	s_delay_alu instid0(VALU_DEP_4) | instskip(SKIP_3) | instid1(VALU_DEP_3)
	v_mul_lo_u32 v12, v7, s6
	v_ashrrev_i32_e32 v7, 31, v6
	v_add_nc_u32_e32 v3, s36, v3
	v_add_nc_u32_e32 v2, s39, v2
	v_lshlrev_b64 v[6:7], 2, v[6:7]
	v_ashrrev_i32_e32 v11, 31, v10
	v_add3_u32 v9, v9, v13, v12
	s_delay_alu instid0(VALU_DEP_3) | instskip(NEXT) | instid1(VALU_DEP_2)
	v_add_co_u32 v6, vcc_lo, s23, v6
	v_lshlrev_b64 v[8:9], 1, v[8:9]
	v_add_co_ci_u32_e32 v7, vcc_lo, s24, v7, vcc_lo
	v_lshlrev_b64 v[10:11], 1, v[10:11]
	s_delay_alu instid0(VALU_DEP_3) | instskip(NEXT) | instid1(VALU_DEP_4)
	v_add_co_u32 v12, vcc_lo, s25, v8
	v_add_co_ci_u32_e32 v13, vcc_lo, s33, v9, vcc_lo
	v_add_co_u32 v8, vcc_lo, v6, s4
	v_add_co_ci_u32_e32 v9, vcc_lo, s5, v7, vcc_lo
	s_delay_alu instid0(VALU_DEP_4) | instskip(NEXT) | instid1(VALU_DEP_4)
	v_add_co_u32 v10, vcc_lo, v12, v10
	v_add_co_ci_u32_e32 v11, vcc_lo, v13, v11, vcc_lo
	s_clause 0x1
	global_load_b32 v6, v[6:7], off
	global_load_b32 v7, v[8:9], off
	;; [unrolled: 1-line block ×3, first 2 shown]
	v_cmp_le_i32_e32 vcc_lo, s17, v3
	s_or_b32 s35, vcc_lo, s35
	s_waitcnt vmcnt(2)
	v_cvt_f16_f32_e32 v6, v6
	s_waitcnt vmcnt(1)
	v_cvt_f16_f32_e32 v7, v7
	s_waitcnt vmcnt(0)
	v_lshrrev_b32_e32 v9, 16, v8
	s_delay_alu instid0(VALU_DEP_1) | instskip(SKIP_1) | instid1(VALU_DEP_2)
	v_mul_f16_e32 v12, v9, v7
	v_mul_f16_e32 v9, v9, v6
	v_fma_f16 v6, v8, v6, -v12
	s_delay_alu instid0(VALU_DEP_2) | instskip(NEXT) | instid1(VALU_DEP_1)
	v_fmac_f16_e32 v9, v8, v7
	v_pack_b32_f16 v6, v6, v9
	global_store_b32 v[10:11], v6, off
	s_and_not1_b32 exec_lo, exec_lo, s35
	s_cbranch_execnz .LBB61_3
.LBB61_4:
	s_or_b32 exec_lo, exec_lo, s22
	s_load_b128 s[4:7], s[2:3], 0x68
	s_waitcnt lgkmcnt(0)
	s_ashr_i32 s35, s7, 31
	s_mov_b32 s34, s7
	s_delay_alu instid0(SALU_CYCLE_1) | instskip(SKIP_1) | instid1(SALU_CYCLE_1)
	s_or_b64 s[24:25], s[28:29], s[34:35]
	s_mov_b32 s24, 0
	s_cmp_lg_u64 s[24:25], 0
	s_cbranch_scc0 .LBB61_68
; %bb.5:
	s_add_u32 s36, s34, s35
	s_mov_b32 s22, s35
	s_mov_b32 s23, s35
	s_addc_u32 s37, s35, s35
	s_delay_alu instid0(SALU_CYCLE_1) | instskip(NEXT) | instid1(SALU_CYCLE_1)
	s_xor_b64 s[36:37], s[36:37], s[22:23]
	v_cvt_f32_u32_e32 v2, s36
	v_cvt_f32_u32_e32 v3, s37
	s_sub_u32 s21, 0, s36
	s_subb_u32 s25, 0, s37
	s_delay_alu instid0(VALU_DEP_1) | instskip(NEXT) | instid1(VALU_DEP_1)
	v_fmamk_f32 v2, v3, 0x4f800000, v2
	v_rcp_f32_e32 v2, v2
	s_waitcnt_depctr 0xfff
	v_mul_f32_e32 v2, 0x5f7ffffc, v2
	s_delay_alu instid0(VALU_DEP_1) | instskip(NEXT) | instid1(VALU_DEP_1)
	v_mul_f32_e32 v3, 0x2f800000, v2
	v_trunc_f32_e32 v3, v3
	s_delay_alu instid0(VALU_DEP_1) | instskip(SKIP_1) | instid1(VALU_DEP_2)
	v_fmamk_f32 v2, v3, 0xcf800000, v2
	v_cvt_u32_f32_e32 v3, v3
	v_cvt_u32_f32_e32 v2, v2
	s_delay_alu instid0(VALU_DEP_2) | instskip(NEXT) | instid1(VALU_DEP_2)
	v_readfirstlane_b32 s7, v3
	v_readfirstlane_b32 s17, v2
	s_delay_alu instid0(VALU_DEP_2) | instskip(NEXT) | instid1(VALU_DEP_1)
	s_mul_i32 s33, s21, s7
	s_mul_hi_u32 s39, s21, s17
	s_mul_i32 s38, s25, s17
	s_add_i32 s33, s39, s33
	s_mul_i32 s40, s21, s17
	s_add_i32 s33, s33, s38
	s_mul_hi_u32 s39, s17, s40
	s_mul_hi_u32 s41, s7, s40
	s_mul_i32 s38, s7, s40
	s_mul_hi_u32 s40, s17, s33
	s_mul_i32 s17, s17, s33
	s_mul_hi_u32 s42, s7, s33
	s_add_u32 s17, s39, s17
	s_addc_u32 s39, 0, s40
	s_add_u32 s17, s17, s38
	s_mul_i32 s33, s7, s33
	s_addc_u32 s17, s39, s41
	s_addc_u32 s38, s42, 0
	s_add_u32 s17, s17, s33
	s_addc_u32 s33, 0, s38
	v_add_co_u32 v2, s17, v2, s17
	s_delay_alu instid0(VALU_DEP_1) | instskip(SKIP_1) | instid1(VALU_DEP_1)
	s_cmp_lg_u32 s17, 0
	s_addc_u32 s7, s7, s33
	v_readfirstlane_b32 s17, v2
	s_mul_i32 s33, s21, s7
	s_delay_alu instid0(VALU_DEP_1)
	s_mul_hi_u32 s38, s21, s17
	s_mul_i32 s25, s25, s17
	s_add_i32 s33, s38, s33
	s_mul_i32 s21, s21, s17
	s_add_i32 s33, s33, s25
	s_mul_hi_u32 s38, s7, s21
	s_mul_i32 s39, s7, s21
	s_mul_hi_u32 s21, s17, s21
	s_mul_hi_u32 s40, s17, s33
	s_mul_i32 s17, s17, s33
	s_mul_hi_u32 s25, s7, s33
	s_add_u32 s17, s21, s17
	s_addc_u32 s21, 0, s40
	s_add_u32 s17, s17, s39
	s_mul_i32 s33, s7, s33
	s_addc_u32 s17, s21, s38
	s_addc_u32 s21, s25, 0
	s_add_u32 s17, s17, s33
	s_addc_u32 s21, 0, s21
	v_add_co_u32 v2, s17, v2, s17
	s_delay_alu instid0(VALU_DEP_1) | instskip(SKIP_2) | instid1(VALU_DEP_1)
	s_cmp_lg_u32 s17, 0
	s_addc_u32 s7, s7, s21
	s_ashr_i32 s38, s29, 31
	v_readfirstlane_b32 s17, v2
	s_add_u32 s40, s28, s38
	s_mov_b32 s39, s38
	s_addc_u32 s41, s29, s38
	s_delay_alu instid0(SALU_CYCLE_1) | instskip(NEXT) | instid1(SALU_CYCLE_1)
	s_xor_b64 s[40:41], s[40:41], s[38:39]
	s_mul_i32 s25, s40, s7
	s_mul_hi_u32 s33, s40, s17
	s_mul_hi_u32 s21, s40, s7
	;; [unrolled: 1-line block ×3, first 2 shown]
	s_mul_i32 s17, s41, s17
	s_add_u32 s25, s33, s25
	s_addc_u32 s21, 0, s21
	s_mul_hi_u32 s42, s41, s7
	s_add_u32 s17, s25, s17
	s_mul_i32 s7, s41, s7
	s_addc_u32 s17, s21, s43
	s_addc_u32 s21, s42, 0
	s_add_u32 s7, s17, s7
	s_addc_u32 s17, 0, s21
	s_mul_hi_u32 s21, s36, s7
	s_mul_i32 s33, s36, s17
	s_mul_i32 s42, s36, s7
	s_add_i32 s21, s21, s33
	v_sub_co_u32 v2, s33, s40, s42
	s_mul_i32 s25, s37, s7
	s_delay_alu instid0(SALU_CYCLE_1) | instskip(NEXT) | instid1(VALU_DEP_1)
	s_add_i32 s21, s21, s25
	v_sub_co_u32 v3, s40, v2, s36
	s_sub_i32 s25, s41, s21
	s_cmp_lg_u32 s33, 0
	s_subb_u32 s25, s25, s37
	s_cmp_lg_u32 s40, 0
	v_readfirstlane_b32 s40, v3
	s_subb_u32 s25, s25, 0
	s_delay_alu instid0(SALU_CYCLE_1) | instskip(SKIP_1) | instid1(VALU_DEP_1)
	s_cmp_ge_u32 s25, s37
	s_cselect_b32 s42, -1, 0
	s_cmp_ge_u32 s40, s36
	s_cselect_b32 s40, -1, 0
	s_cmp_eq_u32 s25, s37
	s_cselect_b32 s25, s40, s42
	s_add_u32 s40, s7, 1
	s_addc_u32 s42, s17, 0
	s_add_u32 s43, s7, 2
	s_addc_u32 s44, s17, 0
	s_cmp_lg_u32 s25, 0
	s_cselect_b32 s25, s43, s40
	s_cselect_b32 s40, s44, s42
	s_cmp_lg_u32 s33, 0
	v_readfirstlane_b32 s33, v2
	s_subb_u32 s21, s41, s21
	s_delay_alu instid0(SALU_CYCLE_1) | instskip(SKIP_1) | instid1(VALU_DEP_1)
	s_cmp_ge_u32 s21, s37
	s_cselect_b32 s41, -1, 0
	s_cmp_ge_u32 s33, s36
	s_cselect_b32 s33, -1, 0
	s_cmp_eq_u32 s21, s37
	s_cselect_b32 s21, s33, s41
	s_delay_alu instid0(SALU_CYCLE_1) | instskip(SKIP_3) | instid1(SALU_CYCLE_1)
	s_cmp_lg_u32 s21, 0
	s_cselect_b32 s37, s40, s17
	s_cselect_b32 s36, s25, s7
	s_xor_b64 s[22:23], s[38:39], s[22:23]
	s_xor_b64 s[36:37], s[36:37], s[22:23]
	s_delay_alu instid0(SALU_CYCLE_1)
	s_sub_u32 s22, s36, s22
	s_subb_u32 s23, s37, s23
	s_and_not1_b32 vcc_lo, exec_lo, s24
	s_cbranch_vccnz .LBB61_7
.LBB61_6:
	v_cvt_f32_u32_e32 v2, s34
	s_sub_i32 s17, 0, s34
	s_mov_b32 s23, 0
	s_delay_alu instid0(VALU_DEP_1) | instskip(SKIP_2) | instid1(VALU_DEP_1)
	v_rcp_iflag_f32_e32 v2, v2
	s_waitcnt_depctr 0xfff
	v_mul_f32_e32 v2, 0x4f7ffffe, v2
	v_cvt_u32_f32_e32 v2, v2
	s_delay_alu instid0(VALU_DEP_1) | instskip(NEXT) | instid1(VALU_DEP_1)
	v_readfirstlane_b32 s7, v2
	s_mul_i32 s17, s17, s7
	s_delay_alu instid0(SALU_CYCLE_1) | instskip(NEXT) | instid1(SALU_CYCLE_1)
	s_mul_hi_u32 s17, s7, s17
	s_add_i32 s7, s7, s17
	s_delay_alu instid0(SALU_CYCLE_1) | instskip(NEXT) | instid1(SALU_CYCLE_1)
	s_mul_hi_u32 s7, s28, s7
	s_mul_i32 s17, s7, s34
	s_add_i32 s21, s7, 1
	s_sub_i32 s17, s28, s17
	s_delay_alu instid0(SALU_CYCLE_1)
	s_sub_i32 s22, s17, s34
	s_cmp_ge_u32 s17, s34
	s_cselect_b32 s7, s21, s7
	s_cselect_b32 s17, s22, s17
	s_add_i32 s21, s7, 1
	s_cmp_ge_u32 s17, s34
	s_cselect_b32 s22, s21, s7
.LBB61_7:
	s_load_b64 s[24:25], s[2:3], 0x78
	s_mul_i32 s7, s22, s35
	s_mul_hi_u32 s17, s22, s34
	s_mul_i32 s21, s22, s34
	s_add_i32 s7, s17, s7
	s_mul_i32 s17, s23, s34
	s_mul_i32 s33, s23, s4
	s_add_i32 s17, s7, s17
	s_sub_u32 s7, s28, s21
	s_subb_u32 s17, s29, s17
	s_mul_hi_u32 s29, s22, s4
	s_mul_i32 s34, s22, s4
	s_mul_hi_u32 s28, s7, s5
	s_mul_i32 s17, s17, s5
	s_mul_i32 s23, s7, s5
	s_mov_b32 s35, exec_lo
	v_cmpx_gt_i32_e64 s20, v1
	s_cbranch_execz .LBB61_46
; %bb.8:
	s_load_b64 s[36:37], s[0:1], 0x4
	s_load_b32 s0, s[2:3], 0x8c
	s_ashr_i32 s40, s4, 31
	s_ashr_i32 s41, s5, 31
	s_lshl_b64 s[38:39], s[30:31], 2
	s_mul_i32 s30, s22, s40
	s_mul_i32 s31, s7, s41
	v_lshlrev_b32_e32 v5, 2, v1
	s_add_i32 s30, s29, s30
	s_add_i32 s31, s28, s31
	s_ashr_i32 s21, s20, 31
	s_ashr_i32 s42, s6, 31
	s_add_i32 s40, s30, s33
	s_add_i32 s31, s31, s17
	v_bfe_u32 v2, v0, 10, 10
	v_bfe_u32 v3, v0, 20, 10
	s_waitcnt lgkmcnt(0)
	s_load_b32 s1, s[24:25], 0x0
	s_mul_i32 s9, s9, s16
	v_mov_b32_e32 v17, v1
	s_lshr_b32 s36, s36, 16
	s_and_b32 s30, s0, 0xffff
	s_mul_i32 s36, s36, s37
	s_add_u32 s0, s26, s38
	v_mul_lo_u32 v6, s36, v1
	s_addc_u32 s27, s27, s39
	s_lshl_b32 s26, s30, 2
	s_lshl_b64 s[38:39], s[20:21], 2
	v_add_co_u32 v0, s0, s0, v5
	s_add_u32 s21, s34, s23
	v_add_co_ci_u32_e64 v10, null, s27, 0, s0
	s_addc_u32 s0, s40, s31
	v_mad_u32_u24 v2, v2, s37, v6
	s_add_u32 s27, s18, s6
	s_addc_u32 s31, s19, s42
	s_add_u32 s21, s27, s21
	s_mul_hi_u32 s27, s8, s16
	s_addc_u32 s0, s31, s0
	s_add_i32 s9, s27, s9
	s_mul_i32 s8, s8, s16
	v_add_lshl_u32 v11, v2, v3, 1
	v_add_co_u32 v2, s21, s21, v4
	s_lshl_b64 s[8:9], s[8:9], 1
	v_add_co_u32 v12, vcc_lo, v0, s38
	v_add_co_ci_u32_e64 v3, null, s0, 0, s21
	s_lshl_b32 s21, s30, 1
	s_add_u32 s0, s12, s8
	v_add_co_ci_u32_e32 v13, vcc_lo, s39, v10, vcc_lo
	v_add_co_u32 v2, vcc_lo, v2, 1
	s_addc_u32 s8, s13, s9
	v_add_co_u32 v15, s0, s0, v5
	v_dual_mov_b32 v5, 0 :: v_dual_add_nc_u32 v14, 0x800, v11
	v_add_co_ci_u32_e32 v3, vcc_lo, 0, v3, vcc_lo
	v_add_co_ci_u32_e64 v16, null, s8, 0, s0
	s_mov_b32 s12, 0
	s_mov_b64 s[8:9], 0
	s_branch .LBB61_10
.LBB61_9:                               ;   in Loop: Header=BB61_10 Depth=1
	s_or_b32 exec_lo, exec_lo, s0
	v_add_nc_u32_e32 v17, s30, v17
	global_store_b8 v[2:3], v8, off
	v_add_co_u32 v2, s0, v2, s21
	s_delay_alu instid0(VALU_DEP_1) | instskip(SKIP_4) | instid1(SALU_CYCLE_1)
	v_add_co_ci_u32_e64 v3, s0, 0, v3, s0
	v_cmp_le_i32_e32 vcc_lo, s20, v17
	s_add_u32 s8, s8, s26
	s_addc_u32 s9, s9, 0
	s_or_b32 s12, vcc_lo, s12
	s_and_not1_b32 exec_lo, exec_lo, s12
	s_cbranch_execz .LBB61_46
.LBB61_10:                              ; =>This Inner Loop Header: Depth=1
	v_add_co_u32 v6, vcc_lo, v12, s8
	v_add_co_ci_u32_e32 v7, vcc_lo, s9, v13, vcc_lo
	v_add_co_u32 v20, vcc_lo, v15, s8
	v_add_co_ci_u32_e32 v21, vcc_lo, s9, v16, vcc_lo
	;; [unrolled: 2-line block ×3, first 2 shown]
	global_load_b32 v4, v[6:7], off
	global_load_b32 v6, v[20:21], off
	;; [unrolled: 1-line block ×3, first 2 shown]
	s_mov_b32 s0, exec_lo
	s_waitcnt vmcnt(2)
	v_cvt_f16_f32_e32 v4, v4
	s_waitcnt vmcnt(1)
	v_lshrrev_b32_e32 v8, 16, v6
	s_waitcnt vmcnt(0)
	v_cvt_f16_f32_e32 v7, v7
	s_delay_alu instid0(VALU_DEP_2) | instskip(NEXT) | instid1(VALU_DEP_1)
	v_mul_f16_e32 v9, v8, v4
	v_fma_f16 v9, v6, v7, -v9
	v_mul_f16_e32 v7, v8, v7
	ds_store_b16 v14, v9
	ds_load_b32 v19, v14
	v_fmac_f16_e32 v7, v6, v4
	ds_store_b16 v11, v7
	v_pack_b32_f16 v9, v9, v7
	global_store_b32 v[20:21], v9, off
	s_waitcnt lgkmcnt(0)
	v_div_scale_f32 v18, null, s1, s1, v19
	s_delay_alu instid0(VALU_DEP_1) | instskip(SKIP_2) | instid1(VALU_DEP_1)
	v_rcp_f32_e32 v22, v18
	s_waitcnt_depctr 0xfff
	v_fma_f32 v23, -v18, v22, 1.0
	v_fmac_f32_e32 v22, v23, v22
	v_div_scale_f32 v23, vcc_lo, v19, s1, v19
	s_delay_alu instid0(VALU_DEP_1) | instskip(NEXT) | instid1(VALU_DEP_1)
	v_mul_f32_e32 v24, v23, v22
	v_fma_f32 v25, -v18, v24, v23
	s_delay_alu instid0(VALU_DEP_1) | instskip(NEXT) | instid1(VALU_DEP_1)
	v_fmac_f32_e32 v24, v25, v22
	v_fma_f32 v8, -v18, v24, v23
	v_mov_b32_e32 v23, v5
	ds_load_b32 v18, v11
	v_div_fmas_f32 v4, v8, v22, v24
	s_delay_alu instid0(VALU_DEP_1) | instskip(NEXT) | instid1(VALU_DEP_1)
	v_div_fixup_f32 v6, v4, s1, v19
	v_lshrrev_b32_e32 v8, 24, v6
	v_and_b32_e32 v22, 0x7f800000, v6
	v_and_b32_e32 v4, 0x7fffff, v6
	s_delay_alu instid0(VALU_DEP_3) | instskip(NEXT) | instid1(VALU_DEP_1)
	v_and_b32_e32 v19, 0x80, v8
	v_or_b32_e32 v7, 0x7e, v19
	s_delay_alu instid0(VALU_DEP_4)
	v_cmpx_ne_u64_e32 0x7f800000, v[22:23]
	s_xor_b32 s13, exec_lo, s0
	s_cbranch_execz .LBB61_26
; %bb.11:                               ;   in Loop: Header=BB61_10 Depth=1
	v_dual_mov_b32 v9, v5 :: v_dual_and_b32 v8, 0x7fffffff, v6
	s_mov_b32 s0, exec_lo
	s_delay_alu instid0(VALU_DEP_1)
	v_cmpx_gt_u64_e32 0x43e00001, v[8:9]
	s_xor_b32 s27, exec_lo, s0
	s_cbranch_execz .LBB61_25
; %bb.12:                               ;   in Loop: Header=BB61_10 Depth=1
	v_mov_b32_e32 v7, 0
	s_mov_b32 s31, exec_lo
	v_cmpx_ne_u32_e32 0, v6
	s_cbranch_execz .LBB61_24
; %bb.13:                               ;   in Loop: Header=BB61_10 Depth=1
	v_bfe_u32 v20, v6, 23, 8
	v_or_b32_e32 v8, 0x800000, v4
	s_delay_alu instid0(VALU_DEP_2) | instskip(SKIP_1) | instid1(VALU_DEP_2)
	v_sub_nc_u32_e32 v6, 0x79, v20
	v_cmp_gt_u32_e32 vcc_lo, 0x7a, v20
	v_cndmask_b32_e32 v6, 0, v6, vcc_lo
	v_cmp_eq_u32_e32 vcc_lo, 0, v20
	s_delay_alu instid0(VALU_DEP_2) | instskip(SKIP_1) | instid1(VALU_DEP_2)
	v_cndmask_b32_e64 v21, v6, 0x78, vcc_lo
	v_cndmask_b32_e32 v4, v8, v4, vcc_lo
	v_add_nc_u32_e32 v6, 20, v21
	v_add_nc_u32_e32 v8, 19, v21
	s_delay_alu instid0(VALU_DEP_2) | instskip(NEXT) | instid1(VALU_DEP_2)
	v_lshlrev_b64 v[6:7], v6, -1
	v_lshlrev_b64 v[8:9], v8, 1
	s_delay_alu instid0(VALU_DEP_2) | instskip(NEXT) | instid1(VALU_DEP_3)
	v_not_b32_e32 v7, v7
	v_not_b32_e32 v6, v6
	s_delay_alu instid0(VALU_DEP_2) | instskip(NEXT) | instid1(VALU_DEP_2)
	v_and_b32_e32 v23, 0, v7
	v_and_b32_e32 v22, v4, v6
	v_lshrrev_b64 v[6:7], v21, v[4:5]
	s_delay_alu instid0(VALU_DEP_2) | instskip(NEXT) | instid1(VALU_DEP_2)
	v_cmp_eq_u64_e64 s0, v[22:23], v[8:9]
	v_dual_mov_b32 v9, v7 :: v_dual_mov_b32 v8, v6
	s_delay_alu instid0(VALU_DEP_2)
	s_and_saveexec_b32 s36, s0
; %bb.14:                               ;   in Loop: Header=BB61_10 Depth=1
	v_bfe_u32 v4, v6, 20, 1
	s_delay_alu instid0(VALU_DEP_1) | instskip(NEXT) | instid1(VALU_DEP_1)
	v_add_co_u32 v4, s0, v6, v4
	v_add_co_u32 v8, s0, v4, -1
; %bb.15:                               ;   in Loop: Header=BB61_10 Depth=1
	s_or_b32 exec_lo, exec_lo, s36
	v_add_nc_u32_e32 v4, 0xffffff81, v20
	v_lshrrev_b32_e32 v9, 23, v6
	s_mov_b32 s0, exec_lo
	s_delay_alu instid0(VALU_DEP_2) | instskip(NEXT) | instid1(VALU_DEP_1)
	v_cndmask_b32_e64 v4, v4, 0xffffff82, vcc_lo
	v_add3_u32 v9, v21, v4, v9
	v_and_b32_e32 v4, 0xfffff, v8
	s_delay_alu instid0(VALU_DEP_2) | instskip(NEXT) | instid1(VALU_DEP_2)
	v_add_nc_u32_e32 v8, 6, v9
	v_add_co_u32 v6, vcc_lo, v4, v6
	v_add_co_ci_u32_e32 v7, vcc_lo, 0, v7, vcc_lo
                                        ; implicit-def: $vgpr4
	s_delay_alu instid0(VALU_DEP_3)
	v_cmpx_ne_u32_e32 0, v8
	s_xor_b32 s0, exec_lo, s0
; %bb.16:                               ;   in Loop: Header=BB61_10 Depth=1
	s_delay_alu instid0(VALU_DEP_2) | instskip(SKIP_1) | instid1(VALU_DEP_1)
	v_cmp_lt_u64_e32 vcc_lo, 0xffffff, v[6:7]
	v_add_nc_u32_e32 v4, 7, v9
	v_cndmask_b32_e32 v4, v8, v4, vcc_lo
	v_cndmask_b32_e64 v8, 0, 1, vcc_lo
	s_delay_alu instid0(VALU_DEP_1)
	v_lshrrev_b64 v[6:7], v8, v[6:7]
; %bb.17:                               ;   in Loop: Header=BB61_10 Depth=1
	s_and_not1_saveexec_b32 s0, s0
; %bb.18:                               ;   in Loop: Header=BB61_10 Depth=1
	s_delay_alu instid0(VALU_DEP_1)
	v_bfe_u32 v4, v6, 23, 1
; %bb.19:                               ;   in Loop: Header=BB61_10 Depth=1
	s_or_b32 exec_lo, exec_lo, s0
	s_delay_alu instid0(VALU_DEP_2) | instskip(NEXT) | instid1(VALU_DEP_2)
	v_lshrrev_b64 v[6:7], 20, v[6:7]
	v_cmp_gt_i32_e32 vcc_lo, 16, v4
	v_cmp_ne_u32_e64 s0, 0, v4
	s_delay_alu instid0(VALU_DEP_3) | instskip(NEXT) | instid1(VALU_DEP_1)
	v_dual_cndmask_b32 v7, 0, v7 :: v_dual_cndmask_b32 v6, 7, v6
	v_cmp_ne_u64_e32 vcc_lo, 0, v[6:7]
                                        ; implicit-def: $vgpr7
	s_delay_alu instid0(VALU_DEP_3) | instskip(NEXT) | instid1(SALU_CYCLE_1)
	s_or_b32 s0, s0, vcc_lo
	s_and_saveexec_b32 s36, s0
	s_delay_alu instid0(SALU_CYCLE_1)
	s_xor_b32 s0, exec_lo, s36
; %bb.20:                               ;   in Loop: Header=BB61_10 Depth=1
	v_min_i32_e32 v4, 15, v4
	s_delay_alu instid0(VALU_DEP_1) | instskip(NEXT) | instid1(VALU_DEP_1)
	v_lshl_or_b32 v4, v4, 3, v19
                                        ; implicit-def: $vgpr19
	v_and_or_b32 v7, v6, 7, v4
; %bb.21:                               ;   in Loop: Header=BB61_10 Depth=1
	s_and_not1_saveexec_b32 s0, s0
; %bb.22:                               ;   in Loop: Header=BB61_10 Depth=1
	v_mov_b32_e32 v7, v19
; %bb.23:                               ;   in Loop: Header=BB61_10 Depth=1
	s_or_b32 exec_lo, exec_lo, s0
.LBB61_24:                              ;   in Loop: Header=BB61_10 Depth=1
	s_delay_alu instid0(SALU_CYCLE_1)
	s_or_b32 exec_lo, exec_lo, s31
.LBB61_25:                              ;   in Loop: Header=BB61_10 Depth=1
	s_and_not1_saveexec_b32 s0, s27
	s_delay_alu instid0(SALU_CYCLE_1)
	s_or_b32 exec_lo, exec_lo, s0
                                        ; implicit-def: $vgpr8
.LBB61_26:                              ;   in Loop: Header=BB61_10 Depth=1
	s_and_not1_saveexec_b32 s0, s13
; %bb.27:                               ;   in Loop: Header=BB61_10 Depth=1
	v_cmp_eq_u64_e32 vcc_lo, 0, v[4:5]
	v_or_b32_e32 v6, 0x7f, v8
	s_delay_alu instid0(VALU_DEP_1)
	v_cndmask_b32_e32 v7, v6, v7, vcc_lo
; %bb.28:                               ;   in Loop: Header=BB61_10 Depth=1
	s_or_b32 exec_lo, exec_lo, s0
	s_waitcnt lgkmcnt(0)
	v_div_scale_f32 v4, null, s1, s1, v18
	global_store_b8 v[2:3], v7, off offset:-1
	s_mov_b32 s0, exec_lo
	v_mov_b32_e32 v20, v5
	v_rcp_f32_e32 v6, v4
	s_waitcnt_depctr 0xfff
	v_fma_f32 v8, -v4, v6, 1.0
	s_delay_alu instid0(VALU_DEP_1) | instskip(SKIP_1) | instid1(VALU_DEP_1)
	v_fmac_f32_e32 v6, v8, v6
	v_div_scale_f32 v8, vcc_lo, v18, s1, v18
	v_mul_f32_e32 v9, v8, v6
	s_delay_alu instid0(VALU_DEP_1) | instskip(NEXT) | instid1(VALU_DEP_1)
	v_fma_f32 v19, -v4, v9, v8
	v_fmac_f32_e32 v9, v19, v6
	s_delay_alu instid0(VALU_DEP_1) | instskip(NEXT) | instid1(VALU_DEP_1)
	v_fma_f32 v4, -v4, v9, v8
	v_div_fmas_f32 v4, v4, v6, v9
	s_delay_alu instid0(VALU_DEP_1) | instskip(NEXT) | instid1(VALU_DEP_1)
	v_div_fixup_f32 v6, v4, s1, v18
	v_lshrrev_b32_e32 v9, 24, v6
	v_and_b32_e32 v19, 0x7f800000, v6
	v_and_b32_e32 v4, 0x7fffff, v6
	s_delay_alu instid0(VALU_DEP_3) | instskip(NEXT) | instid1(VALU_DEP_1)
	v_and_b32_e32 v18, 0x80, v9
	v_or_b32_e32 v8, 0x7e, v18
	s_delay_alu instid0(VALU_DEP_4)
	v_cmpx_ne_u64_e32 0x7f800000, v[19:20]
	s_xor_b32 s13, exec_lo, s0
	s_cbranch_execz .LBB61_44
; %bb.29:                               ;   in Loop: Header=BB61_10 Depth=1
	v_dual_mov_b32 v20, v5 :: v_dual_and_b32 v19, 0x7fffffff, v6
	s_mov_b32 s0, exec_lo
	s_delay_alu instid0(VALU_DEP_1)
	v_cmpx_gt_u64_e32 0x43e00001, v[19:20]
	s_xor_b32 s27, exec_lo, s0
	s_cbranch_execz .LBB61_43
; %bb.30:                               ;   in Loop: Header=BB61_10 Depth=1
	v_mov_b32_e32 v8, 0
	s_mov_b32 s31, exec_lo
	v_cmpx_ne_u32_e32 0, v6
	s_cbranch_execz .LBB61_42
; %bb.31:                               ;   in Loop: Header=BB61_10 Depth=1
	v_bfe_u32 v19, v6, 23, 8
	v_or_b32_e32 v8, 0x800000, v4
	s_delay_alu instid0(VALU_DEP_2) | instskip(SKIP_1) | instid1(VALU_DEP_2)
	v_sub_nc_u32_e32 v6, 0x79, v19
	v_cmp_gt_u32_e32 vcc_lo, 0x7a, v19
	v_cndmask_b32_e32 v6, 0, v6, vcc_lo
	v_cmp_eq_u32_e32 vcc_lo, 0, v19
	s_delay_alu instid0(VALU_DEP_2) | instskip(SKIP_1) | instid1(VALU_DEP_2)
	v_cndmask_b32_e64 v20, v6, 0x78, vcc_lo
	v_cndmask_b32_e32 v4, v8, v4, vcc_lo
	v_add_nc_u32_e32 v6, 20, v20
	v_add_nc_u32_e32 v8, 19, v20
	s_delay_alu instid0(VALU_DEP_2) | instskip(NEXT) | instid1(VALU_DEP_2)
	v_lshlrev_b64 v[6:7], v6, -1
	v_lshlrev_b64 v[8:9], v8, 1
	s_delay_alu instid0(VALU_DEP_2) | instskip(NEXT) | instid1(VALU_DEP_3)
	v_not_b32_e32 v7, v7
	v_not_b32_e32 v6, v6
	s_delay_alu instid0(VALU_DEP_2) | instskip(NEXT) | instid1(VALU_DEP_2)
	v_and_b32_e32 v22, 0, v7
	v_and_b32_e32 v21, v4, v6
	v_lshrrev_b64 v[6:7], v20, v[4:5]
	s_delay_alu instid0(VALU_DEP_2) | instskip(NEXT) | instid1(VALU_DEP_2)
	v_cmp_eq_u64_e64 s0, v[21:22], v[8:9]
	v_dual_mov_b32 v9, v7 :: v_dual_mov_b32 v8, v6
	s_delay_alu instid0(VALU_DEP_2)
	s_and_saveexec_b32 s36, s0
; %bb.32:                               ;   in Loop: Header=BB61_10 Depth=1
	v_bfe_u32 v4, v6, 20, 1
	s_delay_alu instid0(VALU_DEP_1) | instskip(NEXT) | instid1(VALU_DEP_1)
	v_add_co_u32 v4, s0, v6, v4
	v_add_co_u32 v8, s0, v4, -1
; %bb.33:                               ;   in Loop: Header=BB61_10 Depth=1
	s_or_b32 exec_lo, exec_lo, s36
	v_add_nc_u32_e32 v4, 0xffffff81, v19
	v_lshrrev_b32_e32 v9, 23, v6
	s_mov_b32 s0, exec_lo
	s_delay_alu instid0(VALU_DEP_2) | instskip(NEXT) | instid1(VALU_DEP_1)
	v_cndmask_b32_e64 v4, v4, 0xffffff82, vcc_lo
	v_add3_u32 v9, v20, v4, v9
	v_and_b32_e32 v4, 0xfffff, v8
	s_delay_alu instid0(VALU_DEP_2) | instskip(NEXT) | instid1(VALU_DEP_2)
	v_add_nc_u32_e32 v8, 6, v9
	v_add_co_u32 v6, vcc_lo, v4, v6
	v_add_co_ci_u32_e32 v7, vcc_lo, 0, v7, vcc_lo
                                        ; implicit-def: $vgpr4
	s_delay_alu instid0(VALU_DEP_3)
	v_cmpx_ne_u32_e32 0, v8
	s_xor_b32 s0, exec_lo, s0
; %bb.34:                               ;   in Loop: Header=BB61_10 Depth=1
	s_delay_alu instid0(VALU_DEP_2) | instskip(SKIP_1) | instid1(VALU_DEP_1)
	v_cmp_lt_u64_e32 vcc_lo, 0xffffff, v[6:7]
	v_add_nc_u32_e32 v4, 7, v9
	v_cndmask_b32_e32 v4, v8, v4, vcc_lo
	v_cndmask_b32_e64 v8, 0, 1, vcc_lo
	s_delay_alu instid0(VALU_DEP_1)
	v_lshrrev_b64 v[6:7], v8, v[6:7]
; %bb.35:                               ;   in Loop: Header=BB61_10 Depth=1
	s_and_not1_saveexec_b32 s0, s0
; %bb.36:                               ;   in Loop: Header=BB61_10 Depth=1
	s_delay_alu instid0(VALU_DEP_1)
	v_bfe_u32 v4, v6, 23, 1
; %bb.37:                               ;   in Loop: Header=BB61_10 Depth=1
	s_or_b32 exec_lo, exec_lo, s0
	s_delay_alu instid0(VALU_DEP_2) | instskip(NEXT) | instid1(VALU_DEP_2)
	v_lshrrev_b64 v[6:7], 20, v[6:7]
	v_cmp_gt_i32_e32 vcc_lo, 16, v4
	v_cmp_ne_u32_e64 s0, 0, v4
                                        ; implicit-def: $vgpr8
	s_delay_alu instid0(VALU_DEP_3) | instskip(NEXT) | instid1(VALU_DEP_1)
	v_dual_cndmask_b32 v7, 0, v7 :: v_dual_cndmask_b32 v6, 7, v6
	v_cmp_ne_u64_e32 vcc_lo, 0, v[6:7]
	s_delay_alu instid0(VALU_DEP_3) | instskip(NEXT) | instid1(SALU_CYCLE_1)
	s_or_b32 s0, s0, vcc_lo
	s_and_saveexec_b32 s36, s0
	s_delay_alu instid0(SALU_CYCLE_1)
	s_xor_b32 s0, exec_lo, s36
; %bb.38:                               ;   in Loop: Header=BB61_10 Depth=1
	v_min_i32_e32 v4, 15, v4
	s_delay_alu instid0(VALU_DEP_1) | instskip(NEXT) | instid1(VALU_DEP_1)
	v_lshl_or_b32 v4, v4, 3, v18
                                        ; implicit-def: $vgpr18
	v_and_or_b32 v8, v6, 7, v4
; %bb.39:                               ;   in Loop: Header=BB61_10 Depth=1
	s_and_not1_saveexec_b32 s0, s0
; %bb.40:                               ;   in Loop: Header=BB61_10 Depth=1
	v_mov_b32_e32 v8, v18
; %bb.41:                               ;   in Loop: Header=BB61_10 Depth=1
	s_or_b32 exec_lo, exec_lo, s0
.LBB61_42:                              ;   in Loop: Header=BB61_10 Depth=1
	s_delay_alu instid0(SALU_CYCLE_1)
	s_or_b32 exec_lo, exec_lo, s31
.LBB61_43:                              ;   in Loop: Header=BB61_10 Depth=1
	s_and_not1_saveexec_b32 s0, s27
	s_delay_alu instid0(SALU_CYCLE_1)
	s_or_b32 exec_lo, exec_lo, s0
                                        ; implicit-def: $vgpr9
.LBB61_44:                              ;   in Loop: Header=BB61_10 Depth=1
	s_and_not1_saveexec_b32 s0, s13
	s_cbranch_execz .LBB61_9
; %bb.45:                               ;   in Loop: Header=BB61_10 Depth=1
	v_cmp_eq_u64_e32 vcc_lo, 0, v[4:5]
	v_or_b32_e32 v6, 0x7f, v9
	s_delay_alu instid0(VALU_DEP_1)
	v_cndmask_b32_e32 v8, v6, v8, vcc_lo
	s_branch .LBB61_9
.LBB61_46:
	s_or_b32 exec_lo, exec_lo, s35
	s_delay_alu instid0(SALU_CYCLE_1)
	s_mov_b32 s0, exec_lo
	v_cmpx_gt_i32_e64 s6, v1
	s_cbranch_execz .LBB61_67
; %bb.47:
	s_mul_i32 s1, s16, s11
	s_mul_hi_u32 s8, s16, s10
	s_mul_i32 s0, s16, s10
	s_add_i32 s1, s8, s1
	v_mov_b32_e32 v4, 0
	s_lshl_b64 s[8:9], s[0:1], 1
	s_load_b32 s0, s[2:3], 0x8c
	s_waitcnt lgkmcnt(0)
	s_load_b32 s3, s[24:25], 0x0
	s_add_u32 s1, s14, s8
	s_addc_u32 s2, s15, s9
	s_ashr_i32 s4, s4, 31
	s_delay_alu instid0(SALU_CYCLE_1) | instskip(NEXT) | instid1(SALU_CYCLE_1)
	s_mul_i32 s4, s22, s4
	s_add_i32 s4, s29, s4
	s_delay_alu instid0(SALU_CYCLE_1) | instskip(SKIP_3) | instid1(SALU_CYCLE_1)
	s_add_i32 s4, s4, s33
	s_add_u32 s8, s18, s34
	s_addc_u32 s9, s19, s4
	s_ashr_i32 s4, s5, 31
	s_mul_i32 s7, s7, s4
	s_delay_alu instid0(SALU_CYCLE_1) | instskip(NEXT) | instid1(SALU_CYCLE_1)
	s_add_i32 s4, s28, s7
	s_add_i32 s5, s4, s17
	s_add_u32 s4, s8, s23
	s_addc_u32 s5, s9, s5
	s_and_b32 s7, s0, 0xffff
	s_mov_b32 s8, 0
	s_branch .LBB61_49
.LBB61_48:                              ;   in Loop: Header=BB61_49 Depth=1
	s_or_b32 exec_lo, exec_lo, s0
	v_add_co_u32 v7, vcc_lo, s4, v1
	v_add_nc_u32_e32 v1, s7, v1
	v_add_co_ci_u32_e32 v8, vcc_lo, s5, v2, vcc_lo
	s_delay_alu instid0(VALU_DEP_2) | instskip(SKIP_2) | instid1(SALU_CYCLE_1)
	v_cmp_le_i32_e32 vcc_lo, s6, v1
	global_store_b8 v[7:8], v6, off
	s_or_b32 s8, vcc_lo, s8
	s_and_not1_b32 exec_lo, exec_lo, s8
	s_cbranch_execz .LBB61_67
.LBB61_49:                              ; =>This Inner Loop Header: Depth=1
	v_ashrrev_i32_e32 v2, 31, v1
	s_mov_b32 s0, exec_lo
	v_mov_b32_e32 v9, v4
	s_delay_alu instid0(VALU_DEP_2) | instskip(NEXT) | instid1(VALU_DEP_1)
	v_lshlrev_b64 v[5:6], 1, v[1:2]
	v_add_co_u32 v5, vcc_lo, s1, v5
	s_delay_alu instid0(VALU_DEP_2) | instskip(SKIP_3) | instid1(VALU_DEP_1)
	v_add_co_ci_u32_e32 v6, vcc_lo, s2, v6, vcc_lo
	global_load_b32 v0, v[5:6], off
	s_waitcnt vmcnt(0) lgkmcnt(0)
	v_div_scale_f32 v3, null, s3, s3, v0
	v_rcp_f32_e32 v5, v3
	s_waitcnt_depctr 0xfff
	v_fma_f32 v6, -v3, v5, 1.0
	s_delay_alu instid0(VALU_DEP_1) | instskip(SKIP_1) | instid1(VALU_DEP_1)
	v_fmac_f32_e32 v5, v6, v5
	v_div_scale_f32 v6, vcc_lo, v0, s3, v0
	v_mul_f32_e32 v7, v6, v5
	s_delay_alu instid0(VALU_DEP_1) | instskip(NEXT) | instid1(VALU_DEP_1)
	v_fma_f32 v8, -v3, v7, v6
	v_fmac_f32_e32 v7, v8, v5
	s_delay_alu instid0(VALU_DEP_1) | instskip(NEXT) | instid1(VALU_DEP_1)
	v_fma_f32 v3, -v3, v7, v6
	v_div_fmas_f32 v3, v3, v5, v7
	s_delay_alu instid0(VALU_DEP_1) | instskip(NEXT) | instid1(VALU_DEP_1)
	v_div_fixup_f32 v5, v3, s3, v0
	v_lshrrev_b32_e32 v7, 24, v5
	v_and_b32_e32 v8, 0x7f800000, v5
	v_and_b32_e32 v3, 0x7fffff, v5
	s_delay_alu instid0(VALU_DEP_3) | instskip(NEXT) | instid1(VALU_DEP_1)
	v_and_b32_e32 v0, 0x80, v7
	v_or_b32_e32 v6, 0x7e, v0
	s_delay_alu instid0(VALU_DEP_4)
	v_cmpx_ne_u64_e32 0x7f800000, v[8:9]
	s_xor_b32 s9, exec_lo, s0
	s_cbranch_execz .LBB61_65
; %bb.50:                               ;   in Loop: Header=BB61_49 Depth=1
	v_dual_mov_b32 v8, v4 :: v_dual_and_b32 v7, 0x7fffffff, v5
	s_mov_b32 s0, exec_lo
	s_delay_alu instid0(VALU_DEP_1)
	v_cmpx_gt_u64_e32 0x43e00001, v[7:8]
	s_xor_b32 s10, exec_lo, s0
	s_cbranch_execz .LBB61_64
; %bb.51:                               ;   in Loop: Header=BB61_49 Depth=1
	v_mov_b32_e32 v6, 0
	s_mov_b32 s11, exec_lo
	v_cmpx_ne_u32_e32 0, v5
	s_cbranch_execz .LBB61_63
; %bb.52:                               ;   in Loop: Header=BB61_49 Depth=1
	v_bfe_u32 v9, v5, 23, 8
	v_or_b32_e32 v7, 0x800000, v3
	s_delay_alu instid0(VALU_DEP_2) | instskip(SKIP_1) | instid1(VALU_DEP_2)
	v_sub_nc_u32_e32 v5, 0x79, v9
	v_cmp_gt_u32_e32 vcc_lo, 0x7a, v9
	v_cndmask_b32_e32 v5, 0, v5, vcc_lo
	v_cmp_eq_u32_e32 vcc_lo, 0, v9
	s_delay_alu instid0(VALU_DEP_2) | instskip(SKIP_1) | instid1(VALU_DEP_2)
	v_cndmask_b32_e64 v10, v5, 0x78, vcc_lo
	v_cndmask_b32_e32 v3, v7, v3, vcc_lo
	v_add_nc_u32_e32 v5, 20, v10
	v_add_nc_u32_e32 v7, 19, v10
	s_delay_alu instid0(VALU_DEP_2) | instskip(NEXT) | instid1(VALU_DEP_2)
	v_lshlrev_b64 v[5:6], v5, -1
	v_lshlrev_b64 v[7:8], v7, 1
	s_delay_alu instid0(VALU_DEP_2) | instskip(NEXT) | instid1(VALU_DEP_3)
	v_not_b32_e32 v6, v6
	v_not_b32_e32 v5, v5
	s_delay_alu instid0(VALU_DEP_2) | instskip(NEXT) | instid1(VALU_DEP_2)
	v_and_b32_e32 v12, 0, v6
	v_and_b32_e32 v11, v3, v5
	v_lshrrev_b64 v[5:6], v10, v[3:4]
	s_delay_alu instid0(VALU_DEP_2) | instskip(NEXT) | instid1(VALU_DEP_2)
	v_cmp_eq_u64_e64 s0, v[11:12], v[7:8]
	v_dual_mov_b32 v8, v6 :: v_dual_mov_b32 v7, v5
	s_delay_alu instid0(VALU_DEP_2)
	s_and_saveexec_b32 s12, s0
; %bb.53:                               ;   in Loop: Header=BB61_49 Depth=1
	v_bfe_u32 v3, v5, 20, 1
	s_delay_alu instid0(VALU_DEP_1) | instskip(NEXT) | instid1(VALU_DEP_1)
	v_add_co_u32 v3, s0, v5, v3
	v_add_co_u32 v7, s0, v3, -1
; %bb.54:                               ;   in Loop: Header=BB61_49 Depth=1
	s_or_b32 exec_lo, exec_lo, s12
	v_add_nc_u32_e32 v3, 0xffffff81, v9
	v_lshrrev_b32_e32 v8, 23, v5
	s_mov_b32 s0, exec_lo
	s_delay_alu instid0(VALU_DEP_2) | instskip(NEXT) | instid1(VALU_DEP_1)
	v_cndmask_b32_e64 v3, v3, 0xffffff82, vcc_lo
	v_add3_u32 v8, v10, v3, v8
	v_and_b32_e32 v3, 0xfffff, v7
	s_delay_alu instid0(VALU_DEP_2) | instskip(NEXT) | instid1(VALU_DEP_2)
	v_add_nc_u32_e32 v7, 6, v8
	v_add_co_u32 v5, vcc_lo, v3, v5
	v_add_co_ci_u32_e32 v6, vcc_lo, 0, v6, vcc_lo
                                        ; implicit-def: $vgpr3
	s_delay_alu instid0(VALU_DEP_3)
	v_cmpx_ne_u32_e32 0, v7
	s_xor_b32 s0, exec_lo, s0
; %bb.55:                               ;   in Loop: Header=BB61_49 Depth=1
	s_delay_alu instid0(VALU_DEP_2) | instskip(SKIP_1) | instid1(VALU_DEP_1)
	v_cmp_lt_u64_e32 vcc_lo, 0xffffff, v[5:6]
	v_add_nc_u32_e32 v3, 7, v8
	v_cndmask_b32_e32 v3, v7, v3, vcc_lo
	v_cndmask_b32_e64 v7, 0, 1, vcc_lo
	s_delay_alu instid0(VALU_DEP_1)
	v_lshrrev_b64 v[5:6], v7, v[5:6]
; %bb.56:                               ;   in Loop: Header=BB61_49 Depth=1
	s_and_not1_saveexec_b32 s0, s0
; %bb.57:                               ;   in Loop: Header=BB61_49 Depth=1
	s_delay_alu instid0(VALU_DEP_1)
	v_bfe_u32 v3, v5, 23, 1
; %bb.58:                               ;   in Loop: Header=BB61_49 Depth=1
	s_or_b32 exec_lo, exec_lo, s0
	s_delay_alu instid0(VALU_DEP_2) | instskip(NEXT) | instid1(VALU_DEP_2)
	v_lshrrev_b64 v[5:6], 20, v[5:6]
	v_cmp_gt_i32_e32 vcc_lo, 16, v3
	v_cmp_ne_u32_e64 s0, 0, v3
	s_delay_alu instid0(VALU_DEP_3) | instskip(NEXT) | instid1(VALU_DEP_1)
	v_dual_cndmask_b32 v6, 0, v6 :: v_dual_cndmask_b32 v5, 7, v5
	v_cmp_ne_u64_e32 vcc_lo, 0, v[5:6]
                                        ; implicit-def: $vgpr6
	s_delay_alu instid0(VALU_DEP_3) | instskip(NEXT) | instid1(SALU_CYCLE_1)
	s_or_b32 s0, s0, vcc_lo
	s_and_saveexec_b32 s12, s0
	s_delay_alu instid0(SALU_CYCLE_1)
	s_xor_b32 s0, exec_lo, s12
; %bb.59:                               ;   in Loop: Header=BB61_49 Depth=1
	v_min_i32_e32 v3, 15, v3
	s_delay_alu instid0(VALU_DEP_1) | instskip(NEXT) | instid1(VALU_DEP_1)
	v_lshl_or_b32 v0, v3, 3, v0
	v_and_or_b32 v6, v5, 7, v0
                                        ; implicit-def: $vgpr0
; %bb.60:                               ;   in Loop: Header=BB61_49 Depth=1
	s_and_not1_saveexec_b32 s0, s0
; %bb.61:                               ;   in Loop: Header=BB61_49 Depth=1
	v_mov_b32_e32 v6, v0
; %bb.62:                               ;   in Loop: Header=BB61_49 Depth=1
	s_or_b32 exec_lo, exec_lo, s0
.LBB61_63:                              ;   in Loop: Header=BB61_49 Depth=1
	s_delay_alu instid0(SALU_CYCLE_1)
	s_or_b32 exec_lo, exec_lo, s11
.LBB61_64:                              ;   in Loop: Header=BB61_49 Depth=1
	s_and_not1_saveexec_b32 s0, s10
	s_delay_alu instid0(SALU_CYCLE_1)
	s_or_b32 exec_lo, exec_lo, s0
                                        ; implicit-def: $vgpr7
.LBB61_65:                              ;   in Loop: Header=BB61_49 Depth=1
	s_and_not1_saveexec_b32 s0, s9
	s_cbranch_execz .LBB61_48
; %bb.66:                               ;   in Loop: Header=BB61_49 Depth=1
	v_cmp_eq_u64_e32 vcc_lo, 0, v[3:4]
	v_or_b32_e32 v0, 0x7f, v7
	s_delay_alu instid0(VALU_DEP_1)
	v_cndmask_b32_e32 v6, v0, v6, vcc_lo
	s_branch .LBB61_48
.LBB61_67:
	s_nop 0
	s_sendmsg sendmsg(MSG_DEALLOC_VGPRS)
	s_endpgm
.LBB61_68:
                                        ; implicit-def: $sgpr22_sgpr23
	s_branch .LBB61_6
	.section	.rodata,"a",@progbits
	.p2align	6, 0x0
	.amdhsa_kernel _ZN4vllm38concat_and_cache_mla_rope_fused_kernelIN3c104HalfEfLb0EfhLNS_18Fp8KVCacheDataTypeE1EEEvPKlPT_S7_PKS6_PKT0_illlliPT3_S5_iiiiPKf
		.amdhsa_group_segment_fixed_size 4096
		.amdhsa_private_segment_fixed_size 0
		.amdhsa_kernarg_size 384
		.amdhsa_user_sgpr_count 15
		.amdhsa_user_sgpr_dispatch_ptr 1
		.amdhsa_user_sgpr_queue_ptr 0
		.amdhsa_user_sgpr_kernarg_segment_ptr 1
		.amdhsa_user_sgpr_dispatch_id 0
		.amdhsa_user_sgpr_private_segment_size 0
		.amdhsa_wavefront_size32 1
		.amdhsa_uses_dynamic_stack 0
		.amdhsa_enable_private_segment 0
		.amdhsa_system_sgpr_workgroup_id_x 1
		.amdhsa_system_sgpr_workgroup_id_y 0
		.amdhsa_system_sgpr_workgroup_id_z 0
		.amdhsa_system_sgpr_workgroup_info 0
		.amdhsa_system_vgpr_workitem_id 2
		.amdhsa_next_free_vgpr 26
		.amdhsa_next_free_sgpr 45
		.amdhsa_reserve_vcc 1
		.amdhsa_float_round_mode_32 0
		.amdhsa_float_round_mode_16_64 0
		.amdhsa_float_denorm_mode_32 3
		.amdhsa_float_denorm_mode_16_64 3
		.amdhsa_dx10_clamp 1
		.amdhsa_ieee_mode 1
		.amdhsa_fp16_overflow 0
		.amdhsa_workgroup_processor_mode 1
		.amdhsa_memory_ordered 1
		.amdhsa_forward_progress 0
		.amdhsa_shared_vgpr_count 0
		.amdhsa_exception_fp_ieee_invalid_op 0
		.amdhsa_exception_fp_denorm_src 0
		.amdhsa_exception_fp_ieee_div_zero 0
		.amdhsa_exception_fp_ieee_overflow 0
		.amdhsa_exception_fp_ieee_underflow 0
		.amdhsa_exception_fp_ieee_inexact 0
		.amdhsa_exception_int_div_zero 0
	.end_amdhsa_kernel
	.section	.text._ZN4vllm38concat_and_cache_mla_rope_fused_kernelIN3c104HalfEfLb0EfhLNS_18Fp8KVCacheDataTypeE1EEEvPKlPT_S7_PKS6_PKT0_illlliPT3_S5_iiiiPKf,"axG",@progbits,_ZN4vllm38concat_and_cache_mla_rope_fused_kernelIN3c104HalfEfLb0EfhLNS_18Fp8KVCacheDataTypeE1EEEvPKlPT_S7_PKS6_PKT0_illlliPT3_S5_iiiiPKf,comdat
.Lfunc_end61:
	.size	_ZN4vllm38concat_and_cache_mla_rope_fused_kernelIN3c104HalfEfLb0EfhLNS_18Fp8KVCacheDataTypeE1EEEvPKlPT_S7_PKS6_PKT0_illlliPT3_S5_iiiiPKf, .Lfunc_end61-_ZN4vllm38concat_and_cache_mla_rope_fused_kernelIN3c104HalfEfLb0EfhLNS_18Fp8KVCacheDataTypeE1EEEvPKlPT_S7_PKS6_PKT0_illlliPT3_S5_iiiiPKf
                                        ; -- End function
	.section	.AMDGPU.csdata,"",@progbits
; Kernel info:
; codeLenInByte = 4480
; NumSgprs: 47
; NumVgprs: 26
; ScratchSize: 0
; MemoryBound: 0
; FloatMode: 240
; IeeeMode: 1
; LDSByteSize: 4096 bytes/workgroup (compile time only)
; SGPRBlocks: 5
; VGPRBlocks: 3
; NumSGPRsForWavesPerEU: 47
; NumVGPRsForWavesPerEU: 26
; Occupancy: 16
; WaveLimiterHint : 1
; COMPUTE_PGM_RSRC2:SCRATCH_EN: 0
; COMPUTE_PGM_RSRC2:USER_SGPR: 15
; COMPUTE_PGM_RSRC2:TRAP_HANDLER: 0
; COMPUTE_PGM_RSRC2:TGID_X_EN: 1
; COMPUTE_PGM_RSRC2:TGID_Y_EN: 0
; COMPUTE_PGM_RSRC2:TGID_Z_EN: 0
; COMPUTE_PGM_RSRC2:TIDIG_COMP_CNT: 2
	.section	.text._ZN4vllm38concat_and_cache_mla_rope_fused_kernelIN3c104HalfES2_Lb1EfhLNS_18Fp8KVCacheDataTypeE1EEEvPKlPT_S7_PKS6_PKT0_illlliPT3_S5_iiiiPKf,"axG",@progbits,_ZN4vllm38concat_and_cache_mla_rope_fused_kernelIN3c104HalfES2_Lb1EfhLNS_18Fp8KVCacheDataTypeE1EEEvPKlPT_S7_PKS6_PKT0_illlliPT3_S5_iiiiPKf,comdat
	.protected	_ZN4vllm38concat_and_cache_mla_rope_fused_kernelIN3c104HalfES2_Lb1EfhLNS_18Fp8KVCacheDataTypeE1EEEvPKlPT_S7_PKS6_PKT0_illlliPT3_S5_iiiiPKf ; -- Begin function _ZN4vllm38concat_and_cache_mla_rope_fused_kernelIN3c104HalfES2_Lb1EfhLNS_18Fp8KVCacheDataTypeE1EEEvPKlPT_S7_PKS6_PKT0_illlliPT3_S5_iiiiPKf
	.globl	_ZN4vllm38concat_and_cache_mla_rope_fused_kernelIN3c104HalfES2_Lb1EfhLNS_18Fp8KVCacheDataTypeE1EEEvPKlPT_S7_PKS6_PKT0_illlliPT3_S5_iiiiPKf
	.p2align	8
	.type	_ZN4vllm38concat_and_cache_mla_rope_fused_kernelIN3c104HalfES2_Lb1EfhLNS_18Fp8KVCacheDataTypeE1EEEvPKlPT_S7_PKS6_PKT0_illlliPT3_S5_iiiiPKf,@function
_ZN4vllm38concat_and_cache_mla_rope_fused_kernelIN3c104HalfES2_Lb1EfhLNS_18Fp8KVCacheDataTypeE1EEEvPKlPT_S7_PKS6_PKT0_illlliPT3_S5_iiiiPKf: ; @_ZN4vllm38concat_and_cache_mla_rope_fused_kernelIN3c104HalfES2_Lb1EfhLNS_18Fp8KVCacheDataTypeE1EEEvPKlPT_S7_PKS6_PKT0_illlliPT3_S5_iiiiPKf
; %bb.0:
	s_load_b64 s[6:7], s[2:3], 0x60
	s_mov_b32 s16, s15
	s_mov_b32 s17, 0
	s_delay_alu instid0(SALU_CYCLE_1)
	s_lshl_b64 s[4:5], s[16:17], 3
	s_waitcnt lgkmcnt(0)
	s_add_u32 s6, s6, s4
	s_addc_u32 s7, s7, s5
	s_load_b64 s[30:31], s[6:7], 0x0
	s_waitcnt lgkmcnt(0)
	v_cmp_lt_i64_e64 s6, s[30:31], 0
	s_delay_alu instid0(VALU_DEP_1)
	s_and_b32 vcc_lo, exec_lo, s6
	s_cbranch_vccnz .LBB62_67
; %bb.1:
	s_clause 0x2
	s_load_b32 s22, s[2:3], 0x28
	s_load_b64 s[6:7], s[2:3], 0x0
	s_load_b128 s[12:15], s[2:3], 0x10
	v_and_b32_e32 v1, 0x3ff, v0
	s_waitcnt lgkmcnt(0)
	s_ashr_i32 s17, s22, 31
	s_add_u32 s4, s6, s4
	s_addc_u32 s5, s7, s5
	s_load_b64 s[20:21], s[4:5], 0x0
	s_clause 0x3
	s_load_b64 s[26:27], s[2:3], 0x20
	s_load_b32 s23, s[2:3], 0x50
	s_load_b64 s[18:19], s[2:3], 0x58
	s_load_b256 s[4:11], s[2:3], 0x30
	s_waitcnt lgkmcnt(0)
	s_mul_i32 s17, s20, s17
	s_mul_hi_u32 s24, s20, s22
	s_mul_i32 s21, s21, s22
	s_add_i32 s17, s24, s17
	s_mul_i32 s20, s20, s22
	s_add_i32 s21, s17, s21
	s_delay_alu instid0(SALU_CYCLE_1) | instskip(NEXT) | instid1(SALU_CYCLE_1)
	s_lshl_b64 s[28:29], s[20:21], 1
	s_add_u32 s17, s26, s28
	s_addc_u32 s33, s27, s29
	s_lshr_b32 s20, s22, 31
	s_delay_alu instid0(SALU_CYCLE_1) | instskip(NEXT) | instid1(SALU_CYCLE_1)
	s_add_i32 s22, s22, s20
	s_ashr_i32 s20, s22, 1
	s_delay_alu instid0(SALU_CYCLE_1)
	s_mul_i32 s22, s20, s23
	s_mov_b32 s23, exec_lo
	v_cmpx_gt_i32_e64 s22, v1
	s_cbranch_execz .LBB62_4
; %bb.2:
	s_clause 0x1
	s_load_b64 s[24:25], s[2:3], 0x8
	s_load_b32 s35, s[2:3], 0x8c
	s_mul_i32 s5, s16, s5
	s_mul_hi_u32 s21, s16, s4
	s_mul_i32 s4, s16, s4
	s_add_i32 s5, s21, s5
	s_ashr_i32 s21, s20, 31
	s_lshl_b64 s[4:5], s[4:5], 1
	s_mov_b32 s36, 0
	s_waitcnt lgkmcnt(0)
	s_add_u32 s24, s24, s4
	s_addc_u32 s25, s25, s5
	s_abs_i32 s34, s20
	s_and_b32 s35, s35, 0xffff
	v_cvt_f32_u32_e32 v2, s34
	s_sub_i32 s4, 0, s34
	s_sub_i32 s37, 0, s20
	s_delay_alu instid0(VALU_DEP_1) | instskip(SKIP_2) | instid1(VALU_DEP_1)
	v_rcp_iflag_f32_e32 v2, v2
	s_waitcnt_depctr 0xfff
	v_mul_f32_e32 v2, 0x4f7ffffe, v2
	v_cvt_u32_f32_e32 v2, v2
	s_delay_alu instid0(VALU_DEP_1) | instskip(SKIP_1) | instid1(VALU_DEP_1)
	v_mul_lo_u32 v3, s4, v2
	s_lshl_b64 s[4:5], s[20:21], 1
	v_mul_hi_u32 v3, v2, v3
	s_delay_alu instid0(VALU_DEP_1)
	v_dual_mov_b32 v2, v1 :: v_dual_add_nc_u32 v3, v2, v3
.LBB62_3:                               ; =>This Inner Loop Header: Depth=1
	s_delay_alu instid0(VALU_DEP_1) | instskip(SKIP_1) | instid1(VALU_DEP_2)
	v_sub_nc_u32_e32 v4, 0, v2
	v_ashrrev_i32_e32 v5, 31, v2
	v_max_i32_e32 v4, v2, v4
	s_delay_alu instid0(VALU_DEP_2) | instskip(NEXT) | instid1(VALU_DEP_2)
	v_xor_b32_e32 v5, s21, v5
	v_mul_hi_u32 v6, v4, v3
	s_delay_alu instid0(VALU_DEP_1) | instskip(SKIP_1) | instid1(VALU_DEP_2)
	v_mul_lo_u32 v7, v6, s34
	v_add_nc_u32_e32 v8, 1, v6
	v_sub_nc_u32_e32 v4, v4, v7
	s_delay_alu instid0(VALU_DEP_1) | instskip(SKIP_1) | instid1(VALU_DEP_4)
	v_subrev_nc_u32_e32 v7, s34, v4
	v_cmp_le_u32_e32 vcc_lo, s34, v4
	v_cndmask_b32_e32 v6, v6, v8, vcc_lo
	s_delay_alu instid0(VALU_DEP_1) | instskip(NEXT) | instid1(VALU_DEP_1)
	v_dual_cndmask_b32 v4, v4, v7 :: v_dual_add_nc_u32 v7, 1, v6
	v_cmp_le_u32_e32 vcc_lo, s34, v4
	s_delay_alu instid0(VALU_DEP_2) | instskip(NEXT) | instid1(VALU_DEP_1)
	v_cndmask_b32_e32 v4, v6, v7, vcc_lo
	v_xor_b32_e32 v4, v4, v5
	s_delay_alu instid0(VALU_DEP_1) | instskip(NEXT) | instid1(VALU_DEP_1)
	v_sub_nc_u32_e32 v8, v4, v5
	v_ashrrev_i32_e32 v9, 31, v8
	v_mad_u64_u32 v[4:5], null, s37, v8, v[2:3]
	v_mul_lo_u32 v10, v8, s7
	v_mad_u64_u32 v[6:7], null, v8, s6, 0
	s_delay_alu instid0(VALU_DEP_4) | instskip(SKIP_2) | instid1(VALU_DEP_3)
	v_mul_lo_u32 v8, v9, s6
	v_add_nc_u32_e32 v2, s35, v2
	v_ashrrev_i32_e32 v5, 31, v4
	v_add3_u32 v7, v7, v10, v8
	s_delay_alu instid0(VALU_DEP_2) | instskip(NEXT) | instid1(VALU_DEP_2)
	v_lshlrev_b64 v[4:5], 1, v[4:5]
	v_lshlrev_b64 v[6:7], 1, v[6:7]
	s_delay_alu instid0(VALU_DEP_2) | instskip(NEXT) | instid1(VALU_DEP_3)
	v_add_co_u32 v8, vcc_lo, s17, v4
	v_add_co_ci_u32_e32 v9, vcc_lo, s33, v5, vcc_lo
	s_delay_alu instid0(VALU_DEP_3) | instskip(NEXT) | instid1(VALU_DEP_4)
	v_add_co_u32 v10, vcc_lo, s24, v6
	v_add_co_ci_u32_e32 v11, vcc_lo, s25, v7, vcc_lo
	s_delay_alu instid0(VALU_DEP_4) | instskip(NEXT) | instid1(VALU_DEP_4)
	v_add_co_u32 v6, vcc_lo, v8, s4
	v_add_co_ci_u32_e32 v7, vcc_lo, s5, v9, vcc_lo
	s_delay_alu instid0(VALU_DEP_4) | instskip(NEXT) | instid1(VALU_DEP_4)
	v_add_co_u32 v4, vcc_lo, v10, v4
	v_add_co_ci_u32_e32 v5, vcc_lo, v11, v5, vcc_lo
	s_delay_alu instid0(VALU_DEP_2) | instskip(NEXT) | instid1(VALU_DEP_2)
	v_add_co_u32 v10, vcc_lo, v4, s4
	v_add_co_ci_u32_e32 v11, vcc_lo, s5, v5, vcc_lo
	s_clause 0x1
	global_load_u16 v8, v[8:9], off
	global_load_u16 v6, v[6:7], off
	s_clause 0x1
	global_load_u16 v7, v[4:5], off
	global_load_u16 v9, v[10:11], off
	v_cmp_le_i32_e32 vcc_lo, s22, v2
	s_or_b32 s36, vcc_lo, s36
	s_waitcnt vmcnt(0)
	v_mul_f16_e32 v12, v6, v9
	v_mul_f16_e32 v9, v8, v9
	s_delay_alu instid0(VALU_DEP_2) | instskip(NEXT) | instid1(VALU_DEP_2)
	v_fma_f16 v8, v8, v7, -v12
	v_fmac_f16_e32 v9, v6, v7
	s_clause 0x1
	global_store_b16 v[4:5], v8, off
	global_store_b16 v[10:11], v9, off
	s_and_not1_b32 exec_lo, exec_lo, s36
	s_cbranch_execnz .LBB62_3
.LBB62_4:
	s_or_b32 exec_lo, exec_lo, s23
	s_load_b128 s[4:7], s[2:3], 0x68
	s_waitcnt lgkmcnt(0)
	s_ashr_i32 s35, s7, 31
	s_mov_b32 s34, s7
	s_delay_alu instid0(SALU_CYCLE_1) | instskip(SKIP_1) | instid1(SALU_CYCLE_1)
	s_or_b64 s[24:25], s[30:31], s[34:35]
	s_mov_b32 s24, 0
	s_cmp_lg_u64 s[24:25], 0
	s_cbranch_scc0 .LBB62_68
; %bb.5:
	s_add_u32 s36, s34, s35
	s_mov_b32 s22, s35
	s_mov_b32 s23, s35
	s_addc_u32 s37, s35, s35
	s_delay_alu instid0(SALU_CYCLE_1) | instskip(NEXT) | instid1(SALU_CYCLE_1)
	s_xor_b64 s[36:37], s[36:37], s[22:23]
	v_cvt_f32_u32_e32 v2, s36
	v_cvt_f32_u32_e32 v3, s37
	s_sub_u32 s25, 0, s36
	s_subb_u32 s38, 0, s37
	s_delay_alu instid0(VALU_DEP_1) | instskip(NEXT) | instid1(VALU_DEP_1)
	v_fmamk_f32 v2, v3, 0x4f800000, v2
	v_rcp_f32_e32 v2, v2
	s_waitcnt_depctr 0xfff
	v_mul_f32_e32 v2, 0x5f7ffffc, v2
	s_delay_alu instid0(VALU_DEP_1) | instskip(NEXT) | instid1(VALU_DEP_1)
	v_mul_f32_e32 v3, 0x2f800000, v2
	v_trunc_f32_e32 v3, v3
	s_delay_alu instid0(VALU_DEP_1) | instskip(SKIP_1) | instid1(VALU_DEP_2)
	v_fmamk_f32 v2, v3, 0xcf800000, v2
	v_cvt_u32_f32_e32 v3, v3
	v_cvt_u32_f32_e32 v2, v2
	s_delay_alu instid0(VALU_DEP_2) | instskip(NEXT) | instid1(VALU_DEP_2)
	v_readfirstlane_b32 s7, v3
	v_readfirstlane_b32 s21, v2
	s_delay_alu instid0(VALU_DEP_2) | instskip(NEXT) | instid1(VALU_DEP_1)
	s_mul_i32 s39, s25, s7
	s_mul_hi_u32 s41, s25, s21
	s_mul_i32 s40, s38, s21
	s_add_i32 s39, s41, s39
	s_mul_i32 s42, s25, s21
	s_add_i32 s39, s39, s40
	s_mul_hi_u32 s41, s21, s42
	s_mul_hi_u32 s43, s7, s42
	s_mul_i32 s40, s7, s42
	s_mul_hi_u32 s42, s21, s39
	s_mul_i32 s21, s21, s39
	s_mul_hi_u32 s44, s7, s39
	s_add_u32 s21, s41, s21
	s_addc_u32 s41, 0, s42
	s_add_u32 s21, s21, s40
	s_mul_i32 s39, s7, s39
	s_addc_u32 s21, s41, s43
	s_addc_u32 s40, s44, 0
	s_add_u32 s21, s21, s39
	s_addc_u32 s39, 0, s40
	v_add_co_u32 v2, s21, v2, s21
	s_delay_alu instid0(VALU_DEP_1) | instskip(SKIP_1) | instid1(VALU_DEP_1)
	s_cmp_lg_u32 s21, 0
	s_addc_u32 s7, s7, s39
	v_readfirstlane_b32 s21, v2
	s_mul_i32 s39, s25, s7
	s_delay_alu instid0(VALU_DEP_1)
	s_mul_hi_u32 s40, s25, s21
	s_mul_i32 s38, s38, s21
	s_add_i32 s39, s40, s39
	s_mul_i32 s25, s25, s21
	s_add_i32 s39, s39, s38
	s_mul_hi_u32 s40, s7, s25
	s_mul_i32 s41, s7, s25
	s_mul_hi_u32 s25, s21, s25
	s_mul_hi_u32 s42, s21, s39
	s_mul_i32 s21, s21, s39
	s_mul_hi_u32 s38, s7, s39
	s_add_u32 s21, s25, s21
	s_addc_u32 s25, 0, s42
	s_add_u32 s21, s21, s41
	s_mul_i32 s39, s7, s39
	s_addc_u32 s21, s25, s40
	s_addc_u32 s25, s38, 0
	s_add_u32 s21, s21, s39
	s_addc_u32 s25, 0, s25
	v_add_co_u32 v2, s21, v2, s21
	s_delay_alu instid0(VALU_DEP_1) | instskip(SKIP_2) | instid1(VALU_DEP_1)
	s_cmp_lg_u32 s21, 0
	s_addc_u32 s7, s7, s25
	s_ashr_i32 s38, s31, 31
	v_readfirstlane_b32 s21, v2
	s_add_u32 s40, s30, s38
	s_mov_b32 s39, s38
	s_addc_u32 s41, s31, s38
	s_delay_alu instid0(SALU_CYCLE_1) | instskip(NEXT) | instid1(SALU_CYCLE_1)
	s_xor_b64 s[40:41], s[40:41], s[38:39]
	s_mul_i32 s42, s40, s7
	s_mul_hi_u32 s43, s40, s21
	s_mul_hi_u32 s25, s40, s7
	;; [unrolled: 1-line block ×3, first 2 shown]
	s_mul_i32 s21, s41, s21
	s_add_u32 s42, s43, s42
	s_addc_u32 s25, 0, s25
	s_mul_hi_u32 s44, s41, s7
	s_add_u32 s21, s42, s21
	s_mul_i32 s7, s41, s7
	s_addc_u32 s21, s25, s45
	s_addc_u32 s25, s44, 0
	s_add_u32 s7, s21, s7
	s_addc_u32 s21, 0, s25
	s_mul_i32 s44, s36, s7
	s_mul_hi_u32 s25, s36, s7
	s_mul_i32 s43, s36, s21
	v_sub_co_u32 v2, s40, s40, s44
	s_mul_i32 s42, s37, s7
	s_add_i32 s25, s25, s43
	s_delay_alu instid0(SALU_CYCLE_1) | instskip(NEXT) | instid1(VALU_DEP_1)
	s_add_i32 s25, s25, s42
	v_sub_co_u32 v3, s43, v2, s36
	s_sub_i32 s42, s41, s25
	s_cmp_lg_u32 s40, 0
	s_subb_u32 s42, s42, s37
	s_cmp_lg_u32 s43, 0
	v_readfirstlane_b32 s43, v3
	s_subb_u32 s42, s42, 0
	s_delay_alu instid0(SALU_CYCLE_1) | instskip(SKIP_1) | instid1(VALU_DEP_1)
	s_cmp_ge_u32 s42, s37
	s_cselect_b32 s44, -1, 0
	s_cmp_ge_u32 s43, s36
	s_cselect_b32 s43, -1, 0
	s_cmp_eq_u32 s42, s37
	s_cselect_b32 s42, s43, s44
	s_add_u32 s43, s7, 1
	s_addc_u32 s44, s21, 0
	s_add_u32 s45, s7, 2
	s_addc_u32 s46, s21, 0
	s_cmp_lg_u32 s42, 0
	s_cselect_b32 s42, s45, s43
	s_cselect_b32 s43, s46, s44
	s_cmp_lg_u32 s40, 0
	v_readfirstlane_b32 s40, v2
	s_subb_u32 s25, s41, s25
	s_delay_alu instid0(SALU_CYCLE_1) | instskip(SKIP_1) | instid1(VALU_DEP_1)
	s_cmp_ge_u32 s25, s37
	s_cselect_b32 s41, -1, 0
	s_cmp_ge_u32 s40, s36
	s_cselect_b32 s36, -1, 0
	s_cmp_eq_u32 s25, s37
	s_cselect_b32 s25, s36, s41
	s_delay_alu instid0(SALU_CYCLE_1) | instskip(SKIP_3) | instid1(SALU_CYCLE_1)
	s_cmp_lg_u32 s25, 0
	s_cselect_b32 s37, s43, s21
	s_cselect_b32 s36, s42, s7
	s_xor_b64 s[22:23], s[38:39], s[22:23]
	s_xor_b64 s[36:37], s[36:37], s[22:23]
	s_delay_alu instid0(SALU_CYCLE_1)
	s_sub_u32 s22, s36, s22
	s_subb_u32 s23, s37, s23
	s_and_not1_b32 vcc_lo, exec_lo, s24
	s_cbranch_vccnz .LBB62_7
.LBB62_6:
	v_cvt_f32_u32_e32 v2, s34
	s_sub_i32 s21, 0, s34
	s_delay_alu instid0(VALU_DEP_1) | instskip(SKIP_2) | instid1(VALU_DEP_1)
	v_rcp_iflag_f32_e32 v2, v2
	s_waitcnt_depctr 0xfff
	v_mul_f32_e32 v2, 0x4f7ffffe, v2
	v_cvt_u32_f32_e32 v2, v2
	s_delay_alu instid0(VALU_DEP_1) | instskip(NEXT) | instid1(VALU_DEP_1)
	v_readfirstlane_b32 s7, v2
	s_mul_i32 s21, s21, s7
	s_delay_alu instid0(SALU_CYCLE_1) | instskip(NEXT) | instid1(SALU_CYCLE_1)
	s_mul_hi_u32 s21, s7, s21
	s_add_i32 s7, s7, s21
	s_delay_alu instid0(SALU_CYCLE_1) | instskip(NEXT) | instid1(SALU_CYCLE_1)
	s_mul_hi_u32 s7, s30, s7
	s_mul_i32 s21, s7, s34
	s_add_i32 s22, s7, 1
	s_sub_i32 s21, s30, s21
	s_delay_alu instid0(SALU_CYCLE_1)
	s_sub_i32 s23, s21, s34
	s_cmp_ge_u32 s21, s34
	s_cselect_b32 s7, s22, s7
	s_cselect_b32 s21, s23, s21
	s_add_i32 s22, s7, 1
	s_cmp_ge_u32 s21, s34
	s_mov_b32 s23, 0
	s_cselect_b32 s22, s22, s7
.LBB62_7:
	s_load_b64 s[24:25], s[2:3], 0x78
	s_mul_i32 s7, s22, s35
	s_mul_hi_u32 s21, s22, s34
	s_mul_i32 s35, s23, s4
	s_add_i32 s7, s21, s7
	s_mul_i32 s21, s23, s34
	s_mul_i32 s34, s22, s34
	s_add_i32 s21, s7, s21
	s_sub_u32 s7, s30, s34
	s_subb_u32 s21, s31, s21
	s_mul_hi_u32 s34, s22, s4
	s_mul_i32 s36, s22, s4
	s_mul_hi_u32 s31, s7, s5
	s_mul_i32 s23, s21, s5
	s_mul_i32 s30, s7, s5
	s_mov_b32 s37, exec_lo
	v_cmpx_gt_i32_e64 s20, v1
	s_cbranch_execz .LBB62_46
; %bb.8:
	s_load_b64 s[40:41], s[0:1], 0x4
	s_load_b32 s0, s[2:3], 0x8c
	s_mul_i32 s9, s16, s9
	s_mul_hi_u32 s38, s16, s8
	s_mul_i32 s8, s16, s8
	s_add_i32 s9, s38, s9
	s_ashr_i32 s21, s20, 31
	s_lshl_b64 s[42:43], s[8:9], 1
	v_bfe_u32 v2, v0, 10, 10
	s_waitcnt lgkmcnt(0)
	s_load_b32 s1, s[24:25], 0x0
	v_bfe_u32 v4, v0, 20, 10
	v_dual_mov_b32 v3, 0 :: v_dual_lshlrev_b32 v0, 1, v1
	v_mov_b32_e32 v12, v1
	s_lshr_b32 s9, s40, 16
	s_add_u32 s8, s12, s42
	s_mul_i32 s39, s9, s41
	s_addc_u32 s9, s13, s43
	s_ashr_i32 s40, s4, 31
	s_ashr_i32 s46, s5, 31
	s_and_b32 s38, s0, 0xffff
	s_mul_i32 s0, s22, s40
	s_mul_i32 s40, s7, s46
	s_add_i32 s0, s34, s0
	s_add_i32 s40, s31, s40
	s_lshl_b64 s[44:45], s[20:21], 1
	v_mul_lo_u32 v5, s39, v1
	s_ashr_i32 s47, s6, 31
	s_lshl_b32 s39, s38, 1
	s_add_i32 s0, s0, s35
	s_add_i32 s40, s40, s23
	s_add_u32 s28, s28, s44
	s_addc_u32 s29, s29, s45
	s_add_u32 s26, s26, s28
	s_addc_u32 s27, s27, s29
	;; [unrolled: 2-line block ×3, first 2 shown]
	v_mad_u32_u24 v2, v2, s41, v5
	s_add_u32 s12, s12, s28
	s_addc_u32 s13, s13, s29
	s_add_u32 s28, s36, s30
	s_addc_u32 s0, s0, s40
	s_add_u32 s28, s28, s6
	v_add_lshl_u32 v10, v2, v4, 1
	s_addc_u32 s0, s0, s47
	s_add_u32 s28, s18, s28
	s_addc_u32 s0, s19, s0
	v_add_co_u32 v4, s28, s28, v1
	v_add_nc_u32_e32 v11, 0x800, v10
	v_add_co_ci_u32_e64 v5, null, s0, 0, s28
	s_mov_b32 s28, 0
	s_branch .LBB62_10
.LBB62_9:                               ;   in Loop: Header=BB62_10 Depth=1
	s_or_b32 exec_lo, exec_lo, s0
	v_add_nc_u32_e32 v12, s38, v12
	v_add_co_u32 v8, vcc_lo, v4, s20
	s_add_u32 s17, s17, s39
	s_addc_u32 s33, s33, 0
	v_add_co_ci_u32_e32 v9, vcc_lo, s21, v5, vcc_lo
	s_add_u32 s26, s26, s39
	s_addc_u32 s27, s27, 0
	v_cmp_le_i32_e32 vcc_lo, s20, v12
	v_add_co_u32 v4, s0, v4, s38
	s_add_u32 s12, s12, s39
	s_addc_u32 s13, s13, 0
	v_add_co_ci_u32_e64 v5, s0, 0, v5, s0
	s_add_u32 s8, s8, s39
	s_addc_u32 s9, s9, 0
	s_or_b32 s28, vcc_lo, s28
	global_store_b8 v[8:9], v7, off
	s_and_not1_b32 exec_lo, exec_lo, s28
	s_cbranch_execz .LBB62_46
.LBB62_10:                              ; =>This Inner Loop Header: Depth=1
	v_add_co_u32 v6, s0, s26, v0
	s_delay_alu instid0(VALU_DEP_1) | instskip(SKIP_1) | instid1(VALU_DEP_1)
	v_add_co_ci_u32_e64 v7, null, s27, 0, s0
	v_add_co_u32 v8, s0, s17, v0
	v_add_co_ci_u32_e64 v9, null, s33, 0, s0
	v_add_co_u32 v15, s0, s12, v0
	s_delay_alu instid0(VALU_DEP_1) | instskip(SKIP_1) | instid1(VALU_DEP_1)
	v_add_co_ci_u32_e64 v16, null, s13, 0, s0
	v_add_co_u32 v17, s0, s8, v0
	v_add_co_ci_u32_e64 v18, null, s9, 0, s0
	global_load_u16 v2, v[6:7], off
	global_load_u16 v6, v[15:16], off
	;; [unrolled: 1-line block ×4, first 2 shown]
	s_waitcnt vmcnt(2)
	v_mul_f16_e32 v9, v2, v6
	s_waitcnt vmcnt(0)
	s_delay_alu instid0(VALU_DEP_1) | instskip(SKIP_4) | instid1(VALU_DEP_1)
	v_fma_f16 v19, v7, v8, -v9
	ds_store_b16 v11, v19
	ds_load_b32 v9, v11
	s_waitcnt lgkmcnt(0)
	v_div_scale_f32 v13, null, s1, s1, v9
	v_rcp_f32_e32 v14, v13
	s_waitcnt_depctr 0xfff
	v_fma_f32 v20, -v13, v14, 1.0
	s_delay_alu instid0(VALU_DEP_1) | instskip(SKIP_1) | instid1(VALU_DEP_1)
	v_fmac_f32_e32 v14, v20, v14
	v_div_scale_f32 v20, vcc_lo, v9, s1, v9
	v_mul_f32_e32 v21, v20, v14
	s_delay_alu instid0(VALU_DEP_1) | instskip(NEXT) | instid1(VALU_DEP_1)
	v_fma_f32 v22, -v13, v21, v20
	v_fmac_f32_e32 v21, v22, v14
	v_mul_f16_e32 v22, v7, v6
	s_delay_alu instid0(VALU_DEP_2) | instskip(NEXT) | instid1(VALU_DEP_2)
	v_fma_f32 v6, -v13, v21, v20
	v_fmac_f16_e32 v22, v2, v8
	s_delay_alu instid0(VALU_DEP_2)
	v_div_fmas_f32 v2, v6, v14, v21
	ds_store_b16 v10, v22
	ds_load_b32 v13, v10
	global_store_b16 v[17:18], v19, off
	global_store_b16 v[15:16], v22, off
	v_div_fixup_f32 v6, v2, s1, v9
	v_mov_b32_e32 v9, v3
	s_delay_alu instid0(VALU_DEP_2) | instskip(SKIP_2) | instid1(VALU_DEP_3)
	v_lshrrev_b32_e32 v7, 24, v6
	v_and_b32_e32 v8, 0x7f800000, v6
	v_and_b32_e32 v2, 0x7fffff, v6
	;; [unrolled: 1-line block ×3, first 2 shown]
	s_delay_alu instid0(VALU_DEP_3) | instskip(NEXT) | instid1(VALU_DEP_2)
	v_cmp_ne_u64_e32 vcc_lo, 0x7f800000, v[8:9]
	v_or_b32_e32 v8, 0x7e, v14
	s_and_saveexec_b32 s0, vcc_lo
	s_delay_alu instid0(SALU_CYCLE_1)
	s_xor_b32 s29, exec_lo, s0
	s_cbranch_execz .LBB62_26
; %bb.11:                               ;   in Loop: Header=BB62_10 Depth=1
	v_dual_mov_b32 v16, v3 :: v_dual_and_b32 v15, 0x7fffffff, v6
	s_mov_b32 s0, exec_lo
	s_delay_alu instid0(VALU_DEP_1)
	v_cmpx_gt_u64_e32 0x43e00001, v[15:16]
	s_xor_b32 s40, exec_lo, s0
	s_cbranch_execz .LBB62_25
; %bb.12:                               ;   in Loop: Header=BB62_10 Depth=1
	v_mov_b32_e32 v8, 0
	s_mov_b32 s41, exec_lo
	v_cmpx_ne_u32_e32 0, v6
	s_cbranch_execz .LBB62_24
; %bb.13:                               ;   in Loop: Header=BB62_10 Depth=1
	v_bfe_u32 v15, v6, 23, 8
	v_or_b32_e32 v8, 0x800000, v2
	s_delay_alu instid0(VALU_DEP_2) | instskip(SKIP_1) | instid1(VALU_DEP_2)
	v_sub_nc_u32_e32 v6, 0x79, v15
	v_cmp_gt_u32_e32 vcc_lo, 0x7a, v15
	v_cndmask_b32_e32 v6, 0, v6, vcc_lo
	v_cmp_eq_u32_e32 vcc_lo, 0, v15
	s_delay_alu instid0(VALU_DEP_2) | instskip(SKIP_1) | instid1(VALU_DEP_2)
	v_cndmask_b32_e64 v16, v6, 0x78, vcc_lo
	v_cndmask_b32_e32 v2, v8, v2, vcc_lo
	v_add_nc_u32_e32 v6, 20, v16
	v_add_nc_u32_e32 v8, 19, v16
	s_delay_alu instid0(VALU_DEP_2) | instskip(NEXT) | instid1(VALU_DEP_2)
	v_lshlrev_b64 v[6:7], v6, -1
	v_lshlrev_b64 v[8:9], v8, 1
	s_delay_alu instid0(VALU_DEP_2) | instskip(NEXT) | instid1(VALU_DEP_3)
	v_not_b32_e32 v7, v7
	v_not_b32_e32 v6, v6
	s_delay_alu instid0(VALU_DEP_2) | instskip(NEXT) | instid1(VALU_DEP_2)
	v_and_b32_e32 v18, 0, v7
	v_and_b32_e32 v17, v2, v6
	v_lshrrev_b64 v[6:7], v16, v[2:3]
	s_delay_alu instid0(VALU_DEP_2) | instskip(NEXT) | instid1(VALU_DEP_2)
	v_cmp_eq_u64_e64 s0, v[17:18], v[8:9]
	v_dual_mov_b32 v9, v7 :: v_dual_mov_b32 v8, v6
	s_delay_alu instid0(VALU_DEP_2)
	s_and_saveexec_b32 s42, s0
; %bb.14:                               ;   in Loop: Header=BB62_10 Depth=1
	v_bfe_u32 v2, v6, 20, 1
	s_delay_alu instid0(VALU_DEP_1) | instskip(NEXT) | instid1(VALU_DEP_1)
	v_add_co_u32 v2, s0, v6, v2
	v_add_co_u32 v8, s0, v2, -1
; %bb.15:                               ;   in Loop: Header=BB62_10 Depth=1
	s_or_b32 exec_lo, exec_lo, s42
	v_add_nc_u32_e32 v2, 0xffffff81, v15
	v_lshrrev_b32_e32 v9, 23, v6
	s_mov_b32 s0, exec_lo
	s_delay_alu instid0(VALU_DEP_2) | instskip(NEXT) | instid1(VALU_DEP_1)
	v_cndmask_b32_e64 v2, v2, 0xffffff82, vcc_lo
	v_add3_u32 v9, v16, v2, v9
	v_and_b32_e32 v2, 0xfffff, v8
	s_delay_alu instid0(VALU_DEP_2) | instskip(NEXT) | instid1(VALU_DEP_2)
	v_add_nc_u32_e32 v8, 6, v9
	v_add_co_u32 v6, vcc_lo, v2, v6
	v_add_co_ci_u32_e32 v7, vcc_lo, 0, v7, vcc_lo
                                        ; implicit-def: $vgpr2
	s_delay_alu instid0(VALU_DEP_3)
	v_cmpx_ne_u32_e32 0, v8
	s_xor_b32 s0, exec_lo, s0
; %bb.16:                               ;   in Loop: Header=BB62_10 Depth=1
	s_delay_alu instid0(VALU_DEP_2) | instskip(SKIP_1) | instid1(VALU_DEP_1)
	v_cmp_lt_u64_e32 vcc_lo, 0xffffff, v[6:7]
	v_add_nc_u32_e32 v2, 7, v9
	v_cndmask_b32_e32 v2, v8, v2, vcc_lo
	v_cndmask_b32_e64 v8, 0, 1, vcc_lo
	s_delay_alu instid0(VALU_DEP_1)
	v_lshrrev_b64 v[6:7], v8, v[6:7]
; %bb.17:                               ;   in Loop: Header=BB62_10 Depth=1
	s_and_not1_saveexec_b32 s0, s0
; %bb.18:                               ;   in Loop: Header=BB62_10 Depth=1
	s_delay_alu instid0(VALU_DEP_1)
	v_bfe_u32 v2, v6, 23, 1
; %bb.19:                               ;   in Loop: Header=BB62_10 Depth=1
	s_or_b32 exec_lo, exec_lo, s0
	s_delay_alu instid0(VALU_DEP_2) | instskip(NEXT) | instid1(VALU_DEP_2)
	v_lshrrev_b64 v[6:7], 20, v[6:7]
	v_cmp_gt_i32_e32 vcc_lo, 16, v2
	v_cmp_ne_u32_e64 s0, 0, v2
                                        ; implicit-def: $vgpr8
	s_delay_alu instid0(VALU_DEP_3) | instskip(NEXT) | instid1(VALU_DEP_1)
	v_dual_cndmask_b32 v7, 0, v7 :: v_dual_cndmask_b32 v6, 7, v6
	v_cmp_ne_u64_e32 vcc_lo, 0, v[6:7]
	s_delay_alu instid0(VALU_DEP_3) | instskip(NEXT) | instid1(SALU_CYCLE_1)
	s_or_b32 s0, s0, vcc_lo
	s_and_saveexec_b32 s42, s0
	s_delay_alu instid0(SALU_CYCLE_1)
	s_xor_b32 s0, exec_lo, s42
; %bb.20:                               ;   in Loop: Header=BB62_10 Depth=1
	v_min_i32_e32 v2, 15, v2
	s_delay_alu instid0(VALU_DEP_1) | instskip(NEXT) | instid1(VALU_DEP_1)
	v_lshl_or_b32 v2, v2, 3, v14
                                        ; implicit-def: $vgpr14
	v_and_or_b32 v8, v6, 7, v2
; %bb.21:                               ;   in Loop: Header=BB62_10 Depth=1
	s_and_not1_saveexec_b32 s0, s0
; %bb.22:                               ;   in Loop: Header=BB62_10 Depth=1
	v_mov_b32_e32 v8, v14
; %bb.23:                               ;   in Loop: Header=BB62_10 Depth=1
	s_or_b32 exec_lo, exec_lo, s0
.LBB62_24:                              ;   in Loop: Header=BB62_10 Depth=1
	s_delay_alu instid0(SALU_CYCLE_1)
	s_or_b32 exec_lo, exec_lo, s41
.LBB62_25:                              ;   in Loop: Header=BB62_10 Depth=1
	s_and_not1_saveexec_b32 s0, s40
	s_delay_alu instid0(SALU_CYCLE_1)
	s_or_b32 exec_lo, exec_lo, s0
                                        ; implicit-def: $vgpr7
.LBB62_26:                              ;   in Loop: Header=BB62_10 Depth=1
	s_and_not1_saveexec_b32 s0, s29
; %bb.27:                               ;   in Loop: Header=BB62_10 Depth=1
	v_cmp_eq_u64_e32 vcc_lo, 0, v[2:3]
	v_or_b32_e32 v6, 0x7f, v7
	s_delay_alu instid0(VALU_DEP_1)
	v_cndmask_b32_e32 v8, v6, v8, vcc_lo
; %bb.28:                               ;   in Loop: Header=BB62_10 Depth=1
	s_or_b32 exec_lo, exec_lo, s0
	s_waitcnt lgkmcnt(0)
	v_div_scale_f32 v2, null, s1, s1, v13
	global_store_b8 v[4:5], v8, off
	s_mov_b32 s0, exec_lo
	v_mov_b32_e32 v15, v3
	v_rcp_f32_e32 v6, v2
	s_waitcnt_depctr 0xfff
	v_fma_f32 v7, -v2, v6, 1.0
	s_delay_alu instid0(VALU_DEP_1) | instskip(SKIP_1) | instid1(VALU_DEP_1)
	v_fmac_f32_e32 v6, v7, v6
	v_div_scale_f32 v7, vcc_lo, v13, s1, v13
	v_mul_f32_e32 v9, v7, v6
	s_delay_alu instid0(VALU_DEP_1) | instskip(NEXT) | instid1(VALU_DEP_1)
	v_fma_f32 v14, -v2, v9, v7
	v_fmac_f32_e32 v9, v14, v6
	s_delay_alu instid0(VALU_DEP_1) | instskip(NEXT) | instid1(VALU_DEP_1)
	v_fma_f32 v2, -v2, v9, v7
	v_div_fmas_f32 v2, v2, v6, v9
	s_delay_alu instid0(VALU_DEP_1) | instskip(NEXT) | instid1(VALU_DEP_1)
	v_div_fixup_f32 v6, v2, s1, v13
	v_lshrrev_b32_e32 v9, 24, v6
	v_and_b32_e32 v14, 0x7f800000, v6
	v_and_b32_e32 v2, 0x7fffff, v6
	s_delay_alu instid0(VALU_DEP_3) | instskip(NEXT) | instid1(VALU_DEP_1)
	v_and_b32_e32 v13, 0x80, v9
	v_or_b32_e32 v7, 0x7e, v13
	s_delay_alu instid0(VALU_DEP_4)
	v_cmpx_ne_u64_e32 0x7f800000, v[14:15]
	s_xor_b32 s29, exec_lo, s0
	s_cbranch_execz .LBB62_44
; %bb.29:                               ;   in Loop: Header=BB62_10 Depth=1
	v_dual_mov_b32 v9, v3 :: v_dual_and_b32 v8, 0x7fffffff, v6
	s_mov_b32 s0, exec_lo
	s_delay_alu instid0(VALU_DEP_1)
	v_cmpx_gt_u64_e32 0x43e00001, v[8:9]
	s_xor_b32 s40, exec_lo, s0
	s_cbranch_execz .LBB62_43
; %bb.30:                               ;   in Loop: Header=BB62_10 Depth=1
	v_mov_b32_e32 v7, 0
	s_mov_b32 s41, exec_lo
	v_cmpx_ne_u32_e32 0, v6
	s_cbranch_execz .LBB62_42
; %bb.31:                               ;   in Loop: Header=BB62_10 Depth=1
	v_bfe_u32 v14, v6, 23, 8
	v_or_b32_e32 v8, 0x800000, v2
	s_delay_alu instid0(VALU_DEP_2) | instskip(SKIP_1) | instid1(VALU_DEP_2)
	v_sub_nc_u32_e32 v6, 0x79, v14
	v_cmp_gt_u32_e32 vcc_lo, 0x7a, v14
	v_cndmask_b32_e32 v6, 0, v6, vcc_lo
	v_cmp_eq_u32_e32 vcc_lo, 0, v14
	s_delay_alu instid0(VALU_DEP_2) | instskip(SKIP_1) | instid1(VALU_DEP_2)
	v_cndmask_b32_e64 v15, v6, 0x78, vcc_lo
	v_cndmask_b32_e32 v2, v8, v2, vcc_lo
	v_add_nc_u32_e32 v6, 20, v15
	v_add_nc_u32_e32 v8, 19, v15
	s_delay_alu instid0(VALU_DEP_2) | instskip(NEXT) | instid1(VALU_DEP_2)
	v_lshlrev_b64 v[6:7], v6, -1
	v_lshlrev_b64 v[8:9], v8, 1
	s_delay_alu instid0(VALU_DEP_2) | instskip(NEXT) | instid1(VALU_DEP_3)
	v_not_b32_e32 v7, v7
	v_not_b32_e32 v6, v6
	s_delay_alu instid0(VALU_DEP_2) | instskip(NEXT) | instid1(VALU_DEP_2)
	v_and_b32_e32 v17, 0, v7
	v_and_b32_e32 v16, v2, v6
	v_lshrrev_b64 v[6:7], v15, v[2:3]
	s_delay_alu instid0(VALU_DEP_2) | instskip(NEXT) | instid1(VALU_DEP_2)
	v_cmp_eq_u64_e64 s0, v[16:17], v[8:9]
	v_dual_mov_b32 v9, v7 :: v_dual_mov_b32 v8, v6
	s_delay_alu instid0(VALU_DEP_2)
	s_and_saveexec_b32 s42, s0
; %bb.32:                               ;   in Loop: Header=BB62_10 Depth=1
	v_bfe_u32 v2, v6, 20, 1
	s_delay_alu instid0(VALU_DEP_1) | instskip(NEXT) | instid1(VALU_DEP_1)
	v_add_co_u32 v2, s0, v6, v2
	v_add_co_u32 v8, s0, v2, -1
; %bb.33:                               ;   in Loop: Header=BB62_10 Depth=1
	s_or_b32 exec_lo, exec_lo, s42
	v_add_nc_u32_e32 v2, 0xffffff81, v14
	v_lshrrev_b32_e32 v9, 23, v6
	s_mov_b32 s0, exec_lo
	s_delay_alu instid0(VALU_DEP_2) | instskip(NEXT) | instid1(VALU_DEP_1)
	v_cndmask_b32_e64 v2, v2, 0xffffff82, vcc_lo
	v_add3_u32 v9, v15, v2, v9
	v_and_b32_e32 v2, 0xfffff, v8
	s_delay_alu instid0(VALU_DEP_2) | instskip(NEXT) | instid1(VALU_DEP_2)
	v_add_nc_u32_e32 v8, 6, v9
	v_add_co_u32 v6, vcc_lo, v2, v6
	v_add_co_ci_u32_e32 v7, vcc_lo, 0, v7, vcc_lo
                                        ; implicit-def: $vgpr2
	s_delay_alu instid0(VALU_DEP_3)
	v_cmpx_ne_u32_e32 0, v8
	s_xor_b32 s0, exec_lo, s0
; %bb.34:                               ;   in Loop: Header=BB62_10 Depth=1
	s_delay_alu instid0(VALU_DEP_2) | instskip(SKIP_1) | instid1(VALU_DEP_1)
	v_cmp_lt_u64_e32 vcc_lo, 0xffffff, v[6:7]
	v_add_nc_u32_e32 v2, 7, v9
	v_cndmask_b32_e32 v2, v8, v2, vcc_lo
	v_cndmask_b32_e64 v8, 0, 1, vcc_lo
	s_delay_alu instid0(VALU_DEP_1)
	v_lshrrev_b64 v[6:7], v8, v[6:7]
; %bb.35:                               ;   in Loop: Header=BB62_10 Depth=1
	s_and_not1_saveexec_b32 s0, s0
; %bb.36:                               ;   in Loop: Header=BB62_10 Depth=1
	s_delay_alu instid0(VALU_DEP_1)
	v_bfe_u32 v2, v6, 23, 1
; %bb.37:                               ;   in Loop: Header=BB62_10 Depth=1
	s_or_b32 exec_lo, exec_lo, s0
	s_delay_alu instid0(VALU_DEP_2) | instskip(NEXT) | instid1(VALU_DEP_2)
	v_lshrrev_b64 v[6:7], 20, v[6:7]
	v_cmp_gt_i32_e32 vcc_lo, 16, v2
	v_cmp_ne_u32_e64 s0, 0, v2
	s_delay_alu instid0(VALU_DEP_3) | instskip(NEXT) | instid1(VALU_DEP_1)
	v_dual_cndmask_b32 v7, 0, v7 :: v_dual_cndmask_b32 v6, 7, v6
	v_cmp_ne_u64_e32 vcc_lo, 0, v[6:7]
                                        ; implicit-def: $vgpr7
	s_delay_alu instid0(VALU_DEP_3) | instskip(NEXT) | instid1(SALU_CYCLE_1)
	s_or_b32 s0, s0, vcc_lo
	s_and_saveexec_b32 s42, s0
	s_delay_alu instid0(SALU_CYCLE_1)
	s_xor_b32 s0, exec_lo, s42
; %bb.38:                               ;   in Loop: Header=BB62_10 Depth=1
	v_min_i32_e32 v2, 15, v2
	s_delay_alu instid0(VALU_DEP_1) | instskip(NEXT) | instid1(VALU_DEP_1)
	v_lshl_or_b32 v2, v2, 3, v13
                                        ; implicit-def: $vgpr13
	v_and_or_b32 v7, v6, 7, v2
; %bb.39:                               ;   in Loop: Header=BB62_10 Depth=1
	s_and_not1_saveexec_b32 s0, s0
; %bb.40:                               ;   in Loop: Header=BB62_10 Depth=1
	v_mov_b32_e32 v7, v13
; %bb.41:                               ;   in Loop: Header=BB62_10 Depth=1
	s_or_b32 exec_lo, exec_lo, s0
.LBB62_42:                              ;   in Loop: Header=BB62_10 Depth=1
	s_delay_alu instid0(SALU_CYCLE_1)
	s_or_b32 exec_lo, exec_lo, s41
.LBB62_43:                              ;   in Loop: Header=BB62_10 Depth=1
	s_and_not1_saveexec_b32 s0, s40
	s_delay_alu instid0(SALU_CYCLE_1)
	s_or_b32 exec_lo, exec_lo, s0
                                        ; implicit-def: $vgpr9
.LBB62_44:                              ;   in Loop: Header=BB62_10 Depth=1
	s_and_not1_saveexec_b32 s0, s29
	s_cbranch_execz .LBB62_9
; %bb.45:                               ;   in Loop: Header=BB62_10 Depth=1
	v_cmp_eq_u64_e32 vcc_lo, 0, v[2:3]
	v_or_b32_e32 v6, 0x7f, v9
	s_delay_alu instid0(VALU_DEP_1)
	v_cndmask_b32_e32 v7, v6, v7, vcc_lo
	s_branch .LBB62_9
.LBB62_46:
	s_or_b32 exec_lo, exec_lo, s37
	s_delay_alu instid0(SALU_CYCLE_1)
	s_mov_b32 s0, exec_lo
	v_cmpx_gt_i32_e64 s6, v1
	s_cbranch_execz .LBB62_67
; %bb.47:
	s_mul_i32 s1, s16, s11
	s_mul_hi_u32 s8, s16, s10
	s_mul_i32 s0, s16, s10
	s_add_i32 s1, s8, s1
	v_mov_b32_e32 v4, 0
	s_lshl_b64 s[8:9], s[0:1], 1
	s_load_b32 s0, s[2:3], 0x8c
	s_waitcnt lgkmcnt(0)
	s_load_b32 s3, s[24:25], 0x0
	s_add_u32 s1, s14, s8
	s_addc_u32 s2, s15, s9
	s_ashr_i32 s4, s4, 31
	s_delay_alu instid0(SALU_CYCLE_1) | instskip(NEXT) | instid1(SALU_CYCLE_1)
	s_mul_i32 s4, s22, s4
	s_add_i32 s4, s34, s4
	s_delay_alu instid0(SALU_CYCLE_1) | instskip(SKIP_3) | instid1(SALU_CYCLE_1)
	s_add_i32 s4, s4, s35
	s_add_u32 s8, s18, s36
	s_addc_u32 s9, s19, s4
	s_ashr_i32 s4, s5, 31
	s_mul_i32 s7, s7, s4
	s_delay_alu instid0(SALU_CYCLE_1) | instskip(NEXT) | instid1(SALU_CYCLE_1)
	s_add_i32 s4, s31, s7
	s_add_i32 s5, s4, s23
	s_add_u32 s4, s8, s30
	s_addc_u32 s5, s9, s5
	s_and_b32 s7, s0, 0xffff
	s_mov_b32 s8, 0
	s_branch .LBB62_49
.LBB62_48:                              ;   in Loop: Header=BB62_49 Depth=1
	s_or_b32 exec_lo, exec_lo, s0
	v_add_co_u32 v7, vcc_lo, s4, v1
	v_add_nc_u32_e32 v1, s7, v1
	v_add_co_ci_u32_e32 v8, vcc_lo, s5, v2, vcc_lo
	s_delay_alu instid0(VALU_DEP_2) | instskip(SKIP_2) | instid1(SALU_CYCLE_1)
	v_cmp_le_i32_e32 vcc_lo, s6, v1
	global_store_b8 v[7:8], v6, off
	s_or_b32 s8, vcc_lo, s8
	s_and_not1_b32 exec_lo, exec_lo, s8
	s_cbranch_execz .LBB62_67
.LBB62_49:                              ; =>This Inner Loop Header: Depth=1
	v_ashrrev_i32_e32 v2, 31, v1
	s_mov_b32 s0, exec_lo
	v_mov_b32_e32 v9, v4
	s_delay_alu instid0(VALU_DEP_2) | instskip(NEXT) | instid1(VALU_DEP_1)
	v_lshlrev_b64 v[5:6], 1, v[1:2]
	v_add_co_u32 v5, vcc_lo, s1, v5
	s_delay_alu instid0(VALU_DEP_2) | instskip(SKIP_3) | instid1(VALU_DEP_1)
	v_add_co_ci_u32_e32 v6, vcc_lo, s2, v6, vcc_lo
	global_load_b32 v0, v[5:6], off
	s_waitcnt vmcnt(0) lgkmcnt(0)
	v_div_scale_f32 v3, null, s3, s3, v0
	v_rcp_f32_e32 v5, v3
	s_waitcnt_depctr 0xfff
	v_fma_f32 v6, -v3, v5, 1.0
	s_delay_alu instid0(VALU_DEP_1) | instskip(SKIP_1) | instid1(VALU_DEP_1)
	v_fmac_f32_e32 v5, v6, v5
	v_div_scale_f32 v6, vcc_lo, v0, s3, v0
	v_mul_f32_e32 v7, v6, v5
	s_delay_alu instid0(VALU_DEP_1) | instskip(NEXT) | instid1(VALU_DEP_1)
	v_fma_f32 v8, -v3, v7, v6
	v_fmac_f32_e32 v7, v8, v5
	s_delay_alu instid0(VALU_DEP_1) | instskip(NEXT) | instid1(VALU_DEP_1)
	v_fma_f32 v3, -v3, v7, v6
	v_div_fmas_f32 v3, v3, v5, v7
	s_delay_alu instid0(VALU_DEP_1) | instskip(NEXT) | instid1(VALU_DEP_1)
	v_div_fixup_f32 v5, v3, s3, v0
	v_lshrrev_b32_e32 v7, 24, v5
	v_and_b32_e32 v8, 0x7f800000, v5
	v_and_b32_e32 v3, 0x7fffff, v5
	s_delay_alu instid0(VALU_DEP_3) | instskip(NEXT) | instid1(VALU_DEP_1)
	v_and_b32_e32 v0, 0x80, v7
	v_or_b32_e32 v6, 0x7e, v0
	s_delay_alu instid0(VALU_DEP_4)
	v_cmpx_ne_u64_e32 0x7f800000, v[8:9]
	s_xor_b32 s9, exec_lo, s0
	s_cbranch_execz .LBB62_65
; %bb.50:                               ;   in Loop: Header=BB62_49 Depth=1
	v_dual_mov_b32 v8, v4 :: v_dual_and_b32 v7, 0x7fffffff, v5
	s_mov_b32 s0, exec_lo
	s_delay_alu instid0(VALU_DEP_1)
	v_cmpx_gt_u64_e32 0x43e00001, v[7:8]
	s_xor_b32 s10, exec_lo, s0
	s_cbranch_execz .LBB62_64
; %bb.51:                               ;   in Loop: Header=BB62_49 Depth=1
	v_mov_b32_e32 v6, 0
	s_mov_b32 s11, exec_lo
	v_cmpx_ne_u32_e32 0, v5
	s_cbranch_execz .LBB62_63
; %bb.52:                               ;   in Loop: Header=BB62_49 Depth=1
	v_bfe_u32 v9, v5, 23, 8
	v_or_b32_e32 v7, 0x800000, v3
	s_delay_alu instid0(VALU_DEP_2) | instskip(SKIP_1) | instid1(VALU_DEP_2)
	v_sub_nc_u32_e32 v5, 0x79, v9
	v_cmp_gt_u32_e32 vcc_lo, 0x7a, v9
	v_cndmask_b32_e32 v5, 0, v5, vcc_lo
	v_cmp_eq_u32_e32 vcc_lo, 0, v9
	s_delay_alu instid0(VALU_DEP_2) | instskip(SKIP_1) | instid1(VALU_DEP_2)
	v_cndmask_b32_e64 v10, v5, 0x78, vcc_lo
	v_cndmask_b32_e32 v3, v7, v3, vcc_lo
	v_add_nc_u32_e32 v5, 20, v10
	v_add_nc_u32_e32 v7, 19, v10
	s_delay_alu instid0(VALU_DEP_2) | instskip(NEXT) | instid1(VALU_DEP_2)
	v_lshlrev_b64 v[5:6], v5, -1
	v_lshlrev_b64 v[7:8], v7, 1
	s_delay_alu instid0(VALU_DEP_2) | instskip(NEXT) | instid1(VALU_DEP_3)
	v_not_b32_e32 v6, v6
	v_not_b32_e32 v5, v5
	s_delay_alu instid0(VALU_DEP_2) | instskip(NEXT) | instid1(VALU_DEP_2)
	v_and_b32_e32 v12, 0, v6
	v_and_b32_e32 v11, v3, v5
	v_lshrrev_b64 v[5:6], v10, v[3:4]
	s_delay_alu instid0(VALU_DEP_2) | instskip(NEXT) | instid1(VALU_DEP_2)
	v_cmp_eq_u64_e64 s0, v[11:12], v[7:8]
	v_dual_mov_b32 v8, v6 :: v_dual_mov_b32 v7, v5
	s_delay_alu instid0(VALU_DEP_2)
	s_and_saveexec_b32 s12, s0
; %bb.53:                               ;   in Loop: Header=BB62_49 Depth=1
	v_bfe_u32 v3, v5, 20, 1
	s_delay_alu instid0(VALU_DEP_1) | instskip(NEXT) | instid1(VALU_DEP_1)
	v_add_co_u32 v3, s0, v5, v3
	v_add_co_u32 v7, s0, v3, -1
; %bb.54:                               ;   in Loop: Header=BB62_49 Depth=1
	s_or_b32 exec_lo, exec_lo, s12
	v_add_nc_u32_e32 v3, 0xffffff81, v9
	v_lshrrev_b32_e32 v8, 23, v5
	s_mov_b32 s0, exec_lo
	s_delay_alu instid0(VALU_DEP_2) | instskip(NEXT) | instid1(VALU_DEP_1)
	v_cndmask_b32_e64 v3, v3, 0xffffff82, vcc_lo
	v_add3_u32 v8, v10, v3, v8
	v_and_b32_e32 v3, 0xfffff, v7
	s_delay_alu instid0(VALU_DEP_2) | instskip(NEXT) | instid1(VALU_DEP_2)
	v_add_nc_u32_e32 v7, 6, v8
	v_add_co_u32 v5, vcc_lo, v3, v5
	v_add_co_ci_u32_e32 v6, vcc_lo, 0, v6, vcc_lo
                                        ; implicit-def: $vgpr3
	s_delay_alu instid0(VALU_DEP_3)
	v_cmpx_ne_u32_e32 0, v7
	s_xor_b32 s0, exec_lo, s0
; %bb.55:                               ;   in Loop: Header=BB62_49 Depth=1
	s_delay_alu instid0(VALU_DEP_2) | instskip(SKIP_1) | instid1(VALU_DEP_1)
	v_cmp_lt_u64_e32 vcc_lo, 0xffffff, v[5:6]
	v_add_nc_u32_e32 v3, 7, v8
	v_cndmask_b32_e32 v3, v7, v3, vcc_lo
	v_cndmask_b32_e64 v7, 0, 1, vcc_lo
	s_delay_alu instid0(VALU_DEP_1)
	v_lshrrev_b64 v[5:6], v7, v[5:6]
; %bb.56:                               ;   in Loop: Header=BB62_49 Depth=1
	s_and_not1_saveexec_b32 s0, s0
; %bb.57:                               ;   in Loop: Header=BB62_49 Depth=1
	s_delay_alu instid0(VALU_DEP_1)
	v_bfe_u32 v3, v5, 23, 1
; %bb.58:                               ;   in Loop: Header=BB62_49 Depth=1
	s_or_b32 exec_lo, exec_lo, s0
	s_delay_alu instid0(VALU_DEP_2) | instskip(NEXT) | instid1(VALU_DEP_2)
	v_lshrrev_b64 v[5:6], 20, v[5:6]
	v_cmp_gt_i32_e32 vcc_lo, 16, v3
	v_cmp_ne_u32_e64 s0, 0, v3
	s_delay_alu instid0(VALU_DEP_3) | instskip(NEXT) | instid1(VALU_DEP_1)
	v_dual_cndmask_b32 v6, 0, v6 :: v_dual_cndmask_b32 v5, 7, v5
	v_cmp_ne_u64_e32 vcc_lo, 0, v[5:6]
                                        ; implicit-def: $vgpr6
	s_delay_alu instid0(VALU_DEP_3) | instskip(NEXT) | instid1(SALU_CYCLE_1)
	s_or_b32 s0, s0, vcc_lo
	s_and_saveexec_b32 s12, s0
	s_delay_alu instid0(SALU_CYCLE_1)
	s_xor_b32 s0, exec_lo, s12
; %bb.59:                               ;   in Loop: Header=BB62_49 Depth=1
	v_min_i32_e32 v3, 15, v3
	s_delay_alu instid0(VALU_DEP_1) | instskip(NEXT) | instid1(VALU_DEP_1)
	v_lshl_or_b32 v0, v3, 3, v0
	v_and_or_b32 v6, v5, 7, v0
                                        ; implicit-def: $vgpr0
; %bb.60:                               ;   in Loop: Header=BB62_49 Depth=1
	s_and_not1_saveexec_b32 s0, s0
; %bb.61:                               ;   in Loop: Header=BB62_49 Depth=1
	v_mov_b32_e32 v6, v0
; %bb.62:                               ;   in Loop: Header=BB62_49 Depth=1
	s_or_b32 exec_lo, exec_lo, s0
.LBB62_63:                              ;   in Loop: Header=BB62_49 Depth=1
	s_delay_alu instid0(SALU_CYCLE_1)
	s_or_b32 exec_lo, exec_lo, s11
.LBB62_64:                              ;   in Loop: Header=BB62_49 Depth=1
	s_and_not1_saveexec_b32 s0, s10
	s_delay_alu instid0(SALU_CYCLE_1)
	s_or_b32 exec_lo, exec_lo, s0
                                        ; implicit-def: $vgpr7
.LBB62_65:                              ;   in Loop: Header=BB62_49 Depth=1
	s_and_not1_saveexec_b32 s0, s9
	s_cbranch_execz .LBB62_48
; %bb.66:                               ;   in Loop: Header=BB62_49 Depth=1
	v_cmp_eq_u64_e32 vcc_lo, 0, v[3:4]
	v_or_b32_e32 v0, 0x7f, v7
	s_delay_alu instid0(VALU_DEP_1)
	v_cndmask_b32_e32 v6, v0, v6, vcc_lo
	s_branch .LBB62_48
.LBB62_67:
	s_nop 0
	s_sendmsg sendmsg(MSG_DEALLOC_VGPRS)
	s_endpgm
.LBB62_68:
                                        ; implicit-def: $sgpr22_sgpr23
	s_branch .LBB62_6
	.section	.rodata,"a",@progbits
	.p2align	6, 0x0
	.amdhsa_kernel _ZN4vllm38concat_and_cache_mla_rope_fused_kernelIN3c104HalfES2_Lb1EfhLNS_18Fp8KVCacheDataTypeE1EEEvPKlPT_S7_PKS6_PKT0_illlliPT3_S5_iiiiPKf
		.amdhsa_group_segment_fixed_size 4096
		.amdhsa_private_segment_fixed_size 0
		.amdhsa_kernarg_size 384
		.amdhsa_user_sgpr_count 15
		.amdhsa_user_sgpr_dispatch_ptr 1
		.amdhsa_user_sgpr_queue_ptr 0
		.amdhsa_user_sgpr_kernarg_segment_ptr 1
		.amdhsa_user_sgpr_dispatch_id 0
		.amdhsa_user_sgpr_private_segment_size 0
		.amdhsa_wavefront_size32 1
		.amdhsa_uses_dynamic_stack 0
		.amdhsa_enable_private_segment 0
		.amdhsa_system_sgpr_workgroup_id_x 1
		.amdhsa_system_sgpr_workgroup_id_y 0
		.amdhsa_system_sgpr_workgroup_id_z 0
		.amdhsa_system_sgpr_workgroup_info 0
		.amdhsa_system_vgpr_workitem_id 2
		.amdhsa_next_free_vgpr 23
		.amdhsa_next_free_sgpr 48
		.amdhsa_reserve_vcc 1
		.amdhsa_float_round_mode_32 0
		.amdhsa_float_round_mode_16_64 0
		.amdhsa_float_denorm_mode_32 3
		.amdhsa_float_denorm_mode_16_64 3
		.amdhsa_dx10_clamp 1
		.amdhsa_ieee_mode 1
		.amdhsa_fp16_overflow 0
		.amdhsa_workgroup_processor_mode 1
		.amdhsa_memory_ordered 1
		.amdhsa_forward_progress 0
		.amdhsa_shared_vgpr_count 0
		.amdhsa_exception_fp_ieee_invalid_op 0
		.amdhsa_exception_fp_denorm_src 0
		.amdhsa_exception_fp_ieee_div_zero 0
		.amdhsa_exception_fp_ieee_overflow 0
		.amdhsa_exception_fp_ieee_underflow 0
		.amdhsa_exception_fp_ieee_inexact 0
		.amdhsa_exception_int_div_zero 0
	.end_amdhsa_kernel
	.section	.text._ZN4vllm38concat_and_cache_mla_rope_fused_kernelIN3c104HalfES2_Lb1EfhLNS_18Fp8KVCacheDataTypeE1EEEvPKlPT_S7_PKS6_PKT0_illlliPT3_S5_iiiiPKf,"axG",@progbits,_ZN4vllm38concat_and_cache_mla_rope_fused_kernelIN3c104HalfES2_Lb1EfhLNS_18Fp8KVCacheDataTypeE1EEEvPKlPT_S7_PKS6_PKT0_illlliPT3_S5_iiiiPKf,comdat
.Lfunc_end62:
	.size	_ZN4vllm38concat_and_cache_mla_rope_fused_kernelIN3c104HalfES2_Lb1EfhLNS_18Fp8KVCacheDataTypeE1EEEvPKlPT_S7_PKS6_PKT0_illlliPT3_S5_iiiiPKf, .Lfunc_end62-_ZN4vllm38concat_and_cache_mla_rope_fused_kernelIN3c104HalfES2_Lb1EfhLNS_18Fp8KVCacheDataTypeE1EEEvPKlPT_S7_PKS6_PKT0_illlliPT3_S5_iiiiPKf
                                        ; -- End function
	.section	.AMDGPU.csdata,"",@progbits
; Kernel info:
; codeLenInByte = 4476
; NumSgprs: 50
; NumVgprs: 23
; ScratchSize: 0
; MemoryBound: 0
; FloatMode: 240
; IeeeMode: 1
; LDSByteSize: 4096 bytes/workgroup (compile time only)
; SGPRBlocks: 6
; VGPRBlocks: 2
; NumSGPRsForWavesPerEU: 50
; NumVGPRsForWavesPerEU: 23
; Occupancy: 16
; WaveLimiterHint : 1
; COMPUTE_PGM_RSRC2:SCRATCH_EN: 0
; COMPUTE_PGM_RSRC2:USER_SGPR: 15
; COMPUTE_PGM_RSRC2:TRAP_HANDLER: 0
; COMPUTE_PGM_RSRC2:TGID_X_EN: 1
; COMPUTE_PGM_RSRC2:TGID_Y_EN: 0
; COMPUTE_PGM_RSRC2:TGID_Z_EN: 0
; COMPUTE_PGM_RSRC2:TIDIG_COMP_CNT: 2
	.section	.text._ZN4vllm38concat_and_cache_mla_rope_fused_kernelIN3c104HalfES2_Lb0EfhLNS_18Fp8KVCacheDataTypeE1EEEvPKlPT_S7_PKS6_PKT0_illlliPT3_S5_iiiiPKf,"axG",@progbits,_ZN4vllm38concat_and_cache_mla_rope_fused_kernelIN3c104HalfES2_Lb0EfhLNS_18Fp8KVCacheDataTypeE1EEEvPKlPT_S7_PKS6_PKT0_illlliPT3_S5_iiiiPKf,comdat
	.protected	_ZN4vllm38concat_and_cache_mla_rope_fused_kernelIN3c104HalfES2_Lb0EfhLNS_18Fp8KVCacheDataTypeE1EEEvPKlPT_S7_PKS6_PKT0_illlliPT3_S5_iiiiPKf ; -- Begin function _ZN4vllm38concat_and_cache_mla_rope_fused_kernelIN3c104HalfES2_Lb0EfhLNS_18Fp8KVCacheDataTypeE1EEEvPKlPT_S7_PKS6_PKT0_illlliPT3_S5_iiiiPKf
	.globl	_ZN4vllm38concat_and_cache_mla_rope_fused_kernelIN3c104HalfES2_Lb0EfhLNS_18Fp8KVCacheDataTypeE1EEEvPKlPT_S7_PKS6_PKT0_illlliPT3_S5_iiiiPKf
	.p2align	8
	.type	_ZN4vllm38concat_and_cache_mla_rope_fused_kernelIN3c104HalfES2_Lb0EfhLNS_18Fp8KVCacheDataTypeE1EEEvPKlPT_S7_PKS6_PKT0_illlliPT3_S5_iiiiPKf,@function
_ZN4vllm38concat_and_cache_mla_rope_fused_kernelIN3c104HalfES2_Lb0EfhLNS_18Fp8KVCacheDataTypeE1EEEvPKlPT_S7_PKS6_PKT0_illlliPT3_S5_iiiiPKf: ; @_ZN4vllm38concat_and_cache_mla_rope_fused_kernelIN3c104HalfES2_Lb0EfhLNS_18Fp8KVCacheDataTypeE1EEEvPKlPT_S7_PKS6_PKT0_illlliPT3_S5_iiiiPKf
; %bb.0:
	s_load_b64 s[6:7], s[2:3], 0x60
	s_mov_b32 s16, s15
	s_mov_b32 s17, 0
	s_delay_alu instid0(SALU_CYCLE_1)
	s_lshl_b64 s[4:5], s[16:17], 3
	s_waitcnt lgkmcnt(0)
	s_add_u32 s6, s6, s4
	s_addc_u32 s7, s7, s5
	s_load_b64 s[28:29], s[6:7], 0x0
	s_waitcnt lgkmcnt(0)
	v_cmp_lt_i64_e64 s6, s[28:29], 0
	s_delay_alu instid0(VALU_DEP_1)
	s_and_b32 vcc_lo, exec_lo, s6
	s_cbranch_vccnz .LBB63_67
; %bb.1:
	s_clause 0x3
	s_load_b32 s21, s[2:3], 0x28
	s_load_b64 s[6:7], s[2:3], 0x0
	s_load_b128 s[12:15], s[2:3], 0x10
	s_load_b32 s17, s[2:3], 0x50
	v_and_b32_e32 v1, 0x3ff, v0
	s_delay_alu instid0(VALU_DEP_1)
	v_lshlrev_b32_e32 v4, 1, v1
	s_waitcnt lgkmcnt(0)
	s_ashr_i32 s24, s21, 31
	s_add_u32 s4, s6, s4
	s_addc_u32 s5, s7, s5
	s_lshr_b32 s20, s21, 31
	s_load_b64 s[22:23], s[4:5], 0x0
	s_clause 0x2
	s_load_b64 s[26:27], s[2:3], 0x20
	s_load_b64 s[18:19], s[2:3], 0x58
	s_load_b256 s[4:11], s[2:3], 0x30
	s_add_i32 s20, s21, s20
	s_delay_alu instid0(SALU_CYCLE_1) | instskip(NEXT) | instid1(SALU_CYCLE_1)
	s_ashr_i32 s20, s20, 1
	s_mul_i32 s17, s20, s17
	s_waitcnt lgkmcnt(0)
	s_mul_i32 s24, s22, s24
	s_mul_hi_u32 s25, s22, s21
	s_mul_i32 s23, s23, s21
	s_add_i32 s24, s25, s24
	s_mul_i32 s30, s22, s21
	s_add_i32 s31, s24, s23
	s_mov_b32 s22, exec_lo
	v_cmpx_gt_i32_e64 s17, v1
	s_cbranch_execz .LBB63_4
; %bb.2:
	s_clause 0x1
	s_load_b64 s[34:35], s[2:3], 0x8
	s_load_b32 s36, s[2:3], 0x8c
	s_lshl_b64 s[24:25], s[30:31], 1
	s_mul_i32 s5, s16, s5
	s_mul_hi_u32 s21, s16, s4
	s_add_u32 s23, s26, s24
	s_mul_i32 s4, s16, s4
	s_addc_u32 s24, s27, s25
	s_add_i32 s5, s21, s5
	s_ashr_i32 s21, s20, 31
	s_lshl_b64 s[4:5], s[4:5], 1
	s_waitcnt lgkmcnt(0)
	s_add_u32 s25, s34, s4
	s_addc_u32 s33, s35, s5
	s_abs_i32 s34, s20
	s_and_b32 s36, s36, 0xffff
	v_cvt_f32_u32_e32 v2, s34
	s_sub_i32 s4, 0, s34
	s_mov_b32 s35, 0
	s_sub_i32 s37, 0, s20
	s_lshl_b32 s39, s36, 1
	v_rcp_iflag_f32_e32 v2, v2
	s_waitcnt_depctr 0xfff
	v_mul_f32_e32 v2, 0x4f7ffffe, v2
	s_delay_alu instid0(VALU_DEP_1) | instskip(NEXT) | instid1(VALU_DEP_1)
	v_cvt_u32_f32_e32 v3, v2
	v_mul_lo_u32 v2, s4, v3
	s_lshl_b32 s4, s20, 1
	s_delay_alu instid0(SALU_CYCLE_1) | instskip(SKIP_1) | instid1(VALU_DEP_1)
	s_sub_i32 s38, 0, s4
	s_lshl_b64 s[4:5], s[20:21], 1
	v_mul_hi_u32 v5, v3, v2
	s_delay_alu instid0(VALU_DEP_1)
	v_dual_mov_b32 v2, v4 :: v_dual_add_nc_u32 v5, v3, v5
	v_mov_b32_e32 v3, v1
.LBB63_3:                               ; =>This Inner Loop Header: Depth=1
	s_delay_alu instid0(VALU_DEP_1) | instskip(SKIP_1) | instid1(VALU_DEP_2)
	v_sub_nc_u32_e32 v6, 0, v3
	v_ashrrev_i32_e32 v7, 31, v3
	v_max_i32_e32 v6, v3, v6
	s_delay_alu instid0(VALU_DEP_2) | instskip(NEXT) | instid1(VALU_DEP_2)
	v_xor_b32_e32 v7, s21, v7
	v_mul_hi_u32 v8, v6, v5
	s_delay_alu instid0(VALU_DEP_1) | instskip(SKIP_1) | instid1(VALU_DEP_2)
	v_mul_lo_u32 v9, v8, s34
	v_add_nc_u32_e32 v10, 1, v8
	v_sub_nc_u32_e32 v6, v6, v9
	s_delay_alu instid0(VALU_DEP_1) | instskip(SKIP_1) | instid1(VALU_DEP_4)
	v_subrev_nc_u32_e32 v9, s34, v6
	v_cmp_le_u32_e32 vcc_lo, s34, v6
	v_cndmask_b32_e32 v8, v8, v10, vcc_lo
	s_delay_alu instid0(VALU_DEP_1) | instskip(NEXT) | instid1(VALU_DEP_1)
	v_dual_cndmask_b32 v6, v6, v9 :: v_dual_add_nc_u32 v9, 1, v8
	v_cmp_le_u32_e32 vcc_lo, s34, v6
	s_delay_alu instid0(VALU_DEP_2) | instskip(NEXT) | instid1(VALU_DEP_1)
	v_cndmask_b32_e32 v6, v8, v9, vcc_lo
	v_xor_b32_e32 v6, v6, v7
	s_delay_alu instid0(VALU_DEP_1) | instskip(NEXT) | instid1(VALU_DEP_1)
	v_sub_nc_u32_e32 v12, v6, v7
	v_mad_u64_u32 v[6:7], null, s37, v12, v[3:4]
	v_ashrrev_i32_e32 v7, 31, v12
	v_mul_lo_u32 v13, v12, s7
	v_mad_u64_u32 v[8:9], null, v12, s6, 0
	v_mad_u64_u32 v[10:11], null, s38, v12, v[2:3]
	s_delay_alu instid0(VALU_DEP_4) | instskip(SKIP_3) | instid1(VALU_DEP_3)
	v_mul_lo_u32 v12, v7, s6
	v_ashrrev_i32_e32 v7, 31, v6
	v_add_nc_u32_e32 v3, s36, v3
	v_add_nc_u32_e32 v2, s39, v2
	v_lshlrev_b64 v[6:7], 1, v[6:7]
	v_ashrrev_i32_e32 v11, 31, v10
	v_add3_u32 v9, v9, v13, v12
	s_delay_alu instid0(VALU_DEP_3) | instskip(NEXT) | instid1(VALU_DEP_2)
	v_add_co_u32 v6, vcc_lo, s23, v6
	v_lshlrev_b64 v[8:9], 1, v[8:9]
	s_delay_alu instid0(VALU_DEP_4) | instskip(SKIP_1) | instid1(VALU_DEP_3)
	v_lshlrev_b64 v[10:11], 1, v[10:11]
	v_add_co_ci_u32_e32 v7, vcc_lo, s24, v7, vcc_lo
	v_add_co_u32 v8, vcc_lo, s25, v8
	s_delay_alu instid0(VALU_DEP_4) | instskip(NEXT) | instid1(VALU_DEP_2)
	v_add_co_ci_u32_e32 v9, vcc_lo, s33, v9, vcc_lo
	v_add_co_u32 v8, vcc_lo, v8, v10
	s_delay_alu instid0(VALU_DEP_2)
	v_add_co_ci_u32_e32 v9, vcc_lo, v9, v11, vcc_lo
	v_add_co_u32 v10, vcc_lo, v6, s4
	v_add_co_ci_u32_e32 v11, vcc_lo, s5, v7, vcc_lo
	global_load_b32 v12, v[8:9], off
	s_clause 0x1
	global_load_u16 v6, v[6:7], off
	global_load_u16 v7, v[10:11], off
	v_cmp_le_i32_e32 vcc_lo, s17, v3
	s_or_b32 s35, vcc_lo, s35
	s_waitcnt vmcnt(2)
	v_lshrrev_b32_e32 v10, 16, v12
	s_waitcnt vmcnt(0)
	s_delay_alu instid0(VALU_DEP_1) | instskip(SKIP_1) | instid1(VALU_DEP_2)
	v_mul_f16_e32 v11, v7, v10
	v_mul_f16_e32 v10, v6, v10
	v_fma_f16 v6, v6, v12, -v11
	s_delay_alu instid0(VALU_DEP_2) | instskip(NEXT) | instid1(VALU_DEP_1)
	v_fmac_f16_e32 v10, v7, v12
	v_pack_b32_f16 v6, v6, v10
	global_store_b32 v[8:9], v6, off
	s_and_not1_b32 exec_lo, exec_lo, s35
	s_cbranch_execnz .LBB63_3
.LBB63_4:
	s_or_b32 exec_lo, exec_lo, s22
	s_load_b128 s[4:7], s[2:3], 0x68
	s_waitcnt lgkmcnt(0)
	s_ashr_i32 s35, s7, 31
	s_mov_b32 s34, s7
	s_delay_alu instid0(SALU_CYCLE_1) | instskip(SKIP_1) | instid1(SALU_CYCLE_1)
	s_or_b64 s[24:25], s[28:29], s[34:35]
	s_mov_b32 s24, 0
	s_cmp_lg_u64 s[24:25], 0
	s_cbranch_scc0 .LBB63_68
; %bb.5:
	s_add_u32 s36, s34, s35
	s_mov_b32 s22, s35
	s_mov_b32 s23, s35
	s_addc_u32 s37, s35, s35
	s_delay_alu instid0(SALU_CYCLE_1) | instskip(NEXT) | instid1(SALU_CYCLE_1)
	s_xor_b64 s[36:37], s[36:37], s[22:23]
	v_cvt_f32_u32_e32 v2, s36
	v_cvt_f32_u32_e32 v3, s37
	s_sub_u32 s21, 0, s36
	s_subb_u32 s25, 0, s37
	s_delay_alu instid0(VALU_DEP_1) | instskip(NEXT) | instid1(VALU_DEP_1)
	v_fmamk_f32 v2, v3, 0x4f800000, v2
	v_rcp_f32_e32 v2, v2
	s_waitcnt_depctr 0xfff
	v_mul_f32_e32 v2, 0x5f7ffffc, v2
	s_delay_alu instid0(VALU_DEP_1) | instskip(NEXT) | instid1(VALU_DEP_1)
	v_mul_f32_e32 v3, 0x2f800000, v2
	v_trunc_f32_e32 v3, v3
	s_delay_alu instid0(VALU_DEP_1) | instskip(SKIP_1) | instid1(VALU_DEP_2)
	v_fmamk_f32 v2, v3, 0xcf800000, v2
	v_cvt_u32_f32_e32 v3, v3
	v_cvt_u32_f32_e32 v2, v2
	s_delay_alu instid0(VALU_DEP_2) | instskip(NEXT) | instid1(VALU_DEP_2)
	v_readfirstlane_b32 s7, v3
	v_readfirstlane_b32 s17, v2
	s_delay_alu instid0(VALU_DEP_2) | instskip(NEXT) | instid1(VALU_DEP_1)
	s_mul_i32 s33, s21, s7
	s_mul_hi_u32 s39, s21, s17
	s_mul_i32 s38, s25, s17
	s_add_i32 s33, s39, s33
	s_mul_i32 s40, s21, s17
	s_add_i32 s33, s33, s38
	s_mul_hi_u32 s39, s17, s40
	s_mul_hi_u32 s41, s7, s40
	s_mul_i32 s38, s7, s40
	s_mul_hi_u32 s40, s17, s33
	s_mul_i32 s17, s17, s33
	s_mul_hi_u32 s42, s7, s33
	s_add_u32 s17, s39, s17
	s_addc_u32 s39, 0, s40
	s_add_u32 s17, s17, s38
	s_mul_i32 s33, s7, s33
	s_addc_u32 s17, s39, s41
	s_addc_u32 s38, s42, 0
	s_add_u32 s17, s17, s33
	s_addc_u32 s33, 0, s38
	v_add_co_u32 v2, s17, v2, s17
	s_delay_alu instid0(VALU_DEP_1) | instskip(SKIP_1) | instid1(VALU_DEP_1)
	s_cmp_lg_u32 s17, 0
	s_addc_u32 s7, s7, s33
	v_readfirstlane_b32 s17, v2
	s_mul_i32 s33, s21, s7
	s_delay_alu instid0(VALU_DEP_1)
	s_mul_hi_u32 s38, s21, s17
	s_mul_i32 s25, s25, s17
	s_add_i32 s33, s38, s33
	s_mul_i32 s21, s21, s17
	s_add_i32 s33, s33, s25
	s_mul_hi_u32 s38, s7, s21
	s_mul_i32 s39, s7, s21
	s_mul_hi_u32 s21, s17, s21
	s_mul_hi_u32 s40, s17, s33
	s_mul_i32 s17, s17, s33
	s_mul_hi_u32 s25, s7, s33
	s_add_u32 s17, s21, s17
	s_addc_u32 s21, 0, s40
	s_add_u32 s17, s17, s39
	s_mul_i32 s33, s7, s33
	s_addc_u32 s17, s21, s38
	s_addc_u32 s21, s25, 0
	s_add_u32 s17, s17, s33
	s_addc_u32 s21, 0, s21
	v_add_co_u32 v2, s17, v2, s17
	s_delay_alu instid0(VALU_DEP_1) | instskip(SKIP_2) | instid1(VALU_DEP_1)
	s_cmp_lg_u32 s17, 0
	s_addc_u32 s7, s7, s21
	s_ashr_i32 s38, s29, 31
	v_readfirstlane_b32 s17, v2
	s_add_u32 s40, s28, s38
	s_mov_b32 s39, s38
	s_addc_u32 s41, s29, s38
	s_delay_alu instid0(SALU_CYCLE_1) | instskip(NEXT) | instid1(SALU_CYCLE_1)
	s_xor_b64 s[40:41], s[40:41], s[38:39]
	s_mul_i32 s25, s40, s7
	s_mul_hi_u32 s33, s40, s17
	s_mul_hi_u32 s21, s40, s7
	;; [unrolled: 1-line block ×3, first 2 shown]
	s_mul_i32 s17, s41, s17
	s_add_u32 s25, s33, s25
	s_addc_u32 s21, 0, s21
	s_mul_hi_u32 s42, s41, s7
	s_add_u32 s17, s25, s17
	s_mul_i32 s7, s41, s7
	s_addc_u32 s17, s21, s43
	s_addc_u32 s21, s42, 0
	s_add_u32 s7, s17, s7
	s_addc_u32 s17, 0, s21
	s_mul_hi_u32 s21, s36, s7
	s_mul_i32 s33, s36, s17
	s_mul_i32 s42, s36, s7
	s_add_i32 s21, s21, s33
	v_sub_co_u32 v2, s33, s40, s42
	s_mul_i32 s25, s37, s7
	s_delay_alu instid0(SALU_CYCLE_1) | instskip(NEXT) | instid1(VALU_DEP_1)
	s_add_i32 s21, s21, s25
	v_sub_co_u32 v3, s40, v2, s36
	s_sub_i32 s25, s41, s21
	s_cmp_lg_u32 s33, 0
	s_subb_u32 s25, s25, s37
	s_cmp_lg_u32 s40, 0
	v_readfirstlane_b32 s40, v3
	s_subb_u32 s25, s25, 0
	s_delay_alu instid0(SALU_CYCLE_1) | instskip(SKIP_1) | instid1(VALU_DEP_1)
	s_cmp_ge_u32 s25, s37
	s_cselect_b32 s42, -1, 0
	s_cmp_ge_u32 s40, s36
	s_cselect_b32 s40, -1, 0
	s_cmp_eq_u32 s25, s37
	s_cselect_b32 s25, s40, s42
	s_add_u32 s40, s7, 1
	s_addc_u32 s42, s17, 0
	s_add_u32 s43, s7, 2
	s_addc_u32 s44, s17, 0
	s_cmp_lg_u32 s25, 0
	s_cselect_b32 s25, s43, s40
	s_cselect_b32 s40, s44, s42
	s_cmp_lg_u32 s33, 0
	v_readfirstlane_b32 s33, v2
	s_subb_u32 s21, s41, s21
	s_delay_alu instid0(SALU_CYCLE_1) | instskip(SKIP_1) | instid1(VALU_DEP_1)
	s_cmp_ge_u32 s21, s37
	s_cselect_b32 s41, -1, 0
	s_cmp_ge_u32 s33, s36
	s_cselect_b32 s33, -1, 0
	s_cmp_eq_u32 s21, s37
	s_cselect_b32 s21, s33, s41
	s_delay_alu instid0(SALU_CYCLE_1) | instskip(SKIP_3) | instid1(SALU_CYCLE_1)
	s_cmp_lg_u32 s21, 0
	s_cselect_b32 s37, s40, s17
	s_cselect_b32 s36, s25, s7
	s_xor_b64 s[22:23], s[38:39], s[22:23]
	s_xor_b64 s[36:37], s[36:37], s[22:23]
	s_delay_alu instid0(SALU_CYCLE_1)
	s_sub_u32 s22, s36, s22
	s_subb_u32 s23, s37, s23
	s_and_not1_b32 vcc_lo, exec_lo, s24
	s_cbranch_vccnz .LBB63_7
.LBB63_6:
	v_cvt_f32_u32_e32 v2, s34
	s_sub_i32 s17, 0, s34
	s_mov_b32 s23, 0
	s_delay_alu instid0(VALU_DEP_1) | instskip(SKIP_2) | instid1(VALU_DEP_1)
	v_rcp_iflag_f32_e32 v2, v2
	s_waitcnt_depctr 0xfff
	v_mul_f32_e32 v2, 0x4f7ffffe, v2
	v_cvt_u32_f32_e32 v2, v2
	s_delay_alu instid0(VALU_DEP_1) | instskip(NEXT) | instid1(VALU_DEP_1)
	v_readfirstlane_b32 s7, v2
	s_mul_i32 s17, s17, s7
	s_delay_alu instid0(SALU_CYCLE_1) | instskip(NEXT) | instid1(SALU_CYCLE_1)
	s_mul_hi_u32 s17, s7, s17
	s_add_i32 s7, s7, s17
	s_delay_alu instid0(SALU_CYCLE_1) | instskip(NEXT) | instid1(SALU_CYCLE_1)
	s_mul_hi_u32 s7, s28, s7
	s_mul_i32 s17, s7, s34
	s_add_i32 s21, s7, 1
	s_sub_i32 s17, s28, s17
	s_delay_alu instid0(SALU_CYCLE_1)
	s_sub_i32 s22, s17, s34
	s_cmp_ge_u32 s17, s34
	s_cselect_b32 s7, s21, s7
	s_cselect_b32 s17, s22, s17
	s_add_i32 s21, s7, 1
	s_cmp_ge_u32 s17, s34
	s_cselect_b32 s22, s21, s7
.LBB63_7:
	s_load_b64 s[24:25], s[2:3], 0x78
	s_mul_i32 s7, s22, s35
	s_mul_hi_u32 s17, s22, s34
	s_mul_i32 s21, s22, s34
	s_add_i32 s7, s17, s7
	s_mul_i32 s17, s23, s34
	s_mul_i32 s33, s23, s4
	s_add_i32 s17, s7, s17
	s_sub_u32 s7, s28, s21
	s_subb_u32 s17, s29, s17
	s_mul_hi_u32 s29, s22, s4
	s_mul_i32 s34, s22, s4
	s_mul_hi_u32 s28, s7, s5
	s_mul_i32 s17, s17, s5
	s_mul_i32 s23, s7, s5
	s_mov_b32 s35, exec_lo
	v_cmpx_gt_i32_e64 s20, v1
	s_cbranch_execz .LBB63_46
; %bb.8:
	s_load_b64 s[36:37], s[0:1], 0x4
	s_load_b32 s0, s[2:3], 0x8c
	s_ashr_i32 s40, s4, 31
	s_ashr_i32 s41, s5, 31
	v_bfe_u32 v2, v0, 10, 10
	v_bfe_u32 v3, v0, 20, 10
	s_lshl_b64 s[38:39], s[30:31], 1
	s_mul_i32 s30, s22, s40
	s_mul_i32 s40, s7, s41
	s_add_i32 s30, s29, s30
	s_add_i32 s40, s28, s40
	s_ashr_i32 s21, s20, 31
	s_ashr_i32 s42, s6, 31
	s_add_i32 s41, s30, s33
	s_add_i32 s40, s40, s17
	s_waitcnt lgkmcnt(0)
	s_load_b32 s1, s[24:25], 0x0
	s_mul_i32 s9, s9, s16
	s_mul_hi_u32 s31, s8, s16
	s_mul_i32 s8, s8, s16
	v_mov_b32_e32 v19, v1
	s_lshr_b32 s36, s36, 16
	s_and_b32 s30, s0, 0xffff
	s_mul_i32 s36, s36, s37
	s_add_u32 s0, s26, s38
	v_mul_lo_u32 v0, s36, v1
	s_addc_u32 s27, s27, s39
	s_lshl_b32 s26, s30, 1
	s_lshl_b64 s[38:39], s[20:21], 1
	s_add_u32 s21, s34, s23
	s_delay_alu instid0(VALU_DEP_1) | instskip(SKIP_1) | instid1(VALU_DEP_1)
	v_mad_u32_u24 v2, v2, s37, v0
	v_add_co_u32 v0, s0, s0, v4
	v_add_co_ci_u32_e64 v12, null, s27, 0, s0
	s_addc_u32 s0, s41, s40
	s_add_u32 s27, s18, s6
	s_addc_u32 s36, s19, s42
	s_add_u32 s21, s27, s21
	s_addc_u32 s0, s36, s0
	s_add_i32 s9, s31, s9
	v_add_lshl_u32 v13, v2, v3, 1
	v_lshlrev_b32_e32 v2, 2, v1
	s_lshl_b64 s[8:9], s[8:9], 1
	v_add_co_u32 v3, s21, s21, v4
	s_delay_alu instid0(VALU_DEP_1)
	v_add_co_ci_u32_e64 v4, null, s0, 0, s21
	s_add_u32 s0, s12, s8
	v_add_co_u32 v15, vcc_lo, v0, s38
	s_addc_u32 s8, s13, s9
	v_add_co_u32 v2, s0, s0, v2
	v_add_co_ci_u32_e32 v16, vcc_lo, s39, v12, vcc_lo
	v_add_co_ci_u32_e64 v5, null, s8, 0, s0
	v_add_co_u32 v17, vcc_lo, v3, 1
	v_add_co_ci_u32_e32 v18, vcc_lo, 0, v4, vcc_lo
	v_add_co_u32 v2, vcc_lo, v2, 2
	v_add_nc_u32_e32 v14, 0x800, v13
	v_add_co_ci_u32_e32 v3, vcc_lo, 0, v5, vcc_lo
	v_mov_b32_e32 v5, 0
	s_mov_b32 s12, 0
	s_lshl_b32 s13, s30, 2
	s_mov_b64 s[8:9], 0
	s_branch .LBB63_10
.LBB63_9:                               ;   in Loop: Header=BB63_10 Depth=1
	s_or_b32 exec_lo, exec_lo, s0
	v_add_nc_u32_e32 v19, s30, v19
	v_add_co_u32 v2, s0, v2, s13
	s_delay_alu instid0(VALU_DEP_1) | instskip(NEXT) | instid1(VALU_DEP_3)
	v_add_co_ci_u32_e64 v3, s0, 0, v3, s0
	v_cmp_le_i32_e32 vcc_lo, s20, v19
	s_add_u32 s8, s8, s26
	s_addc_u32 s9, s9, 0
	global_store_b8 v[6:7], v9, off
	s_or_b32 s12, vcc_lo, s12
	s_delay_alu instid0(SALU_CYCLE_1)
	s_and_not1_b32 exec_lo, exec_lo, s12
	s_cbranch_execz .LBB63_46
.LBB63_10:                              ; =>This Inner Loop Header: Depth=1
	v_add_co_u32 v6, vcc_lo, v15, s8
	v_add_co_ci_u32_e32 v7, vcc_lo, s9, v16, vcc_lo
	global_load_b32 v4, v[2:3], off offset:-2
	v_add_co_u32 v8, vcc_lo, v0, s8
	v_add_co_ci_u32_e32 v9, vcc_lo, s9, v12, vcc_lo
	s_clause 0x1
	global_load_u16 v6, v[6:7], off
	global_load_u16 v7, v[8:9], off
	s_waitcnt vmcnt(2)
	v_lshrrev_b32_e32 v8, 16, v4
	s_waitcnt vmcnt(1)
	s_delay_alu instid0(VALU_DEP_1) | instskip(SKIP_1) | instid1(VALU_DEP_1)
	v_mul_f16_e32 v9, v6, v8
	s_waitcnt vmcnt(0)
	v_fma_f16 v20, v7, v4, -v9
	ds_store_b16 v14, v20
	ds_load_b32 v9, v14
	s_waitcnt lgkmcnt(0)
	v_div_scale_f32 v10, null, s1, s1, v9
	s_delay_alu instid0(VALU_DEP_1) | instskip(SKIP_2) | instid1(VALU_DEP_1)
	v_rcp_f32_e32 v11, v10
	s_waitcnt_depctr 0xfff
	v_fma_f32 v21, -v10, v11, 1.0
	v_fmac_f32_e32 v11, v21, v11
	v_div_scale_f32 v21, vcc_lo, v9, s1, v9
	s_delay_alu instid0(VALU_DEP_1) | instskip(NEXT) | instid1(VALU_DEP_1)
	v_mul_f32_e32 v22, v21, v11
	v_fma_f32 v23, -v10, v22, v21
	s_delay_alu instid0(VALU_DEP_1) | instskip(SKIP_1) | instid1(VALU_DEP_2)
	v_fmac_f32_e32 v22, v23, v11
	v_mul_f16_e32 v23, v7, v8
	v_fma_f32 v7, -v10, v22, v21
	s_delay_alu instid0(VALU_DEP_2) | instskip(NEXT) | instid1(VALU_DEP_2)
	v_fmac_f16_e32 v23, v6, v4
	v_div_fmas_f32 v4, v7, v11, v22
	ds_store_b16 v13, v23
	ds_load_b32 v10, v13
	v_pack_b32_f16 v20, v20, v23
	v_div_fixup_f32 v6, v4, s1, v9
	v_mov_b32_e32 v9, v5
	global_store_b32 v[2:3], v20, off offset:-2
	v_lshrrev_b32_e32 v7, 24, v6
	v_and_b32_e32 v8, 0x7f800000, v6
	v_and_b32_e32 v4, 0x7fffff, v6
	s_delay_alu instid0(VALU_DEP_3) | instskip(NEXT) | instid1(VALU_DEP_3)
	v_and_b32_e32 v11, 0x80, v7
	v_cmp_ne_u64_e32 vcc_lo, 0x7f800000, v[8:9]
	s_delay_alu instid0(VALU_DEP_2) | instskip(SKIP_1) | instid1(SALU_CYCLE_1)
	v_or_b32_e32 v8, 0x7e, v11
	s_and_saveexec_b32 s0, vcc_lo
	s_xor_b32 s21, exec_lo, s0
	s_cbranch_execz .LBB63_26
; %bb.11:                               ;   in Loop: Header=BB63_10 Depth=1
	v_dual_mov_b32 v21, v5 :: v_dual_and_b32 v20, 0x7fffffff, v6
	s_mov_b32 s0, exec_lo
	s_delay_alu instid0(VALU_DEP_1)
	v_cmpx_gt_u64_e32 0x43e00001, v[20:21]
	s_xor_b32 s27, exec_lo, s0
	s_cbranch_execz .LBB63_25
; %bb.12:                               ;   in Loop: Header=BB63_10 Depth=1
	v_mov_b32_e32 v8, 0
	s_mov_b32 s31, exec_lo
	v_cmpx_ne_u32_e32 0, v6
	s_cbranch_execz .LBB63_24
; %bb.13:                               ;   in Loop: Header=BB63_10 Depth=1
	v_bfe_u32 v20, v6, 23, 8
	v_or_b32_e32 v8, 0x800000, v4
	s_delay_alu instid0(VALU_DEP_2) | instskip(SKIP_1) | instid1(VALU_DEP_2)
	v_sub_nc_u32_e32 v6, 0x79, v20
	v_cmp_gt_u32_e32 vcc_lo, 0x7a, v20
	v_cndmask_b32_e32 v6, 0, v6, vcc_lo
	v_cmp_eq_u32_e32 vcc_lo, 0, v20
	s_delay_alu instid0(VALU_DEP_2) | instskip(SKIP_1) | instid1(VALU_DEP_2)
	v_cndmask_b32_e64 v21, v6, 0x78, vcc_lo
	v_cndmask_b32_e32 v4, v8, v4, vcc_lo
	v_add_nc_u32_e32 v6, 20, v21
	v_add_nc_u32_e32 v8, 19, v21
	s_delay_alu instid0(VALU_DEP_2) | instskip(NEXT) | instid1(VALU_DEP_2)
	v_lshlrev_b64 v[6:7], v6, -1
	v_lshlrev_b64 v[8:9], v8, 1
	s_delay_alu instid0(VALU_DEP_2) | instskip(NEXT) | instid1(VALU_DEP_3)
	v_not_b32_e32 v7, v7
	v_not_b32_e32 v6, v6
	s_delay_alu instid0(VALU_DEP_2) | instskip(NEXT) | instid1(VALU_DEP_2)
	v_and_b32_e32 v23, 0, v7
	v_and_b32_e32 v22, v4, v6
	v_lshrrev_b64 v[6:7], v21, v[4:5]
	s_delay_alu instid0(VALU_DEP_2) | instskip(NEXT) | instid1(VALU_DEP_2)
	v_cmp_eq_u64_e64 s0, v[22:23], v[8:9]
	v_dual_mov_b32 v9, v7 :: v_dual_mov_b32 v8, v6
	s_delay_alu instid0(VALU_DEP_2)
	s_and_saveexec_b32 s36, s0
; %bb.14:                               ;   in Loop: Header=BB63_10 Depth=1
	v_bfe_u32 v4, v6, 20, 1
	s_delay_alu instid0(VALU_DEP_1) | instskip(NEXT) | instid1(VALU_DEP_1)
	v_add_co_u32 v4, s0, v6, v4
	v_add_co_u32 v8, s0, v4, -1
; %bb.15:                               ;   in Loop: Header=BB63_10 Depth=1
	s_or_b32 exec_lo, exec_lo, s36
	v_add_nc_u32_e32 v4, 0xffffff81, v20
	v_lshrrev_b32_e32 v9, 23, v6
	s_mov_b32 s0, exec_lo
	s_delay_alu instid0(VALU_DEP_2) | instskip(NEXT) | instid1(VALU_DEP_1)
	v_cndmask_b32_e64 v4, v4, 0xffffff82, vcc_lo
	v_add3_u32 v9, v21, v4, v9
	v_and_b32_e32 v4, 0xfffff, v8
	s_delay_alu instid0(VALU_DEP_2) | instskip(NEXT) | instid1(VALU_DEP_2)
	v_add_nc_u32_e32 v8, 6, v9
	v_add_co_u32 v6, vcc_lo, v4, v6
	v_add_co_ci_u32_e32 v7, vcc_lo, 0, v7, vcc_lo
                                        ; implicit-def: $vgpr4
	s_delay_alu instid0(VALU_DEP_3)
	v_cmpx_ne_u32_e32 0, v8
	s_xor_b32 s0, exec_lo, s0
; %bb.16:                               ;   in Loop: Header=BB63_10 Depth=1
	s_delay_alu instid0(VALU_DEP_2) | instskip(SKIP_1) | instid1(VALU_DEP_1)
	v_cmp_lt_u64_e32 vcc_lo, 0xffffff, v[6:7]
	v_add_nc_u32_e32 v4, 7, v9
	v_cndmask_b32_e32 v4, v8, v4, vcc_lo
	v_cndmask_b32_e64 v8, 0, 1, vcc_lo
	s_delay_alu instid0(VALU_DEP_1)
	v_lshrrev_b64 v[6:7], v8, v[6:7]
; %bb.17:                               ;   in Loop: Header=BB63_10 Depth=1
	s_and_not1_saveexec_b32 s0, s0
; %bb.18:                               ;   in Loop: Header=BB63_10 Depth=1
	s_delay_alu instid0(VALU_DEP_1)
	v_bfe_u32 v4, v6, 23, 1
; %bb.19:                               ;   in Loop: Header=BB63_10 Depth=1
	s_or_b32 exec_lo, exec_lo, s0
	s_delay_alu instid0(VALU_DEP_2) | instskip(NEXT) | instid1(VALU_DEP_2)
	v_lshrrev_b64 v[6:7], 20, v[6:7]
	v_cmp_gt_i32_e32 vcc_lo, 16, v4
	v_cmp_ne_u32_e64 s0, 0, v4
                                        ; implicit-def: $vgpr8
	s_delay_alu instid0(VALU_DEP_3) | instskip(NEXT) | instid1(VALU_DEP_1)
	v_dual_cndmask_b32 v7, 0, v7 :: v_dual_cndmask_b32 v6, 7, v6
	v_cmp_ne_u64_e32 vcc_lo, 0, v[6:7]
	s_delay_alu instid0(VALU_DEP_3) | instskip(NEXT) | instid1(SALU_CYCLE_1)
	s_or_b32 s0, s0, vcc_lo
	s_and_saveexec_b32 s36, s0
	s_delay_alu instid0(SALU_CYCLE_1)
	s_xor_b32 s0, exec_lo, s36
; %bb.20:                               ;   in Loop: Header=BB63_10 Depth=1
	v_min_i32_e32 v4, 15, v4
	s_delay_alu instid0(VALU_DEP_1) | instskip(NEXT) | instid1(VALU_DEP_1)
	v_lshl_or_b32 v4, v4, 3, v11
                                        ; implicit-def: $vgpr11
	v_and_or_b32 v8, v6, 7, v4
; %bb.21:                               ;   in Loop: Header=BB63_10 Depth=1
	s_and_not1_saveexec_b32 s0, s0
; %bb.22:                               ;   in Loop: Header=BB63_10 Depth=1
	v_mov_b32_e32 v8, v11
; %bb.23:                               ;   in Loop: Header=BB63_10 Depth=1
	s_or_b32 exec_lo, exec_lo, s0
.LBB63_24:                              ;   in Loop: Header=BB63_10 Depth=1
	s_delay_alu instid0(SALU_CYCLE_1)
	s_or_b32 exec_lo, exec_lo, s31
.LBB63_25:                              ;   in Loop: Header=BB63_10 Depth=1
	s_and_not1_saveexec_b32 s0, s27
	s_delay_alu instid0(SALU_CYCLE_1)
	s_or_b32 exec_lo, exec_lo, s0
                                        ; implicit-def: $vgpr7
.LBB63_26:                              ;   in Loop: Header=BB63_10 Depth=1
	s_and_not1_saveexec_b32 s0, s21
; %bb.27:                               ;   in Loop: Header=BB63_10 Depth=1
	v_cmp_eq_u64_e32 vcc_lo, 0, v[4:5]
	v_or_b32_e32 v6, 0x7f, v7
	s_delay_alu instid0(VALU_DEP_1)
	v_cndmask_b32_e32 v8, v6, v8, vcc_lo
; %bb.28:                               ;   in Loop: Header=BB63_10 Depth=1
	s_or_b32 exec_lo, exec_lo, s0
	s_waitcnt lgkmcnt(0)
	v_div_scale_f32 v4, null, s1, s1, v10
	v_div_scale_f32 v9, vcc_lo, v10, s1, v10
	s_mov_b32 s0, exec_lo
	s_delay_alu instid0(VALU_DEP_2) | instskip(SKIP_3) | instid1(VALU_DEP_1)
	v_rcp_f32_e32 v6, v4
	v_mov_b32_e32 v22, v5
	s_waitcnt_depctr 0xfff
	v_fma_f32 v7, -v4, v6, 1.0
	v_fmac_f32_e32 v6, v7, v6
	s_delay_alu instid0(VALU_DEP_1) | instskip(NEXT) | instid1(VALU_DEP_1)
	v_mul_f32_e32 v7, v9, v6
	v_fma_f32 v11, -v4, v7, v9
	s_delay_alu instid0(VALU_DEP_1) | instskip(NEXT) | instid1(VALU_DEP_1)
	v_fmac_f32_e32 v7, v11, v6
	v_fma_f32 v4, -v4, v7, v9
	s_delay_alu instid0(VALU_DEP_1) | instskip(SKIP_2) | instid1(VALU_DEP_3)
	v_div_fmas_f32 v4, v4, v6, v7
	v_add_co_u32 v6, vcc_lo, v17, s8
	v_add_co_ci_u32_e32 v7, vcc_lo, s9, v18, vcc_lo
	v_div_fixup_f32 v10, v4, s1, v10
	global_store_b8 v[6:7], v8, off offset:-1
	v_lshrrev_b32_e32 v11, 24, v10
	v_and_b32_e32 v21, 0x7f800000, v10
	v_and_b32_e32 v4, 0x7fffff, v10
	s_delay_alu instid0(VALU_DEP_3) | instskip(NEXT) | instid1(VALU_DEP_1)
	v_and_b32_e32 v20, 0x80, v11
	v_or_b32_e32 v9, 0x7e, v20
	s_delay_alu instid0(VALU_DEP_4)
	v_cmpx_ne_u64_e32 0x7f800000, v[21:22]
	s_xor_b32 s21, exec_lo, s0
	s_cbranch_execz .LBB63_44
; %bb.29:                               ;   in Loop: Header=BB63_10 Depth=1
	v_dual_mov_b32 v22, v5 :: v_dual_and_b32 v21, 0x7fffffff, v10
	s_mov_b32 s0, exec_lo
	s_delay_alu instid0(VALU_DEP_1)
	v_cmpx_gt_u64_e32 0x43e00001, v[21:22]
	s_xor_b32 s27, exec_lo, s0
	s_cbranch_execz .LBB63_43
; %bb.30:                               ;   in Loop: Header=BB63_10 Depth=1
	v_mov_b32_e32 v9, 0
	s_mov_b32 s31, exec_lo
	v_cmpx_ne_u32_e32 0, v10
	s_cbranch_execz .LBB63_42
; %bb.31:                               ;   in Loop: Header=BB63_10 Depth=1
	v_bfe_u32 v21, v10, 23, 8
	v_or_b32_e32 v10, 0x800000, v4
	s_delay_alu instid0(VALU_DEP_2) | instskip(SKIP_1) | instid1(VALU_DEP_2)
	v_sub_nc_u32_e32 v8, 0x79, v21
	v_cmp_gt_u32_e32 vcc_lo, 0x7a, v21
	v_cndmask_b32_e32 v8, 0, v8, vcc_lo
	v_cmp_eq_u32_e32 vcc_lo, 0, v21
	s_delay_alu instid0(VALU_DEP_2) | instskip(SKIP_1) | instid1(VALU_DEP_2)
	v_cndmask_b32_e64 v22, v8, 0x78, vcc_lo
	v_cndmask_b32_e32 v4, v10, v4, vcc_lo
	v_add_nc_u32_e32 v8, 20, v22
	v_add_nc_u32_e32 v10, 19, v22
	s_delay_alu instid0(VALU_DEP_2) | instskip(NEXT) | instid1(VALU_DEP_2)
	v_lshlrev_b64 v[8:9], v8, -1
	v_lshlrev_b64 v[10:11], v10, 1
	s_delay_alu instid0(VALU_DEP_2) | instskip(NEXT) | instid1(VALU_DEP_3)
	v_not_b32_e32 v9, v9
	v_not_b32_e32 v8, v8
	s_delay_alu instid0(VALU_DEP_2) | instskip(NEXT) | instid1(VALU_DEP_2)
	v_and_b32_e32 v24, 0, v9
	v_and_b32_e32 v23, v4, v8
	v_lshrrev_b64 v[8:9], v22, v[4:5]
	s_delay_alu instid0(VALU_DEP_2) | instskip(NEXT) | instid1(VALU_DEP_2)
	v_cmp_eq_u64_e64 s0, v[23:24], v[10:11]
	v_dual_mov_b32 v11, v9 :: v_dual_mov_b32 v10, v8
	s_delay_alu instid0(VALU_DEP_2)
	s_and_saveexec_b32 s36, s0
; %bb.32:                               ;   in Loop: Header=BB63_10 Depth=1
	v_bfe_u32 v4, v8, 20, 1
	s_delay_alu instid0(VALU_DEP_1) | instskip(NEXT) | instid1(VALU_DEP_1)
	v_add_co_u32 v4, s0, v8, v4
	v_add_co_u32 v10, s0, v4, -1
; %bb.33:                               ;   in Loop: Header=BB63_10 Depth=1
	s_or_b32 exec_lo, exec_lo, s36
	v_add_nc_u32_e32 v4, 0xffffff81, v21
	v_lshrrev_b32_e32 v11, 23, v8
	s_mov_b32 s0, exec_lo
	s_delay_alu instid0(VALU_DEP_2) | instskip(NEXT) | instid1(VALU_DEP_1)
	v_cndmask_b32_e64 v4, v4, 0xffffff82, vcc_lo
	v_add3_u32 v11, v22, v4, v11
	v_and_b32_e32 v4, 0xfffff, v10
	s_delay_alu instid0(VALU_DEP_2) | instskip(NEXT) | instid1(VALU_DEP_2)
	v_add_nc_u32_e32 v10, 6, v11
	v_add_co_u32 v8, vcc_lo, v4, v8
	v_add_co_ci_u32_e32 v9, vcc_lo, 0, v9, vcc_lo
                                        ; implicit-def: $vgpr4
	s_delay_alu instid0(VALU_DEP_3)
	v_cmpx_ne_u32_e32 0, v10
	s_xor_b32 s0, exec_lo, s0
; %bb.34:                               ;   in Loop: Header=BB63_10 Depth=1
	s_delay_alu instid0(VALU_DEP_2) | instskip(SKIP_1) | instid1(VALU_DEP_1)
	v_cmp_lt_u64_e32 vcc_lo, 0xffffff, v[8:9]
	v_add_nc_u32_e32 v4, 7, v11
	v_cndmask_b32_e32 v4, v10, v4, vcc_lo
	v_cndmask_b32_e64 v10, 0, 1, vcc_lo
	s_delay_alu instid0(VALU_DEP_1)
	v_lshrrev_b64 v[8:9], v10, v[8:9]
; %bb.35:                               ;   in Loop: Header=BB63_10 Depth=1
	s_and_not1_saveexec_b32 s0, s0
; %bb.36:                               ;   in Loop: Header=BB63_10 Depth=1
	s_delay_alu instid0(VALU_DEP_1)
	v_bfe_u32 v4, v8, 23, 1
; %bb.37:                               ;   in Loop: Header=BB63_10 Depth=1
	s_or_b32 exec_lo, exec_lo, s0
	s_delay_alu instid0(VALU_DEP_2) | instskip(NEXT) | instid1(VALU_DEP_2)
	v_lshrrev_b64 v[8:9], 20, v[8:9]
	v_cmp_gt_i32_e32 vcc_lo, 16, v4
	v_cmp_ne_u32_e64 s0, 0, v4
	s_delay_alu instid0(VALU_DEP_3) | instskip(NEXT) | instid1(VALU_DEP_1)
	v_dual_cndmask_b32 v9, 0, v9 :: v_dual_cndmask_b32 v8, 7, v8
	v_cmp_ne_u64_e32 vcc_lo, 0, v[8:9]
                                        ; implicit-def: $vgpr9
	s_delay_alu instid0(VALU_DEP_3) | instskip(NEXT) | instid1(SALU_CYCLE_1)
	s_or_b32 s0, s0, vcc_lo
	s_and_saveexec_b32 s36, s0
	s_delay_alu instid0(SALU_CYCLE_1)
	s_xor_b32 s0, exec_lo, s36
; %bb.38:                               ;   in Loop: Header=BB63_10 Depth=1
	v_min_i32_e32 v4, 15, v4
	s_delay_alu instid0(VALU_DEP_1) | instskip(NEXT) | instid1(VALU_DEP_1)
	v_lshl_or_b32 v4, v4, 3, v20
                                        ; implicit-def: $vgpr20
	v_and_or_b32 v9, v8, 7, v4
; %bb.39:                               ;   in Loop: Header=BB63_10 Depth=1
	s_and_not1_saveexec_b32 s0, s0
; %bb.40:                               ;   in Loop: Header=BB63_10 Depth=1
	v_mov_b32_e32 v9, v20
; %bb.41:                               ;   in Loop: Header=BB63_10 Depth=1
	s_or_b32 exec_lo, exec_lo, s0
.LBB63_42:                              ;   in Loop: Header=BB63_10 Depth=1
	s_delay_alu instid0(SALU_CYCLE_1)
	s_or_b32 exec_lo, exec_lo, s31
.LBB63_43:                              ;   in Loop: Header=BB63_10 Depth=1
	s_and_not1_saveexec_b32 s0, s27
	s_delay_alu instid0(SALU_CYCLE_1)
	s_or_b32 exec_lo, exec_lo, s0
                                        ; implicit-def: $vgpr11
.LBB63_44:                              ;   in Loop: Header=BB63_10 Depth=1
	s_and_not1_saveexec_b32 s0, s21
	s_cbranch_execz .LBB63_9
; %bb.45:                               ;   in Loop: Header=BB63_10 Depth=1
	v_cmp_eq_u64_e32 vcc_lo, 0, v[4:5]
	v_or_b32_e32 v8, 0x7f, v11
	s_delay_alu instid0(VALU_DEP_1)
	v_cndmask_b32_e32 v9, v8, v9, vcc_lo
	s_branch .LBB63_9
.LBB63_46:
	s_or_b32 exec_lo, exec_lo, s35
	s_delay_alu instid0(SALU_CYCLE_1)
	s_mov_b32 s0, exec_lo
	v_cmpx_gt_i32_e64 s6, v1
	s_cbranch_execz .LBB63_67
; %bb.47:
	s_mul_i32 s1, s16, s11
	s_mul_hi_u32 s8, s16, s10
	s_mul_i32 s0, s16, s10
	s_add_i32 s1, s8, s1
	v_mov_b32_e32 v4, 0
	s_lshl_b64 s[8:9], s[0:1], 1
	s_load_b32 s0, s[2:3], 0x8c
	s_waitcnt lgkmcnt(0)
	s_load_b32 s3, s[24:25], 0x0
	s_add_u32 s1, s14, s8
	s_addc_u32 s2, s15, s9
	s_ashr_i32 s4, s4, 31
	s_delay_alu instid0(SALU_CYCLE_1) | instskip(NEXT) | instid1(SALU_CYCLE_1)
	s_mul_i32 s4, s22, s4
	s_add_i32 s4, s29, s4
	s_delay_alu instid0(SALU_CYCLE_1) | instskip(SKIP_3) | instid1(SALU_CYCLE_1)
	s_add_i32 s4, s4, s33
	s_add_u32 s8, s18, s34
	s_addc_u32 s9, s19, s4
	s_ashr_i32 s4, s5, 31
	s_mul_i32 s7, s7, s4
	s_delay_alu instid0(SALU_CYCLE_1) | instskip(NEXT) | instid1(SALU_CYCLE_1)
	s_add_i32 s4, s28, s7
	s_add_i32 s5, s4, s17
	s_add_u32 s4, s8, s23
	s_addc_u32 s5, s9, s5
	s_and_b32 s7, s0, 0xffff
	s_mov_b32 s8, 0
	s_branch .LBB63_49
.LBB63_48:                              ;   in Loop: Header=BB63_49 Depth=1
	s_or_b32 exec_lo, exec_lo, s0
	v_add_co_u32 v7, vcc_lo, s4, v1
	v_add_nc_u32_e32 v1, s7, v1
	v_add_co_ci_u32_e32 v8, vcc_lo, s5, v2, vcc_lo
	s_delay_alu instid0(VALU_DEP_2) | instskip(SKIP_2) | instid1(SALU_CYCLE_1)
	v_cmp_le_i32_e32 vcc_lo, s6, v1
	global_store_b8 v[7:8], v6, off
	s_or_b32 s8, vcc_lo, s8
	s_and_not1_b32 exec_lo, exec_lo, s8
	s_cbranch_execz .LBB63_67
.LBB63_49:                              ; =>This Inner Loop Header: Depth=1
	v_ashrrev_i32_e32 v2, 31, v1
	s_mov_b32 s0, exec_lo
	v_mov_b32_e32 v9, v4
	s_delay_alu instid0(VALU_DEP_2) | instskip(NEXT) | instid1(VALU_DEP_1)
	v_lshlrev_b64 v[5:6], 1, v[1:2]
	v_add_co_u32 v5, vcc_lo, s1, v5
	s_delay_alu instid0(VALU_DEP_2) | instskip(SKIP_3) | instid1(VALU_DEP_1)
	v_add_co_ci_u32_e32 v6, vcc_lo, s2, v6, vcc_lo
	global_load_b32 v0, v[5:6], off
	s_waitcnt vmcnt(0) lgkmcnt(0)
	v_div_scale_f32 v3, null, s3, s3, v0
	v_rcp_f32_e32 v5, v3
	s_waitcnt_depctr 0xfff
	v_fma_f32 v6, -v3, v5, 1.0
	s_delay_alu instid0(VALU_DEP_1) | instskip(SKIP_1) | instid1(VALU_DEP_1)
	v_fmac_f32_e32 v5, v6, v5
	v_div_scale_f32 v6, vcc_lo, v0, s3, v0
	v_mul_f32_e32 v7, v6, v5
	s_delay_alu instid0(VALU_DEP_1) | instskip(NEXT) | instid1(VALU_DEP_1)
	v_fma_f32 v8, -v3, v7, v6
	v_fmac_f32_e32 v7, v8, v5
	s_delay_alu instid0(VALU_DEP_1) | instskip(NEXT) | instid1(VALU_DEP_1)
	v_fma_f32 v3, -v3, v7, v6
	v_div_fmas_f32 v3, v3, v5, v7
	s_delay_alu instid0(VALU_DEP_1) | instskip(NEXT) | instid1(VALU_DEP_1)
	v_div_fixup_f32 v5, v3, s3, v0
	v_lshrrev_b32_e32 v7, 24, v5
	v_and_b32_e32 v8, 0x7f800000, v5
	v_and_b32_e32 v3, 0x7fffff, v5
	s_delay_alu instid0(VALU_DEP_3) | instskip(NEXT) | instid1(VALU_DEP_1)
	v_and_b32_e32 v0, 0x80, v7
	v_or_b32_e32 v6, 0x7e, v0
	s_delay_alu instid0(VALU_DEP_4)
	v_cmpx_ne_u64_e32 0x7f800000, v[8:9]
	s_xor_b32 s9, exec_lo, s0
	s_cbranch_execz .LBB63_65
; %bb.50:                               ;   in Loop: Header=BB63_49 Depth=1
	v_dual_mov_b32 v8, v4 :: v_dual_and_b32 v7, 0x7fffffff, v5
	s_mov_b32 s0, exec_lo
	s_delay_alu instid0(VALU_DEP_1)
	v_cmpx_gt_u64_e32 0x43e00001, v[7:8]
	s_xor_b32 s10, exec_lo, s0
	s_cbranch_execz .LBB63_64
; %bb.51:                               ;   in Loop: Header=BB63_49 Depth=1
	v_mov_b32_e32 v6, 0
	s_mov_b32 s11, exec_lo
	v_cmpx_ne_u32_e32 0, v5
	s_cbranch_execz .LBB63_63
; %bb.52:                               ;   in Loop: Header=BB63_49 Depth=1
	v_bfe_u32 v9, v5, 23, 8
	v_or_b32_e32 v7, 0x800000, v3
	s_delay_alu instid0(VALU_DEP_2) | instskip(SKIP_1) | instid1(VALU_DEP_2)
	v_sub_nc_u32_e32 v5, 0x79, v9
	v_cmp_gt_u32_e32 vcc_lo, 0x7a, v9
	v_cndmask_b32_e32 v5, 0, v5, vcc_lo
	v_cmp_eq_u32_e32 vcc_lo, 0, v9
	s_delay_alu instid0(VALU_DEP_2) | instskip(SKIP_1) | instid1(VALU_DEP_2)
	v_cndmask_b32_e64 v10, v5, 0x78, vcc_lo
	v_cndmask_b32_e32 v3, v7, v3, vcc_lo
	v_add_nc_u32_e32 v5, 20, v10
	v_add_nc_u32_e32 v7, 19, v10
	s_delay_alu instid0(VALU_DEP_2) | instskip(NEXT) | instid1(VALU_DEP_2)
	v_lshlrev_b64 v[5:6], v5, -1
	v_lshlrev_b64 v[7:8], v7, 1
	s_delay_alu instid0(VALU_DEP_2) | instskip(NEXT) | instid1(VALU_DEP_3)
	v_not_b32_e32 v6, v6
	v_not_b32_e32 v5, v5
	s_delay_alu instid0(VALU_DEP_2) | instskip(NEXT) | instid1(VALU_DEP_2)
	v_and_b32_e32 v12, 0, v6
	v_and_b32_e32 v11, v3, v5
	v_lshrrev_b64 v[5:6], v10, v[3:4]
	s_delay_alu instid0(VALU_DEP_2) | instskip(NEXT) | instid1(VALU_DEP_2)
	v_cmp_eq_u64_e64 s0, v[11:12], v[7:8]
	v_dual_mov_b32 v8, v6 :: v_dual_mov_b32 v7, v5
	s_delay_alu instid0(VALU_DEP_2)
	s_and_saveexec_b32 s12, s0
; %bb.53:                               ;   in Loop: Header=BB63_49 Depth=1
	v_bfe_u32 v3, v5, 20, 1
	s_delay_alu instid0(VALU_DEP_1) | instskip(NEXT) | instid1(VALU_DEP_1)
	v_add_co_u32 v3, s0, v5, v3
	v_add_co_u32 v7, s0, v3, -1
; %bb.54:                               ;   in Loop: Header=BB63_49 Depth=1
	s_or_b32 exec_lo, exec_lo, s12
	v_add_nc_u32_e32 v3, 0xffffff81, v9
	v_lshrrev_b32_e32 v8, 23, v5
	s_mov_b32 s0, exec_lo
	s_delay_alu instid0(VALU_DEP_2) | instskip(NEXT) | instid1(VALU_DEP_1)
	v_cndmask_b32_e64 v3, v3, 0xffffff82, vcc_lo
	v_add3_u32 v8, v10, v3, v8
	v_and_b32_e32 v3, 0xfffff, v7
	s_delay_alu instid0(VALU_DEP_2) | instskip(NEXT) | instid1(VALU_DEP_2)
	v_add_nc_u32_e32 v7, 6, v8
	v_add_co_u32 v5, vcc_lo, v3, v5
	v_add_co_ci_u32_e32 v6, vcc_lo, 0, v6, vcc_lo
                                        ; implicit-def: $vgpr3
	s_delay_alu instid0(VALU_DEP_3)
	v_cmpx_ne_u32_e32 0, v7
	s_xor_b32 s0, exec_lo, s0
; %bb.55:                               ;   in Loop: Header=BB63_49 Depth=1
	s_delay_alu instid0(VALU_DEP_2) | instskip(SKIP_1) | instid1(VALU_DEP_1)
	v_cmp_lt_u64_e32 vcc_lo, 0xffffff, v[5:6]
	v_add_nc_u32_e32 v3, 7, v8
	v_cndmask_b32_e32 v3, v7, v3, vcc_lo
	v_cndmask_b32_e64 v7, 0, 1, vcc_lo
	s_delay_alu instid0(VALU_DEP_1)
	v_lshrrev_b64 v[5:6], v7, v[5:6]
; %bb.56:                               ;   in Loop: Header=BB63_49 Depth=1
	s_and_not1_saveexec_b32 s0, s0
; %bb.57:                               ;   in Loop: Header=BB63_49 Depth=1
	s_delay_alu instid0(VALU_DEP_1)
	v_bfe_u32 v3, v5, 23, 1
; %bb.58:                               ;   in Loop: Header=BB63_49 Depth=1
	s_or_b32 exec_lo, exec_lo, s0
	s_delay_alu instid0(VALU_DEP_2) | instskip(NEXT) | instid1(VALU_DEP_2)
	v_lshrrev_b64 v[5:6], 20, v[5:6]
	v_cmp_gt_i32_e32 vcc_lo, 16, v3
	v_cmp_ne_u32_e64 s0, 0, v3
	s_delay_alu instid0(VALU_DEP_3) | instskip(NEXT) | instid1(VALU_DEP_1)
	v_dual_cndmask_b32 v6, 0, v6 :: v_dual_cndmask_b32 v5, 7, v5
	v_cmp_ne_u64_e32 vcc_lo, 0, v[5:6]
                                        ; implicit-def: $vgpr6
	s_delay_alu instid0(VALU_DEP_3) | instskip(NEXT) | instid1(SALU_CYCLE_1)
	s_or_b32 s0, s0, vcc_lo
	s_and_saveexec_b32 s12, s0
	s_delay_alu instid0(SALU_CYCLE_1)
	s_xor_b32 s0, exec_lo, s12
; %bb.59:                               ;   in Loop: Header=BB63_49 Depth=1
	v_min_i32_e32 v3, 15, v3
	s_delay_alu instid0(VALU_DEP_1) | instskip(NEXT) | instid1(VALU_DEP_1)
	v_lshl_or_b32 v0, v3, 3, v0
	v_and_or_b32 v6, v5, 7, v0
                                        ; implicit-def: $vgpr0
; %bb.60:                               ;   in Loop: Header=BB63_49 Depth=1
	s_and_not1_saveexec_b32 s0, s0
; %bb.61:                               ;   in Loop: Header=BB63_49 Depth=1
	v_mov_b32_e32 v6, v0
; %bb.62:                               ;   in Loop: Header=BB63_49 Depth=1
	s_or_b32 exec_lo, exec_lo, s0
.LBB63_63:                              ;   in Loop: Header=BB63_49 Depth=1
	s_delay_alu instid0(SALU_CYCLE_1)
	s_or_b32 exec_lo, exec_lo, s11
.LBB63_64:                              ;   in Loop: Header=BB63_49 Depth=1
	s_and_not1_saveexec_b32 s0, s10
	s_delay_alu instid0(SALU_CYCLE_1)
	s_or_b32 exec_lo, exec_lo, s0
                                        ; implicit-def: $vgpr7
.LBB63_65:                              ;   in Loop: Header=BB63_49 Depth=1
	s_and_not1_saveexec_b32 s0, s9
	s_cbranch_execz .LBB63_48
; %bb.66:                               ;   in Loop: Header=BB63_49 Depth=1
	v_cmp_eq_u64_e32 vcc_lo, 0, v[3:4]
	v_or_b32_e32 v0, 0x7f, v7
	s_delay_alu instid0(VALU_DEP_1)
	v_cndmask_b32_e32 v6, v0, v6, vcc_lo
	s_branch .LBB63_48
.LBB63_67:
	s_nop 0
	s_sendmsg sendmsg(MSG_DEALLOC_VGPRS)
	s_endpgm
.LBB63_68:
                                        ; implicit-def: $sgpr22_sgpr23
	s_branch .LBB63_6
	.section	.rodata,"a",@progbits
	.p2align	6, 0x0
	.amdhsa_kernel _ZN4vllm38concat_and_cache_mla_rope_fused_kernelIN3c104HalfES2_Lb0EfhLNS_18Fp8KVCacheDataTypeE1EEEvPKlPT_S7_PKS6_PKT0_illlliPT3_S5_iiiiPKf
		.amdhsa_group_segment_fixed_size 4096
		.amdhsa_private_segment_fixed_size 0
		.amdhsa_kernarg_size 384
		.amdhsa_user_sgpr_count 15
		.amdhsa_user_sgpr_dispatch_ptr 1
		.amdhsa_user_sgpr_queue_ptr 0
		.amdhsa_user_sgpr_kernarg_segment_ptr 1
		.amdhsa_user_sgpr_dispatch_id 0
		.amdhsa_user_sgpr_private_segment_size 0
		.amdhsa_wavefront_size32 1
		.amdhsa_uses_dynamic_stack 0
		.amdhsa_enable_private_segment 0
		.amdhsa_system_sgpr_workgroup_id_x 1
		.amdhsa_system_sgpr_workgroup_id_y 0
		.amdhsa_system_sgpr_workgroup_id_z 0
		.amdhsa_system_sgpr_workgroup_info 0
		.amdhsa_system_vgpr_workitem_id 2
		.amdhsa_next_free_vgpr 25
		.amdhsa_next_free_sgpr 45
		.amdhsa_reserve_vcc 1
		.amdhsa_float_round_mode_32 0
		.amdhsa_float_round_mode_16_64 0
		.amdhsa_float_denorm_mode_32 3
		.amdhsa_float_denorm_mode_16_64 3
		.amdhsa_dx10_clamp 1
		.amdhsa_ieee_mode 1
		.amdhsa_fp16_overflow 0
		.amdhsa_workgroup_processor_mode 1
		.amdhsa_memory_ordered 1
		.amdhsa_forward_progress 0
		.amdhsa_shared_vgpr_count 0
		.amdhsa_exception_fp_ieee_invalid_op 0
		.amdhsa_exception_fp_denorm_src 0
		.amdhsa_exception_fp_ieee_div_zero 0
		.amdhsa_exception_fp_ieee_overflow 0
		.amdhsa_exception_fp_ieee_underflow 0
		.amdhsa_exception_fp_ieee_inexact 0
		.amdhsa_exception_int_div_zero 0
	.end_amdhsa_kernel
	.section	.text._ZN4vllm38concat_and_cache_mla_rope_fused_kernelIN3c104HalfES2_Lb0EfhLNS_18Fp8KVCacheDataTypeE1EEEvPKlPT_S7_PKS6_PKT0_illlliPT3_S5_iiiiPKf,"axG",@progbits,_ZN4vllm38concat_and_cache_mla_rope_fused_kernelIN3c104HalfES2_Lb0EfhLNS_18Fp8KVCacheDataTypeE1EEEvPKlPT_S7_PKS6_PKT0_illlliPT3_S5_iiiiPKf,comdat
.Lfunc_end63:
	.size	_ZN4vllm38concat_and_cache_mla_rope_fused_kernelIN3c104HalfES2_Lb0EfhLNS_18Fp8KVCacheDataTypeE1EEEvPKlPT_S7_PKS6_PKT0_illlliPT3_S5_iiiiPKf, .Lfunc_end63-_ZN4vllm38concat_and_cache_mla_rope_fused_kernelIN3c104HalfES2_Lb0EfhLNS_18Fp8KVCacheDataTypeE1EEEvPKlPT_S7_PKS6_PKT0_illlliPT3_S5_iiiiPKf
                                        ; -- End function
	.section	.AMDGPU.csdata,"",@progbits
; Kernel info:
; codeLenInByte = 4492
; NumSgprs: 47
; NumVgprs: 25
; ScratchSize: 0
; MemoryBound: 0
; FloatMode: 240
; IeeeMode: 1
; LDSByteSize: 4096 bytes/workgroup (compile time only)
; SGPRBlocks: 5
; VGPRBlocks: 3
; NumSGPRsForWavesPerEU: 47
; NumVGPRsForWavesPerEU: 25
; Occupancy: 16
; WaveLimiterHint : 1
; COMPUTE_PGM_RSRC2:SCRATCH_EN: 0
; COMPUTE_PGM_RSRC2:USER_SGPR: 15
; COMPUTE_PGM_RSRC2:TRAP_HANDLER: 0
; COMPUTE_PGM_RSRC2:TGID_X_EN: 1
; COMPUTE_PGM_RSRC2:TGID_Y_EN: 0
; COMPUTE_PGM_RSRC2:TGID_Z_EN: 0
; COMPUTE_PGM_RSRC2:TIDIG_COMP_CNT: 2
	.section	.text._ZN4vllm38concat_and_cache_mla_rope_fused_kernelIN3c104HalfENS1_8BFloat16ELb1EfhLNS_18Fp8KVCacheDataTypeE1EEEvPKlPT_S8_PKS7_PKT0_illlliPT3_S6_iiiiPKf,"axG",@progbits,_ZN4vllm38concat_and_cache_mla_rope_fused_kernelIN3c104HalfENS1_8BFloat16ELb1EfhLNS_18Fp8KVCacheDataTypeE1EEEvPKlPT_S8_PKS7_PKT0_illlliPT3_S6_iiiiPKf,comdat
	.protected	_ZN4vllm38concat_and_cache_mla_rope_fused_kernelIN3c104HalfENS1_8BFloat16ELb1EfhLNS_18Fp8KVCacheDataTypeE1EEEvPKlPT_S8_PKS7_PKT0_illlliPT3_S6_iiiiPKf ; -- Begin function _ZN4vllm38concat_and_cache_mla_rope_fused_kernelIN3c104HalfENS1_8BFloat16ELb1EfhLNS_18Fp8KVCacheDataTypeE1EEEvPKlPT_S8_PKS7_PKT0_illlliPT3_S6_iiiiPKf
	.globl	_ZN4vllm38concat_and_cache_mla_rope_fused_kernelIN3c104HalfENS1_8BFloat16ELb1EfhLNS_18Fp8KVCacheDataTypeE1EEEvPKlPT_S8_PKS7_PKT0_illlliPT3_S6_iiiiPKf
	.p2align	8
	.type	_ZN4vllm38concat_and_cache_mla_rope_fused_kernelIN3c104HalfENS1_8BFloat16ELb1EfhLNS_18Fp8KVCacheDataTypeE1EEEvPKlPT_S8_PKS7_PKT0_illlliPT3_S6_iiiiPKf,@function
_ZN4vllm38concat_and_cache_mla_rope_fused_kernelIN3c104HalfENS1_8BFloat16ELb1EfhLNS_18Fp8KVCacheDataTypeE1EEEvPKlPT_S8_PKS7_PKT0_illlliPT3_S6_iiiiPKf: ; @_ZN4vllm38concat_and_cache_mla_rope_fused_kernelIN3c104HalfENS1_8BFloat16ELb1EfhLNS_18Fp8KVCacheDataTypeE1EEEvPKlPT_S8_PKS7_PKT0_illlliPT3_S6_iiiiPKf
; %bb.0:
	s_load_b64 s[6:7], s[2:3], 0x60
	s_mov_b32 s16, s15
	s_mov_b32 s17, 0
	s_delay_alu instid0(SALU_CYCLE_1)
	s_lshl_b64 s[4:5], s[16:17], 3
	s_waitcnt lgkmcnt(0)
	s_add_u32 s6, s6, s4
	s_addc_u32 s7, s7, s5
	s_load_b64 s[30:31], s[6:7], 0x0
	s_waitcnt lgkmcnt(0)
	v_cmp_lt_i64_e64 s6, s[30:31], 0
	s_delay_alu instid0(VALU_DEP_1)
	s_and_b32 vcc_lo, exec_lo, s6
	s_cbranch_vccnz .LBB64_67
; %bb.1:
	s_clause 0x2
	s_load_b32 s22, s[2:3], 0x28
	s_load_b64 s[6:7], s[2:3], 0x0
	s_load_b128 s[12:15], s[2:3], 0x10
	v_and_b32_e32 v1, 0x3ff, v0
	s_waitcnt lgkmcnt(0)
	s_ashr_i32 s17, s22, 31
	s_add_u32 s4, s6, s4
	s_addc_u32 s5, s7, s5
	s_load_b64 s[20:21], s[4:5], 0x0
	s_clause 0x3
	s_load_b64 s[26:27], s[2:3], 0x20
	s_load_b32 s23, s[2:3], 0x50
	s_load_b64 s[18:19], s[2:3], 0x58
	s_load_b256 s[4:11], s[2:3], 0x30
	s_waitcnt lgkmcnt(0)
	s_mul_i32 s17, s20, s17
	s_mul_hi_u32 s24, s20, s22
	s_mul_i32 s21, s21, s22
	s_add_i32 s17, s24, s17
	s_mul_i32 s20, s20, s22
	s_add_i32 s21, s17, s21
	s_delay_alu instid0(SALU_CYCLE_1) | instskip(NEXT) | instid1(SALU_CYCLE_1)
	s_lshl_b64 s[28:29], s[20:21], 1
	s_add_u32 s17, s26, s28
	s_addc_u32 s33, s27, s29
	s_lshr_b32 s20, s22, 31
	s_delay_alu instid0(SALU_CYCLE_1) | instskip(NEXT) | instid1(SALU_CYCLE_1)
	s_add_i32 s22, s22, s20
	s_ashr_i32 s20, s22, 1
	s_delay_alu instid0(SALU_CYCLE_1)
	s_mul_i32 s22, s20, s23
	s_mov_b32 s23, exec_lo
	v_cmpx_gt_i32_e64 s22, v1
	s_cbranch_execz .LBB64_4
; %bb.2:
	s_clause 0x1
	s_load_b64 s[24:25], s[2:3], 0x8
	s_load_b32 s35, s[2:3], 0x8c
	s_mul_i32 s5, s16, s5
	s_mul_hi_u32 s21, s16, s4
	s_mul_i32 s4, s16, s4
	s_add_i32 s5, s21, s5
	s_ashr_i32 s21, s20, 31
	s_lshl_b64 s[4:5], s[4:5], 1
	s_mov_b32 s36, 0
	s_waitcnt lgkmcnt(0)
	s_add_u32 s24, s24, s4
	s_addc_u32 s25, s25, s5
	s_abs_i32 s34, s20
	s_and_b32 s35, s35, 0xffff
	v_cvt_f32_u32_e32 v2, s34
	s_sub_i32 s4, 0, s34
	s_sub_i32 s37, 0, s20
	s_delay_alu instid0(VALU_DEP_1) | instskip(SKIP_2) | instid1(VALU_DEP_1)
	v_rcp_iflag_f32_e32 v2, v2
	s_waitcnt_depctr 0xfff
	v_mul_f32_e32 v2, 0x4f7ffffe, v2
	v_cvt_u32_f32_e32 v2, v2
	s_delay_alu instid0(VALU_DEP_1) | instskip(SKIP_1) | instid1(VALU_DEP_1)
	v_mul_lo_u32 v3, s4, v2
	s_lshl_b64 s[4:5], s[20:21], 1
	v_mul_hi_u32 v3, v2, v3
	s_delay_alu instid0(VALU_DEP_1)
	v_dual_mov_b32 v2, v1 :: v_dual_add_nc_u32 v3, v2, v3
.LBB64_3:                               ; =>This Inner Loop Header: Depth=1
	s_delay_alu instid0(VALU_DEP_1) | instskip(SKIP_1) | instid1(VALU_DEP_2)
	v_sub_nc_u32_e32 v4, 0, v2
	v_ashrrev_i32_e32 v5, 31, v2
	v_max_i32_e32 v4, v2, v4
	s_delay_alu instid0(VALU_DEP_2) | instskip(NEXT) | instid1(VALU_DEP_2)
	v_xor_b32_e32 v5, s21, v5
	v_mul_hi_u32 v6, v4, v3
	s_delay_alu instid0(VALU_DEP_1) | instskip(SKIP_1) | instid1(VALU_DEP_2)
	v_mul_lo_u32 v7, v6, s34
	v_add_nc_u32_e32 v8, 1, v6
	v_sub_nc_u32_e32 v4, v4, v7
	s_delay_alu instid0(VALU_DEP_1) | instskip(SKIP_1) | instid1(VALU_DEP_4)
	v_subrev_nc_u32_e32 v7, s34, v4
	v_cmp_le_u32_e32 vcc_lo, s34, v4
	v_cndmask_b32_e32 v6, v6, v8, vcc_lo
	s_delay_alu instid0(VALU_DEP_1) | instskip(NEXT) | instid1(VALU_DEP_1)
	v_dual_cndmask_b32 v4, v4, v7 :: v_dual_add_nc_u32 v7, 1, v6
	v_cmp_le_u32_e32 vcc_lo, s34, v4
	s_delay_alu instid0(VALU_DEP_2) | instskip(NEXT) | instid1(VALU_DEP_1)
	v_cndmask_b32_e32 v4, v6, v7, vcc_lo
	v_xor_b32_e32 v4, v4, v5
	s_delay_alu instid0(VALU_DEP_1) | instskip(NEXT) | instid1(VALU_DEP_1)
	v_sub_nc_u32_e32 v8, v4, v5
	v_mad_u64_u32 v[4:5], null, s37, v8, v[2:3]
	v_ashrrev_i32_e32 v9, 31, v8
	v_mul_lo_u32 v10, v8, s7
	v_mad_u64_u32 v[6:7], null, v8, s6, 0
	v_add_nc_u32_e32 v2, s35, v2
	s_delay_alu instid0(VALU_DEP_4) | instskip(SKIP_1) | instid1(VALU_DEP_1)
	v_mul_lo_u32 v8, v9, s6
	v_ashrrev_i32_e32 v5, 31, v4
	v_lshlrev_b64 v[4:5], 1, v[4:5]
	s_delay_alu instid0(VALU_DEP_3) | instskip(NEXT) | instid1(VALU_DEP_2)
	v_add3_u32 v7, v7, v10, v8
	v_add_co_u32 v8, vcc_lo, s17, v4
	s_delay_alu instid0(VALU_DEP_2) | instskip(NEXT) | instid1(VALU_DEP_4)
	v_lshlrev_b64 v[6:7], 1, v[6:7]
	v_add_co_ci_u32_e32 v9, vcc_lo, s33, v5, vcc_lo
	s_delay_alu instid0(VALU_DEP_3) | instskip(NEXT) | instid1(VALU_DEP_2)
	v_add_co_u32 v10, vcc_lo, v8, s4
	v_add_co_ci_u32_e32 v11, vcc_lo, s5, v9, vcc_lo
	s_delay_alu instid0(VALU_DEP_4)
	v_add_co_u32 v6, vcc_lo, s24, v6
	v_add_co_ci_u32_e32 v7, vcc_lo, s25, v7, vcc_lo
	s_clause 0x1
	global_load_u16 v8, v[8:9], off
	global_load_u16 v9, v[10:11], off
	v_add_co_u32 v4, vcc_lo, v6, v4
	v_add_co_ci_u32_e32 v5, vcc_lo, v7, v5, vcc_lo
	s_delay_alu instid0(VALU_DEP_2) | instskip(NEXT) | instid1(VALU_DEP_2)
	v_add_co_u32 v6, vcc_lo, v4, s4
	v_add_co_ci_u32_e32 v7, vcc_lo, s5, v5, vcc_lo
	s_clause 0x1
	global_load_u16 v10, v[4:5], off
	global_load_u16 v11, v[6:7], off
	v_cmp_le_i32_e32 vcc_lo, s22, v2
	s_or_b32 s36, vcc_lo, s36
	s_waitcnt vmcnt(3)
	v_lshlrev_b32_e32 v8, 16, v8
	s_waitcnt vmcnt(2)
	v_lshlrev_b32_e32 v9, 16, v9
	s_delay_alu instid0(VALU_DEP_2) | instskip(NEXT) | instid1(VALU_DEP_2)
	v_cvt_f16_f32_e32 v8, v8
	v_cvt_f16_f32_e32 v9, v9
	s_waitcnt vmcnt(0)
	s_delay_alu instid0(VALU_DEP_1) | instskip(SKIP_1) | instid1(VALU_DEP_2)
	v_mul_f16_e32 v12, v11, v9
	v_mul_f16_e32 v9, v10, v9
	v_fma_f16 v10, v10, v8, -v12
	s_delay_alu instid0(VALU_DEP_2)
	v_fmac_f16_e32 v9, v11, v8
	s_clause 0x1
	global_store_b16 v[4:5], v10, off
	global_store_b16 v[6:7], v9, off
	s_and_not1_b32 exec_lo, exec_lo, s36
	s_cbranch_execnz .LBB64_3
.LBB64_4:
	s_or_b32 exec_lo, exec_lo, s23
	s_load_b128 s[4:7], s[2:3], 0x68
	s_waitcnt lgkmcnt(0)
	s_ashr_i32 s35, s7, 31
	s_mov_b32 s34, s7
	s_delay_alu instid0(SALU_CYCLE_1) | instskip(SKIP_1) | instid1(SALU_CYCLE_1)
	s_or_b64 s[24:25], s[30:31], s[34:35]
	s_mov_b32 s24, 0
	s_cmp_lg_u64 s[24:25], 0
	s_cbranch_scc0 .LBB64_68
; %bb.5:
	s_add_u32 s36, s34, s35
	s_mov_b32 s22, s35
	s_mov_b32 s23, s35
	s_addc_u32 s37, s35, s35
	s_delay_alu instid0(SALU_CYCLE_1) | instskip(NEXT) | instid1(SALU_CYCLE_1)
	s_xor_b64 s[36:37], s[36:37], s[22:23]
	v_cvt_f32_u32_e32 v2, s36
	v_cvt_f32_u32_e32 v3, s37
	s_sub_u32 s25, 0, s36
	s_subb_u32 s38, 0, s37
	s_delay_alu instid0(VALU_DEP_1) | instskip(NEXT) | instid1(VALU_DEP_1)
	v_fmamk_f32 v2, v3, 0x4f800000, v2
	v_rcp_f32_e32 v2, v2
	s_waitcnt_depctr 0xfff
	v_mul_f32_e32 v2, 0x5f7ffffc, v2
	s_delay_alu instid0(VALU_DEP_1) | instskip(NEXT) | instid1(VALU_DEP_1)
	v_mul_f32_e32 v3, 0x2f800000, v2
	v_trunc_f32_e32 v3, v3
	s_delay_alu instid0(VALU_DEP_1) | instskip(SKIP_1) | instid1(VALU_DEP_2)
	v_fmamk_f32 v2, v3, 0xcf800000, v2
	v_cvt_u32_f32_e32 v3, v3
	v_cvt_u32_f32_e32 v2, v2
	s_delay_alu instid0(VALU_DEP_2) | instskip(NEXT) | instid1(VALU_DEP_2)
	v_readfirstlane_b32 s7, v3
	v_readfirstlane_b32 s21, v2
	s_delay_alu instid0(VALU_DEP_2) | instskip(NEXT) | instid1(VALU_DEP_1)
	s_mul_i32 s39, s25, s7
	s_mul_hi_u32 s41, s25, s21
	s_mul_i32 s40, s38, s21
	s_add_i32 s39, s41, s39
	s_mul_i32 s42, s25, s21
	s_add_i32 s39, s39, s40
	s_mul_hi_u32 s41, s21, s42
	s_mul_hi_u32 s43, s7, s42
	s_mul_i32 s40, s7, s42
	s_mul_hi_u32 s42, s21, s39
	s_mul_i32 s21, s21, s39
	s_mul_hi_u32 s44, s7, s39
	s_add_u32 s21, s41, s21
	s_addc_u32 s41, 0, s42
	s_add_u32 s21, s21, s40
	s_mul_i32 s39, s7, s39
	s_addc_u32 s21, s41, s43
	s_addc_u32 s40, s44, 0
	s_add_u32 s21, s21, s39
	s_addc_u32 s39, 0, s40
	v_add_co_u32 v2, s21, v2, s21
	s_delay_alu instid0(VALU_DEP_1) | instskip(SKIP_1) | instid1(VALU_DEP_1)
	s_cmp_lg_u32 s21, 0
	s_addc_u32 s7, s7, s39
	v_readfirstlane_b32 s21, v2
	s_mul_i32 s39, s25, s7
	s_delay_alu instid0(VALU_DEP_1)
	s_mul_hi_u32 s40, s25, s21
	s_mul_i32 s38, s38, s21
	s_add_i32 s39, s40, s39
	s_mul_i32 s25, s25, s21
	s_add_i32 s39, s39, s38
	s_mul_hi_u32 s40, s7, s25
	s_mul_i32 s41, s7, s25
	s_mul_hi_u32 s25, s21, s25
	s_mul_hi_u32 s42, s21, s39
	s_mul_i32 s21, s21, s39
	s_mul_hi_u32 s38, s7, s39
	s_add_u32 s21, s25, s21
	s_addc_u32 s25, 0, s42
	s_add_u32 s21, s21, s41
	s_mul_i32 s39, s7, s39
	s_addc_u32 s21, s25, s40
	s_addc_u32 s25, s38, 0
	s_add_u32 s21, s21, s39
	s_addc_u32 s25, 0, s25
	v_add_co_u32 v2, s21, v2, s21
	s_delay_alu instid0(VALU_DEP_1) | instskip(SKIP_2) | instid1(VALU_DEP_1)
	s_cmp_lg_u32 s21, 0
	s_addc_u32 s7, s7, s25
	s_ashr_i32 s38, s31, 31
	v_readfirstlane_b32 s21, v2
	s_add_u32 s40, s30, s38
	s_mov_b32 s39, s38
	s_addc_u32 s41, s31, s38
	s_delay_alu instid0(SALU_CYCLE_1) | instskip(NEXT) | instid1(SALU_CYCLE_1)
	s_xor_b64 s[40:41], s[40:41], s[38:39]
	s_mul_i32 s42, s40, s7
	s_mul_hi_u32 s43, s40, s21
	s_mul_hi_u32 s25, s40, s7
	;; [unrolled: 1-line block ×3, first 2 shown]
	s_mul_i32 s21, s41, s21
	s_add_u32 s42, s43, s42
	s_addc_u32 s25, 0, s25
	s_mul_hi_u32 s44, s41, s7
	s_add_u32 s21, s42, s21
	s_mul_i32 s7, s41, s7
	s_addc_u32 s21, s25, s45
	s_addc_u32 s25, s44, 0
	s_add_u32 s7, s21, s7
	s_addc_u32 s21, 0, s25
	s_mul_i32 s44, s36, s7
	s_mul_hi_u32 s25, s36, s7
	s_mul_i32 s43, s36, s21
	v_sub_co_u32 v2, s40, s40, s44
	s_mul_i32 s42, s37, s7
	s_add_i32 s25, s25, s43
	s_delay_alu instid0(SALU_CYCLE_1) | instskip(NEXT) | instid1(VALU_DEP_1)
	s_add_i32 s25, s25, s42
	v_sub_co_u32 v3, s43, v2, s36
	s_sub_i32 s42, s41, s25
	s_cmp_lg_u32 s40, 0
	s_subb_u32 s42, s42, s37
	s_cmp_lg_u32 s43, 0
	v_readfirstlane_b32 s43, v3
	s_subb_u32 s42, s42, 0
	s_delay_alu instid0(SALU_CYCLE_1) | instskip(SKIP_1) | instid1(VALU_DEP_1)
	s_cmp_ge_u32 s42, s37
	s_cselect_b32 s44, -1, 0
	s_cmp_ge_u32 s43, s36
	s_cselect_b32 s43, -1, 0
	s_cmp_eq_u32 s42, s37
	s_cselect_b32 s42, s43, s44
	s_add_u32 s43, s7, 1
	s_addc_u32 s44, s21, 0
	s_add_u32 s45, s7, 2
	s_addc_u32 s46, s21, 0
	s_cmp_lg_u32 s42, 0
	s_cselect_b32 s42, s45, s43
	s_cselect_b32 s43, s46, s44
	s_cmp_lg_u32 s40, 0
	v_readfirstlane_b32 s40, v2
	s_subb_u32 s25, s41, s25
	s_delay_alu instid0(SALU_CYCLE_1) | instskip(SKIP_1) | instid1(VALU_DEP_1)
	s_cmp_ge_u32 s25, s37
	s_cselect_b32 s41, -1, 0
	s_cmp_ge_u32 s40, s36
	s_cselect_b32 s36, -1, 0
	s_cmp_eq_u32 s25, s37
	s_cselect_b32 s25, s36, s41
	s_delay_alu instid0(SALU_CYCLE_1) | instskip(SKIP_3) | instid1(SALU_CYCLE_1)
	s_cmp_lg_u32 s25, 0
	s_cselect_b32 s37, s43, s21
	s_cselect_b32 s36, s42, s7
	s_xor_b64 s[22:23], s[38:39], s[22:23]
	s_xor_b64 s[36:37], s[36:37], s[22:23]
	s_delay_alu instid0(SALU_CYCLE_1)
	s_sub_u32 s22, s36, s22
	s_subb_u32 s23, s37, s23
	s_and_not1_b32 vcc_lo, exec_lo, s24
	s_cbranch_vccnz .LBB64_7
.LBB64_6:
	v_cvt_f32_u32_e32 v2, s34
	s_sub_i32 s21, 0, s34
	s_delay_alu instid0(VALU_DEP_1) | instskip(SKIP_2) | instid1(VALU_DEP_1)
	v_rcp_iflag_f32_e32 v2, v2
	s_waitcnt_depctr 0xfff
	v_mul_f32_e32 v2, 0x4f7ffffe, v2
	v_cvt_u32_f32_e32 v2, v2
	s_delay_alu instid0(VALU_DEP_1) | instskip(NEXT) | instid1(VALU_DEP_1)
	v_readfirstlane_b32 s7, v2
	s_mul_i32 s21, s21, s7
	s_delay_alu instid0(SALU_CYCLE_1) | instskip(NEXT) | instid1(SALU_CYCLE_1)
	s_mul_hi_u32 s21, s7, s21
	s_add_i32 s7, s7, s21
	s_delay_alu instid0(SALU_CYCLE_1) | instskip(NEXT) | instid1(SALU_CYCLE_1)
	s_mul_hi_u32 s7, s30, s7
	s_mul_i32 s21, s7, s34
	s_add_i32 s22, s7, 1
	s_sub_i32 s21, s30, s21
	s_delay_alu instid0(SALU_CYCLE_1)
	s_sub_i32 s23, s21, s34
	s_cmp_ge_u32 s21, s34
	s_cselect_b32 s7, s22, s7
	s_cselect_b32 s21, s23, s21
	s_add_i32 s22, s7, 1
	s_cmp_ge_u32 s21, s34
	s_mov_b32 s23, 0
	s_cselect_b32 s22, s22, s7
.LBB64_7:
	s_load_b64 s[24:25], s[2:3], 0x78
	s_mul_i32 s7, s22, s35
	s_mul_hi_u32 s21, s22, s34
	s_mul_i32 s35, s23, s4
	s_add_i32 s7, s21, s7
	s_mul_i32 s21, s23, s34
	s_mul_i32 s34, s22, s34
	s_add_i32 s21, s7, s21
	s_sub_u32 s7, s30, s34
	s_subb_u32 s21, s31, s21
	s_mul_hi_u32 s34, s22, s4
	s_mul_i32 s36, s22, s4
	s_mul_hi_u32 s31, s7, s5
	s_mul_i32 s23, s21, s5
	s_mul_i32 s30, s7, s5
	s_mov_b32 s37, exec_lo
	v_cmpx_gt_i32_e64 s20, v1
	s_cbranch_execz .LBB64_46
; %bb.8:
	s_load_b64 s[40:41], s[0:1], 0x4
	s_load_b32 s0, s[2:3], 0x8c
	s_mul_i32 s9, s16, s9
	s_mul_hi_u32 s38, s16, s8
	s_mul_i32 s8, s16, s8
	s_add_i32 s9, s38, s9
	s_ashr_i32 s21, s20, 31
	s_lshl_b64 s[42:43], s[8:9], 1
	v_bfe_u32 v2, v0, 10, 10
	s_waitcnt lgkmcnt(0)
	s_load_b32 s1, s[24:25], 0x0
	v_bfe_u32 v4, v0, 20, 10
	v_dual_mov_b32 v3, 0 :: v_dual_lshlrev_b32 v0, 1, v1
	v_mov_b32_e32 v12, v1
	s_lshr_b32 s9, s40, 16
	s_add_u32 s8, s12, s42
	s_mul_i32 s39, s9, s41
	s_addc_u32 s9, s13, s43
	s_ashr_i32 s40, s4, 31
	s_ashr_i32 s46, s5, 31
	s_and_b32 s38, s0, 0xffff
	s_mul_i32 s0, s22, s40
	s_mul_i32 s40, s7, s46
	s_add_i32 s0, s34, s0
	s_add_i32 s40, s31, s40
	s_lshl_b64 s[44:45], s[20:21], 1
	v_mul_lo_u32 v5, s39, v1
	s_ashr_i32 s47, s6, 31
	s_lshl_b32 s39, s38, 1
	s_add_i32 s0, s0, s35
	s_add_i32 s40, s40, s23
	s_add_u32 s28, s28, s44
	s_addc_u32 s29, s29, s45
	s_add_u32 s26, s26, s28
	s_addc_u32 s27, s27, s29
	;; [unrolled: 2-line block ×3, first 2 shown]
	v_mad_u32_u24 v2, v2, s41, v5
	s_add_u32 s12, s12, s28
	s_addc_u32 s13, s13, s29
	s_add_u32 s28, s36, s30
	s_addc_u32 s0, s0, s40
	s_add_u32 s28, s28, s6
	v_add_lshl_u32 v10, v2, v4, 1
	s_addc_u32 s0, s0, s47
	s_add_u32 s28, s18, s28
	s_addc_u32 s0, s19, s0
	v_add_co_u32 v4, s28, s28, v1
	v_add_nc_u32_e32 v11, 0x800, v10
	v_add_co_ci_u32_e64 v5, null, s0, 0, s28
	s_mov_b32 s28, 0
	s_branch .LBB64_10
.LBB64_9:                               ;   in Loop: Header=BB64_10 Depth=1
	s_or_b32 exec_lo, exec_lo, s0
	v_add_nc_u32_e32 v12, s38, v12
	v_add_co_u32 v8, vcc_lo, v4, s20
	s_add_u32 s17, s17, s39
	s_addc_u32 s33, s33, 0
	v_add_co_ci_u32_e32 v9, vcc_lo, s21, v5, vcc_lo
	s_add_u32 s26, s26, s39
	s_addc_u32 s27, s27, 0
	v_cmp_le_i32_e32 vcc_lo, s20, v12
	v_add_co_u32 v4, s0, v4, s38
	s_add_u32 s12, s12, s39
	s_addc_u32 s13, s13, 0
	v_add_co_ci_u32_e64 v5, s0, 0, v5, s0
	s_add_u32 s8, s8, s39
	s_addc_u32 s9, s9, 0
	s_or_b32 s28, vcc_lo, s28
	global_store_b8 v[8:9], v7, off
	s_and_not1_b32 exec_lo, exec_lo, s28
	s_cbranch_execz .LBB64_46
.LBB64_10:                              ; =>This Inner Loop Header: Depth=1
	v_add_co_u32 v6, s0, s26, v0
	s_delay_alu instid0(VALU_DEP_1) | instskip(SKIP_1) | instid1(VALU_DEP_1)
	v_add_co_ci_u32_e64 v7, null, s27, 0, s0
	v_add_co_u32 v8, s0, s17, v0
	v_add_co_ci_u32_e64 v9, null, s33, 0, s0
	global_load_u16 v2, v[6:7], off
	global_load_u16 v6, v[8:9], off
	v_add_co_u32 v15, s0, s12, v0
	s_delay_alu instid0(VALU_DEP_1) | instskip(SKIP_1) | instid1(VALU_DEP_1)
	v_add_co_ci_u32_e64 v16, null, s13, 0, s0
	v_add_co_u32 v17, s0, s8, v0
	v_add_co_ci_u32_e64 v18, null, s9, 0, s0
	global_load_u16 v7, v[15:16], off
	global_load_u16 v8, v[17:18], off
	s_waitcnt vmcnt(3)
	v_lshlrev_b32_e32 v2, 16, v2
	s_waitcnt vmcnt(2)
	v_lshlrev_b32_e32 v6, 16, v6
	s_delay_alu instid0(VALU_DEP_2) | instskip(NEXT) | instid1(VALU_DEP_2)
	v_cvt_f16_f32_e32 v2, v2
	v_cvt_f16_f32_e32 v6, v6
	s_waitcnt vmcnt(1)
	s_delay_alu instid0(VALU_DEP_2) | instskip(SKIP_1) | instid1(VALU_DEP_1)
	v_mul_f16_e32 v9, v7, v2
	s_waitcnt vmcnt(0)
	v_fma_f16 v19, v8, v6, -v9
	ds_store_b16 v11, v19
	ds_load_b32 v9, v11
	s_waitcnt lgkmcnt(0)
	v_div_scale_f32 v13, null, s1, s1, v9
	s_delay_alu instid0(VALU_DEP_1) | instskip(SKIP_2) | instid1(VALU_DEP_1)
	v_rcp_f32_e32 v14, v13
	s_waitcnt_depctr 0xfff
	v_fma_f32 v20, -v13, v14, 1.0
	v_fmac_f32_e32 v14, v20, v14
	v_div_scale_f32 v20, vcc_lo, v9, s1, v9
	s_delay_alu instid0(VALU_DEP_1) | instskip(NEXT) | instid1(VALU_DEP_1)
	v_mul_f32_e32 v21, v20, v14
	v_fma_f32 v22, -v13, v21, v20
	s_delay_alu instid0(VALU_DEP_1) | instskip(SKIP_1) | instid1(VALU_DEP_2)
	v_fmac_f32_e32 v21, v22, v14
	v_mul_f16_e32 v22, v8, v2
	v_fma_f32 v2, -v13, v21, v20
	s_delay_alu instid0(VALU_DEP_2) | instskip(NEXT) | instid1(VALU_DEP_2)
	v_fmac_f16_e32 v22, v7, v6
	v_div_fmas_f32 v2, v2, v14, v21
	ds_store_b16 v10, v22
	ds_load_b32 v13, v10
	global_store_b16 v[17:18], v19, off
	global_store_b16 v[15:16], v22, off
	v_div_fixup_f32 v6, v2, s1, v9
	v_mov_b32_e32 v9, v3
	s_delay_alu instid0(VALU_DEP_2) | instskip(SKIP_2) | instid1(VALU_DEP_3)
	v_lshrrev_b32_e32 v7, 24, v6
	v_and_b32_e32 v8, 0x7f800000, v6
	v_and_b32_e32 v2, 0x7fffff, v6
	;; [unrolled: 1-line block ×3, first 2 shown]
	s_delay_alu instid0(VALU_DEP_3) | instskip(NEXT) | instid1(VALU_DEP_2)
	v_cmp_ne_u64_e32 vcc_lo, 0x7f800000, v[8:9]
	v_or_b32_e32 v8, 0x7e, v14
	s_and_saveexec_b32 s0, vcc_lo
	s_delay_alu instid0(SALU_CYCLE_1)
	s_xor_b32 s29, exec_lo, s0
	s_cbranch_execz .LBB64_26
; %bb.11:                               ;   in Loop: Header=BB64_10 Depth=1
	v_dual_mov_b32 v16, v3 :: v_dual_and_b32 v15, 0x7fffffff, v6
	s_mov_b32 s0, exec_lo
	s_delay_alu instid0(VALU_DEP_1)
	v_cmpx_gt_u64_e32 0x43e00001, v[15:16]
	s_xor_b32 s40, exec_lo, s0
	s_cbranch_execz .LBB64_25
; %bb.12:                               ;   in Loop: Header=BB64_10 Depth=1
	v_mov_b32_e32 v8, 0
	s_mov_b32 s41, exec_lo
	v_cmpx_ne_u32_e32 0, v6
	s_cbranch_execz .LBB64_24
; %bb.13:                               ;   in Loop: Header=BB64_10 Depth=1
	v_bfe_u32 v15, v6, 23, 8
	v_or_b32_e32 v8, 0x800000, v2
	s_delay_alu instid0(VALU_DEP_2) | instskip(SKIP_1) | instid1(VALU_DEP_2)
	v_sub_nc_u32_e32 v6, 0x79, v15
	v_cmp_gt_u32_e32 vcc_lo, 0x7a, v15
	v_cndmask_b32_e32 v6, 0, v6, vcc_lo
	v_cmp_eq_u32_e32 vcc_lo, 0, v15
	s_delay_alu instid0(VALU_DEP_2) | instskip(SKIP_1) | instid1(VALU_DEP_2)
	v_cndmask_b32_e64 v16, v6, 0x78, vcc_lo
	v_cndmask_b32_e32 v2, v8, v2, vcc_lo
	v_add_nc_u32_e32 v6, 20, v16
	v_add_nc_u32_e32 v8, 19, v16
	s_delay_alu instid0(VALU_DEP_2) | instskip(NEXT) | instid1(VALU_DEP_2)
	v_lshlrev_b64 v[6:7], v6, -1
	v_lshlrev_b64 v[8:9], v8, 1
	s_delay_alu instid0(VALU_DEP_2) | instskip(NEXT) | instid1(VALU_DEP_3)
	v_not_b32_e32 v7, v7
	v_not_b32_e32 v6, v6
	s_delay_alu instid0(VALU_DEP_2) | instskip(NEXT) | instid1(VALU_DEP_2)
	v_and_b32_e32 v18, 0, v7
	v_and_b32_e32 v17, v2, v6
	v_lshrrev_b64 v[6:7], v16, v[2:3]
	s_delay_alu instid0(VALU_DEP_2) | instskip(NEXT) | instid1(VALU_DEP_2)
	v_cmp_eq_u64_e64 s0, v[17:18], v[8:9]
	v_dual_mov_b32 v9, v7 :: v_dual_mov_b32 v8, v6
	s_delay_alu instid0(VALU_DEP_2)
	s_and_saveexec_b32 s42, s0
; %bb.14:                               ;   in Loop: Header=BB64_10 Depth=1
	v_bfe_u32 v2, v6, 20, 1
	s_delay_alu instid0(VALU_DEP_1) | instskip(NEXT) | instid1(VALU_DEP_1)
	v_add_co_u32 v2, s0, v6, v2
	v_add_co_u32 v8, s0, v2, -1
; %bb.15:                               ;   in Loop: Header=BB64_10 Depth=1
	s_or_b32 exec_lo, exec_lo, s42
	v_add_nc_u32_e32 v2, 0xffffff81, v15
	v_lshrrev_b32_e32 v9, 23, v6
	s_mov_b32 s0, exec_lo
	s_delay_alu instid0(VALU_DEP_2) | instskip(NEXT) | instid1(VALU_DEP_1)
	v_cndmask_b32_e64 v2, v2, 0xffffff82, vcc_lo
	v_add3_u32 v9, v16, v2, v9
	v_and_b32_e32 v2, 0xfffff, v8
	s_delay_alu instid0(VALU_DEP_2) | instskip(NEXT) | instid1(VALU_DEP_2)
	v_add_nc_u32_e32 v8, 6, v9
	v_add_co_u32 v6, vcc_lo, v2, v6
	v_add_co_ci_u32_e32 v7, vcc_lo, 0, v7, vcc_lo
                                        ; implicit-def: $vgpr2
	s_delay_alu instid0(VALU_DEP_3)
	v_cmpx_ne_u32_e32 0, v8
	s_xor_b32 s0, exec_lo, s0
; %bb.16:                               ;   in Loop: Header=BB64_10 Depth=1
	s_delay_alu instid0(VALU_DEP_2) | instskip(SKIP_1) | instid1(VALU_DEP_1)
	v_cmp_lt_u64_e32 vcc_lo, 0xffffff, v[6:7]
	v_add_nc_u32_e32 v2, 7, v9
	v_cndmask_b32_e32 v2, v8, v2, vcc_lo
	v_cndmask_b32_e64 v8, 0, 1, vcc_lo
	s_delay_alu instid0(VALU_DEP_1)
	v_lshrrev_b64 v[6:7], v8, v[6:7]
; %bb.17:                               ;   in Loop: Header=BB64_10 Depth=1
	s_and_not1_saveexec_b32 s0, s0
; %bb.18:                               ;   in Loop: Header=BB64_10 Depth=1
	s_delay_alu instid0(VALU_DEP_1)
	v_bfe_u32 v2, v6, 23, 1
; %bb.19:                               ;   in Loop: Header=BB64_10 Depth=1
	s_or_b32 exec_lo, exec_lo, s0
	s_delay_alu instid0(VALU_DEP_2) | instskip(NEXT) | instid1(VALU_DEP_2)
	v_lshrrev_b64 v[6:7], 20, v[6:7]
	v_cmp_gt_i32_e32 vcc_lo, 16, v2
	v_cmp_ne_u32_e64 s0, 0, v2
                                        ; implicit-def: $vgpr8
	s_delay_alu instid0(VALU_DEP_3) | instskip(NEXT) | instid1(VALU_DEP_1)
	v_dual_cndmask_b32 v7, 0, v7 :: v_dual_cndmask_b32 v6, 7, v6
	v_cmp_ne_u64_e32 vcc_lo, 0, v[6:7]
	s_delay_alu instid0(VALU_DEP_3) | instskip(NEXT) | instid1(SALU_CYCLE_1)
	s_or_b32 s0, s0, vcc_lo
	s_and_saveexec_b32 s42, s0
	s_delay_alu instid0(SALU_CYCLE_1)
	s_xor_b32 s0, exec_lo, s42
; %bb.20:                               ;   in Loop: Header=BB64_10 Depth=1
	v_min_i32_e32 v2, 15, v2
	s_delay_alu instid0(VALU_DEP_1) | instskip(NEXT) | instid1(VALU_DEP_1)
	v_lshl_or_b32 v2, v2, 3, v14
                                        ; implicit-def: $vgpr14
	v_and_or_b32 v8, v6, 7, v2
; %bb.21:                               ;   in Loop: Header=BB64_10 Depth=1
	s_and_not1_saveexec_b32 s0, s0
; %bb.22:                               ;   in Loop: Header=BB64_10 Depth=1
	v_mov_b32_e32 v8, v14
; %bb.23:                               ;   in Loop: Header=BB64_10 Depth=1
	s_or_b32 exec_lo, exec_lo, s0
.LBB64_24:                              ;   in Loop: Header=BB64_10 Depth=1
	s_delay_alu instid0(SALU_CYCLE_1)
	s_or_b32 exec_lo, exec_lo, s41
.LBB64_25:                              ;   in Loop: Header=BB64_10 Depth=1
	s_and_not1_saveexec_b32 s0, s40
	s_delay_alu instid0(SALU_CYCLE_1)
	s_or_b32 exec_lo, exec_lo, s0
                                        ; implicit-def: $vgpr7
.LBB64_26:                              ;   in Loop: Header=BB64_10 Depth=1
	s_and_not1_saveexec_b32 s0, s29
; %bb.27:                               ;   in Loop: Header=BB64_10 Depth=1
	v_cmp_eq_u64_e32 vcc_lo, 0, v[2:3]
	v_or_b32_e32 v6, 0x7f, v7
	s_delay_alu instid0(VALU_DEP_1)
	v_cndmask_b32_e32 v8, v6, v8, vcc_lo
; %bb.28:                               ;   in Loop: Header=BB64_10 Depth=1
	s_or_b32 exec_lo, exec_lo, s0
	s_waitcnt lgkmcnt(0)
	v_div_scale_f32 v2, null, s1, s1, v13
	global_store_b8 v[4:5], v8, off
	s_mov_b32 s0, exec_lo
	v_mov_b32_e32 v15, v3
	v_rcp_f32_e32 v6, v2
	s_waitcnt_depctr 0xfff
	v_fma_f32 v7, -v2, v6, 1.0
	s_delay_alu instid0(VALU_DEP_1) | instskip(SKIP_1) | instid1(VALU_DEP_1)
	v_fmac_f32_e32 v6, v7, v6
	v_div_scale_f32 v7, vcc_lo, v13, s1, v13
	v_mul_f32_e32 v9, v7, v6
	s_delay_alu instid0(VALU_DEP_1) | instskip(NEXT) | instid1(VALU_DEP_1)
	v_fma_f32 v14, -v2, v9, v7
	v_fmac_f32_e32 v9, v14, v6
	s_delay_alu instid0(VALU_DEP_1) | instskip(NEXT) | instid1(VALU_DEP_1)
	v_fma_f32 v2, -v2, v9, v7
	v_div_fmas_f32 v2, v2, v6, v9
	s_delay_alu instid0(VALU_DEP_1) | instskip(NEXT) | instid1(VALU_DEP_1)
	v_div_fixup_f32 v6, v2, s1, v13
	v_lshrrev_b32_e32 v9, 24, v6
	v_and_b32_e32 v14, 0x7f800000, v6
	v_and_b32_e32 v2, 0x7fffff, v6
	s_delay_alu instid0(VALU_DEP_3) | instskip(NEXT) | instid1(VALU_DEP_1)
	v_and_b32_e32 v13, 0x80, v9
	v_or_b32_e32 v7, 0x7e, v13
	s_delay_alu instid0(VALU_DEP_4)
	v_cmpx_ne_u64_e32 0x7f800000, v[14:15]
	s_xor_b32 s29, exec_lo, s0
	s_cbranch_execz .LBB64_44
; %bb.29:                               ;   in Loop: Header=BB64_10 Depth=1
	v_dual_mov_b32 v9, v3 :: v_dual_and_b32 v8, 0x7fffffff, v6
	s_mov_b32 s0, exec_lo
	s_delay_alu instid0(VALU_DEP_1)
	v_cmpx_gt_u64_e32 0x43e00001, v[8:9]
	s_xor_b32 s40, exec_lo, s0
	s_cbranch_execz .LBB64_43
; %bb.30:                               ;   in Loop: Header=BB64_10 Depth=1
	v_mov_b32_e32 v7, 0
	s_mov_b32 s41, exec_lo
	v_cmpx_ne_u32_e32 0, v6
	s_cbranch_execz .LBB64_42
; %bb.31:                               ;   in Loop: Header=BB64_10 Depth=1
	v_bfe_u32 v14, v6, 23, 8
	v_or_b32_e32 v8, 0x800000, v2
	s_delay_alu instid0(VALU_DEP_2) | instskip(SKIP_1) | instid1(VALU_DEP_2)
	v_sub_nc_u32_e32 v6, 0x79, v14
	v_cmp_gt_u32_e32 vcc_lo, 0x7a, v14
	v_cndmask_b32_e32 v6, 0, v6, vcc_lo
	v_cmp_eq_u32_e32 vcc_lo, 0, v14
	s_delay_alu instid0(VALU_DEP_2) | instskip(SKIP_1) | instid1(VALU_DEP_2)
	v_cndmask_b32_e64 v15, v6, 0x78, vcc_lo
	v_cndmask_b32_e32 v2, v8, v2, vcc_lo
	v_add_nc_u32_e32 v6, 20, v15
	v_add_nc_u32_e32 v8, 19, v15
	s_delay_alu instid0(VALU_DEP_2) | instskip(NEXT) | instid1(VALU_DEP_2)
	v_lshlrev_b64 v[6:7], v6, -1
	v_lshlrev_b64 v[8:9], v8, 1
	s_delay_alu instid0(VALU_DEP_2) | instskip(NEXT) | instid1(VALU_DEP_3)
	v_not_b32_e32 v7, v7
	v_not_b32_e32 v6, v6
	s_delay_alu instid0(VALU_DEP_2) | instskip(NEXT) | instid1(VALU_DEP_2)
	v_and_b32_e32 v17, 0, v7
	v_and_b32_e32 v16, v2, v6
	v_lshrrev_b64 v[6:7], v15, v[2:3]
	s_delay_alu instid0(VALU_DEP_2) | instskip(NEXT) | instid1(VALU_DEP_2)
	v_cmp_eq_u64_e64 s0, v[16:17], v[8:9]
	v_dual_mov_b32 v9, v7 :: v_dual_mov_b32 v8, v6
	s_delay_alu instid0(VALU_DEP_2)
	s_and_saveexec_b32 s42, s0
; %bb.32:                               ;   in Loop: Header=BB64_10 Depth=1
	v_bfe_u32 v2, v6, 20, 1
	s_delay_alu instid0(VALU_DEP_1) | instskip(NEXT) | instid1(VALU_DEP_1)
	v_add_co_u32 v2, s0, v6, v2
	v_add_co_u32 v8, s0, v2, -1
; %bb.33:                               ;   in Loop: Header=BB64_10 Depth=1
	s_or_b32 exec_lo, exec_lo, s42
	v_add_nc_u32_e32 v2, 0xffffff81, v14
	v_lshrrev_b32_e32 v9, 23, v6
	s_mov_b32 s0, exec_lo
	s_delay_alu instid0(VALU_DEP_2) | instskip(NEXT) | instid1(VALU_DEP_1)
	v_cndmask_b32_e64 v2, v2, 0xffffff82, vcc_lo
	v_add3_u32 v9, v15, v2, v9
	v_and_b32_e32 v2, 0xfffff, v8
	s_delay_alu instid0(VALU_DEP_2) | instskip(NEXT) | instid1(VALU_DEP_2)
	v_add_nc_u32_e32 v8, 6, v9
	v_add_co_u32 v6, vcc_lo, v2, v6
	v_add_co_ci_u32_e32 v7, vcc_lo, 0, v7, vcc_lo
                                        ; implicit-def: $vgpr2
	s_delay_alu instid0(VALU_DEP_3)
	v_cmpx_ne_u32_e32 0, v8
	s_xor_b32 s0, exec_lo, s0
; %bb.34:                               ;   in Loop: Header=BB64_10 Depth=1
	s_delay_alu instid0(VALU_DEP_2) | instskip(SKIP_1) | instid1(VALU_DEP_1)
	v_cmp_lt_u64_e32 vcc_lo, 0xffffff, v[6:7]
	v_add_nc_u32_e32 v2, 7, v9
	v_cndmask_b32_e32 v2, v8, v2, vcc_lo
	v_cndmask_b32_e64 v8, 0, 1, vcc_lo
	s_delay_alu instid0(VALU_DEP_1)
	v_lshrrev_b64 v[6:7], v8, v[6:7]
; %bb.35:                               ;   in Loop: Header=BB64_10 Depth=1
	s_and_not1_saveexec_b32 s0, s0
; %bb.36:                               ;   in Loop: Header=BB64_10 Depth=1
	s_delay_alu instid0(VALU_DEP_1)
	v_bfe_u32 v2, v6, 23, 1
; %bb.37:                               ;   in Loop: Header=BB64_10 Depth=1
	s_or_b32 exec_lo, exec_lo, s0
	s_delay_alu instid0(VALU_DEP_2) | instskip(NEXT) | instid1(VALU_DEP_2)
	v_lshrrev_b64 v[6:7], 20, v[6:7]
	v_cmp_gt_i32_e32 vcc_lo, 16, v2
	v_cmp_ne_u32_e64 s0, 0, v2
	s_delay_alu instid0(VALU_DEP_3) | instskip(NEXT) | instid1(VALU_DEP_1)
	v_dual_cndmask_b32 v7, 0, v7 :: v_dual_cndmask_b32 v6, 7, v6
	v_cmp_ne_u64_e32 vcc_lo, 0, v[6:7]
                                        ; implicit-def: $vgpr7
	s_delay_alu instid0(VALU_DEP_3) | instskip(NEXT) | instid1(SALU_CYCLE_1)
	s_or_b32 s0, s0, vcc_lo
	s_and_saveexec_b32 s42, s0
	s_delay_alu instid0(SALU_CYCLE_1)
	s_xor_b32 s0, exec_lo, s42
; %bb.38:                               ;   in Loop: Header=BB64_10 Depth=1
	v_min_i32_e32 v2, 15, v2
	s_delay_alu instid0(VALU_DEP_1) | instskip(NEXT) | instid1(VALU_DEP_1)
	v_lshl_or_b32 v2, v2, 3, v13
                                        ; implicit-def: $vgpr13
	v_and_or_b32 v7, v6, 7, v2
; %bb.39:                               ;   in Loop: Header=BB64_10 Depth=1
	s_and_not1_saveexec_b32 s0, s0
; %bb.40:                               ;   in Loop: Header=BB64_10 Depth=1
	v_mov_b32_e32 v7, v13
; %bb.41:                               ;   in Loop: Header=BB64_10 Depth=1
	s_or_b32 exec_lo, exec_lo, s0
.LBB64_42:                              ;   in Loop: Header=BB64_10 Depth=1
	s_delay_alu instid0(SALU_CYCLE_1)
	s_or_b32 exec_lo, exec_lo, s41
.LBB64_43:                              ;   in Loop: Header=BB64_10 Depth=1
	s_and_not1_saveexec_b32 s0, s40
	s_delay_alu instid0(SALU_CYCLE_1)
	s_or_b32 exec_lo, exec_lo, s0
                                        ; implicit-def: $vgpr9
.LBB64_44:                              ;   in Loop: Header=BB64_10 Depth=1
	s_and_not1_saveexec_b32 s0, s29
	s_cbranch_execz .LBB64_9
; %bb.45:                               ;   in Loop: Header=BB64_10 Depth=1
	v_cmp_eq_u64_e32 vcc_lo, 0, v[2:3]
	v_or_b32_e32 v6, 0x7f, v9
	s_delay_alu instid0(VALU_DEP_1)
	v_cndmask_b32_e32 v7, v6, v7, vcc_lo
	s_branch .LBB64_9
.LBB64_46:
	s_or_b32 exec_lo, exec_lo, s37
	s_delay_alu instid0(SALU_CYCLE_1)
	s_mov_b32 s0, exec_lo
	v_cmpx_gt_i32_e64 s6, v1
	s_cbranch_execz .LBB64_67
; %bb.47:
	s_mul_i32 s1, s16, s11
	s_mul_hi_u32 s8, s16, s10
	s_mul_i32 s0, s16, s10
	s_add_i32 s1, s8, s1
	v_mov_b32_e32 v4, 0
	s_lshl_b64 s[8:9], s[0:1], 1
	s_load_b32 s0, s[2:3], 0x8c
	s_waitcnt lgkmcnt(0)
	s_load_b32 s3, s[24:25], 0x0
	s_add_u32 s1, s14, s8
	s_addc_u32 s2, s15, s9
	s_ashr_i32 s4, s4, 31
	s_delay_alu instid0(SALU_CYCLE_1) | instskip(NEXT) | instid1(SALU_CYCLE_1)
	s_mul_i32 s4, s22, s4
	s_add_i32 s4, s34, s4
	s_delay_alu instid0(SALU_CYCLE_1) | instskip(SKIP_3) | instid1(SALU_CYCLE_1)
	s_add_i32 s4, s4, s35
	s_add_u32 s8, s18, s36
	s_addc_u32 s9, s19, s4
	s_ashr_i32 s4, s5, 31
	s_mul_i32 s7, s7, s4
	s_delay_alu instid0(SALU_CYCLE_1) | instskip(NEXT) | instid1(SALU_CYCLE_1)
	s_add_i32 s4, s31, s7
	s_add_i32 s5, s4, s23
	s_add_u32 s4, s8, s30
	s_addc_u32 s5, s9, s5
	s_and_b32 s7, s0, 0xffff
	s_mov_b32 s8, 0
	s_branch .LBB64_49
.LBB64_48:                              ;   in Loop: Header=BB64_49 Depth=1
	s_or_b32 exec_lo, exec_lo, s0
	v_add_co_u32 v7, vcc_lo, s4, v1
	v_add_nc_u32_e32 v1, s7, v1
	v_add_co_ci_u32_e32 v8, vcc_lo, s5, v2, vcc_lo
	s_delay_alu instid0(VALU_DEP_2) | instskip(SKIP_2) | instid1(SALU_CYCLE_1)
	v_cmp_le_i32_e32 vcc_lo, s6, v1
	global_store_b8 v[7:8], v6, off
	s_or_b32 s8, vcc_lo, s8
	s_and_not1_b32 exec_lo, exec_lo, s8
	s_cbranch_execz .LBB64_67
.LBB64_49:                              ; =>This Inner Loop Header: Depth=1
	v_ashrrev_i32_e32 v2, 31, v1
	s_mov_b32 s0, exec_lo
	v_mov_b32_e32 v9, v4
	s_delay_alu instid0(VALU_DEP_2) | instskip(NEXT) | instid1(VALU_DEP_1)
	v_lshlrev_b64 v[5:6], 1, v[1:2]
	v_add_co_u32 v5, vcc_lo, s1, v5
	s_delay_alu instid0(VALU_DEP_2) | instskip(SKIP_3) | instid1(VALU_DEP_1)
	v_add_co_ci_u32_e32 v6, vcc_lo, s2, v6, vcc_lo
	global_load_b32 v0, v[5:6], off
	s_waitcnt vmcnt(0) lgkmcnt(0)
	v_div_scale_f32 v3, null, s3, s3, v0
	v_rcp_f32_e32 v5, v3
	s_waitcnt_depctr 0xfff
	v_fma_f32 v6, -v3, v5, 1.0
	s_delay_alu instid0(VALU_DEP_1) | instskip(SKIP_1) | instid1(VALU_DEP_1)
	v_fmac_f32_e32 v5, v6, v5
	v_div_scale_f32 v6, vcc_lo, v0, s3, v0
	v_mul_f32_e32 v7, v6, v5
	s_delay_alu instid0(VALU_DEP_1) | instskip(NEXT) | instid1(VALU_DEP_1)
	v_fma_f32 v8, -v3, v7, v6
	v_fmac_f32_e32 v7, v8, v5
	s_delay_alu instid0(VALU_DEP_1) | instskip(NEXT) | instid1(VALU_DEP_1)
	v_fma_f32 v3, -v3, v7, v6
	v_div_fmas_f32 v3, v3, v5, v7
	s_delay_alu instid0(VALU_DEP_1) | instskip(NEXT) | instid1(VALU_DEP_1)
	v_div_fixup_f32 v5, v3, s3, v0
	v_lshrrev_b32_e32 v7, 24, v5
	v_and_b32_e32 v8, 0x7f800000, v5
	v_and_b32_e32 v3, 0x7fffff, v5
	s_delay_alu instid0(VALU_DEP_3) | instskip(NEXT) | instid1(VALU_DEP_1)
	v_and_b32_e32 v0, 0x80, v7
	v_or_b32_e32 v6, 0x7e, v0
	s_delay_alu instid0(VALU_DEP_4)
	v_cmpx_ne_u64_e32 0x7f800000, v[8:9]
	s_xor_b32 s9, exec_lo, s0
	s_cbranch_execz .LBB64_65
; %bb.50:                               ;   in Loop: Header=BB64_49 Depth=1
	v_dual_mov_b32 v8, v4 :: v_dual_and_b32 v7, 0x7fffffff, v5
	s_mov_b32 s0, exec_lo
	s_delay_alu instid0(VALU_DEP_1)
	v_cmpx_gt_u64_e32 0x43e00001, v[7:8]
	s_xor_b32 s10, exec_lo, s0
	s_cbranch_execz .LBB64_64
; %bb.51:                               ;   in Loop: Header=BB64_49 Depth=1
	v_mov_b32_e32 v6, 0
	s_mov_b32 s11, exec_lo
	v_cmpx_ne_u32_e32 0, v5
	s_cbranch_execz .LBB64_63
; %bb.52:                               ;   in Loop: Header=BB64_49 Depth=1
	v_bfe_u32 v9, v5, 23, 8
	v_or_b32_e32 v7, 0x800000, v3
	s_delay_alu instid0(VALU_DEP_2) | instskip(SKIP_1) | instid1(VALU_DEP_2)
	v_sub_nc_u32_e32 v5, 0x79, v9
	v_cmp_gt_u32_e32 vcc_lo, 0x7a, v9
	v_cndmask_b32_e32 v5, 0, v5, vcc_lo
	v_cmp_eq_u32_e32 vcc_lo, 0, v9
	s_delay_alu instid0(VALU_DEP_2) | instskip(SKIP_1) | instid1(VALU_DEP_2)
	v_cndmask_b32_e64 v10, v5, 0x78, vcc_lo
	v_cndmask_b32_e32 v3, v7, v3, vcc_lo
	v_add_nc_u32_e32 v5, 20, v10
	v_add_nc_u32_e32 v7, 19, v10
	s_delay_alu instid0(VALU_DEP_2) | instskip(NEXT) | instid1(VALU_DEP_2)
	v_lshlrev_b64 v[5:6], v5, -1
	v_lshlrev_b64 v[7:8], v7, 1
	s_delay_alu instid0(VALU_DEP_2) | instskip(NEXT) | instid1(VALU_DEP_3)
	v_not_b32_e32 v6, v6
	v_not_b32_e32 v5, v5
	s_delay_alu instid0(VALU_DEP_2) | instskip(NEXT) | instid1(VALU_DEP_2)
	v_and_b32_e32 v12, 0, v6
	v_and_b32_e32 v11, v3, v5
	v_lshrrev_b64 v[5:6], v10, v[3:4]
	s_delay_alu instid0(VALU_DEP_2) | instskip(NEXT) | instid1(VALU_DEP_2)
	v_cmp_eq_u64_e64 s0, v[11:12], v[7:8]
	v_dual_mov_b32 v8, v6 :: v_dual_mov_b32 v7, v5
	s_delay_alu instid0(VALU_DEP_2)
	s_and_saveexec_b32 s12, s0
; %bb.53:                               ;   in Loop: Header=BB64_49 Depth=1
	v_bfe_u32 v3, v5, 20, 1
	s_delay_alu instid0(VALU_DEP_1) | instskip(NEXT) | instid1(VALU_DEP_1)
	v_add_co_u32 v3, s0, v5, v3
	v_add_co_u32 v7, s0, v3, -1
; %bb.54:                               ;   in Loop: Header=BB64_49 Depth=1
	s_or_b32 exec_lo, exec_lo, s12
	v_add_nc_u32_e32 v3, 0xffffff81, v9
	v_lshrrev_b32_e32 v8, 23, v5
	s_mov_b32 s0, exec_lo
	s_delay_alu instid0(VALU_DEP_2) | instskip(NEXT) | instid1(VALU_DEP_1)
	v_cndmask_b32_e64 v3, v3, 0xffffff82, vcc_lo
	v_add3_u32 v8, v10, v3, v8
	v_and_b32_e32 v3, 0xfffff, v7
	s_delay_alu instid0(VALU_DEP_2) | instskip(NEXT) | instid1(VALU_DEP_2)
	v_add_nc_u32_e32 v7, 6, v8
	v_add_co_u32 v5, vcc_lo, v3, v5
	v_add_co_ci_u32_e32 v6, vcc_lo, 0, v6, vcc_lo
                                        ; implicit-def: $vgpr3
	s_delay_alu instid0(VALU_DEP_3)
	v_cmpx_ne_u32_e32 0, v7
	s_xor_b32 s0, exec_lo, s0
; %bb.55:                               ;   in Loop: Header=BB64_49 Depth=1
	s_delay_alu instid0(VALU_DEP_2) | instskip(SKIP_1) | instid1(VALU_DEP_1)
	v_cmp_lt_u64_e32 vcc_lo, 0xffffff, v[5:6]
	v_add_nc_u32_e32 v3, 7, v8
	v_cndmask_b32_e32 v3, v7, v3, vcc_lo
	v_cndmask_b32_e64 v7, 0, 1, vcc_lo
	s_delay_alu instid0(VALU_DEP_1)
	v_lshrrev_b64 v[5:6], v7, v[5:6]
; %bb.56:                               ;   in Loop: Header=BB64_49 Depth=1
	s_and_not1_saveexec_b32 s0, s0
; %bb.57:                               ;   in Loop: Header=BB64_49 Depth=1
	s_delay_alu instid0(VALU_DEP_1)
	v_bfe_u32 v3, v5, 23, 1
; %bb.58:                               ;   in Loop: Header=BB64_49 Depth=1
	s_or_b32 exec_lo, exec_lo, s0
	s_delay_alu instid0(VALU_DEP_2) | instskip(NEXT) | instid1(VALU_DEP_2)
	v_lshrrev_b64 v[5:6], 20, v[5:6]
	v_cmp_gt_i32_e32 vcc_lo, 16, v3
	v_cmp_ne_u32_e64 s0, 0, v3
	s_delay_alu instid0(VALU_DEP_3) | instskip(NEXT) | instid1(VALU_DEP_1)
	v_dual_cndmask_b32 v6, 0, v6 :: v_dual_cndmask_b32 v5, 7, v5
	v_cmp_ne_u64_e32 vcc_lo, 0, v[5:6]
                                        ; implicit-def: $vgpr6
	s_delay_alu instid0(VALU_DEP_3) | instskip(NEXT) | instid1(SALU_CYCLE_1)
	s_or_b32 s0, s0, vcc_lo
	s_and_saveexec_b32 s12, s0
	s_delay_alu instid0(SALU_CYCLE_1)
	s_xor_b32 s0, exec_lo, s12
; %bb.59:                               ;   in Loop: Header=BB64_49 Depth=1
	v_min_i32_e32 v3, 15, v3
	s_delay_alu instid0(VALU_DEP_1) | instskip(NEXT) | instid1(VALU_DEP_1)
	v_lshl_or_b32 v0, v3, 3, v0
	v_and_or_b32 v6, v5, 7, v0
                                        ; implicit-def: $vgpr0
; %bb.60:                               ;   in Loop: Header=BB64_49 Depth=1
	s_and_not1_saveexec_b32 s0, s0
; %bb.61:                               ;   in Loop: Header=BB64_49 Depth=1
	v_mov_b32_e32 v6, v0
; %bb.62:                               ;   in Loop: Header=BB64_49 Depth=1
	s_or_b32 exec_lo, exec_lo, s0
.LBB64_63:                              ;   in Loop: Header=BB64_49 Depth=1
	s_delay_alu instid0(SALU_CYCLE_1)
	s_or_b32 exec_lo, exec_lo, s11
.LBB64_64:                              ;   in Loop: Header=BB64_49 Depth=1
	s_and_not1_saveexec_b32 s0, s10
	s_delay_alu instid0(SALU_CYCLE_1)
	s_or_b32 exec_lo, exec_lo, s0
                                        ; implicit-def: $vgpr7
.LBB64_65:                              ;   in Loop: Header=BB64_49 Depth=1
	s_and_not1_saveexec_b32 s0, s9
	s_cbranch_execz .LBB64_48
; %bb.66:                               ;   in Loop: Header=BB64_49 Depth=1
	v_cmp_eq_u64_e32 vcc_lo, 0, v[3:4]
	v_or_b32_e32 v0, 0x7f, v7
	s_delay_alu instid0(VALU_DEP_1)
	v_cndmask_b32_e32 v6, v0, v6, vcc_lo
	s_branch .LBB64_48
.LBB64_67:
	s_nop 0
	s_sendmsg sendmsg(MSG_DEALLOC_VGPRS)
	s_endpgm
.LBB64_68:
                                        ; implicit-def: $sgpr22_sgpr23
	s_branch .LBB64_6
	.section	.rodata,"a",@progbits
	.p2align	6, 0x0
	.amdhsa_kernel _ZN4vllm38concat_and_cache_mla_rope_fused_kernelIN3c104HalfENS1_8BFloat16ELb1EfhLNS_18Fp8KVCacheDataTypeE1EEEvPKlPT_S8_PKS7_PKT0_illlliPT3_S6_iiiiPKf
		.amdhsa_group_segment_fixed_size 4096
		.amdhsa_private_segment_fixed_size 0
		.amdhsa_kernarg_size 384
		.amdhsa_user_sgpr_count 15
		.amdhsa_user_sgpr_dispatch_ptr 1
		.amdhsa_user_sgpr_queue_ptr 0
		.amdhsa_user_sgpr_kernarg_segment_ptr 1
		.amdhsa_user_sgpr_dispatch_id 0
		.amdhsa_user_sgpr_private_segment_size 0
		.amdhsa_wavefront_size32 1
		.amdhsa_uses_dynamic_stack 0
		.amdhsa_enable_private_segment 0
		.amdhsa_system_sgpr_workgroup_id_x 1
		.amdhsa_system_sgpr_workgroup_id_y 0
		.amdhsa_system_sgpr_workgroup_id_z 0
		.amdhsa_system_sgpr_workgroup_info 0
		.amdhsa_system_vgpr_workitem_id 2
		.amdhsa_next_free_vgpr 23
		.amdhsa_next_free_sgpr 48
		.amdhsa_reserve_vcc 1
		.amdhsa_float_round_mode_32 0
		.amdhsa_float_round_mode_16_64 0
		.amdhsa_float_denorm_mode_32 3
		.amdhsa_float_denorm_mode_16_64 3
		.amdhsa_dx10_clamp 1
		.amdhsa_ieee_mode 1
		.amdhsa_fp16_overflow 0
		.amdhsa_workgroup_processor_mode 1
		.amdhsa_memory_ordered 1
		.amdhsa_forward_progress 0
		.amdhsa_shared_vgpr_count 0
		.amdhsa_exception_fp_ieee_invalid_op 0
		.amdhsa_exception_fp_denorm_src 0
		.amdhsa_exception_fp_ieee_div_zero 0
		.amdhsa_exception_fp_ieee_overflow 0
		.amdhsa_exception_fp_ieee_underflow 0
		.amdhsa_exception_fp_ieee_inexact 0
		.amdhsa_exception_int_div_zero 0
	.end_amdhsa_kernel
	.section	.text._ZN4vllm38concat_and_cache_mla_rope_fused_kernelIN3c104HalfENS1_8BFloat16ELb1EfhLNS_18Fp8KVCacheDataTypeE1EEEvPKlPT_S8_PKS7_PKT0_illlliPT3_S6_iiiiPKf,"axG",@progbits,_ZN4vllm38concat_and_cache_mla_rope_fused_kernelIN3c104HalfENS1_8BFloat16ELb1EfhLNS_18Fp8KVCacheDataTypeE1EEEvPKlPT_S8_PKS7_PKT0_illlliPT3_S6_iiiiPKf,comdat
.Lfunc_end64:
	.size	_ZN4vllm38concat_and_cache_mla_rope_fused_kernelIN3c104HalfENS1_8BFloat16ELb1EfhLNS_18Fp8KVCacheDataTypeE1EEEvPKlPT_S8_PKS7_PKT0_illlliPT3_S6_iiiiPKf, .Lfunc_end64-_ZN4vllm38concat_and_cache_mla_rope_fused_kernelIN3c104HalfENS1_8BFloat16ELb1EfhLNS_18Fp8KVCacheDataTypeE1EEEvPKlPT_S8_PKS7_PKT0_illlliPT3_S6_iiiiPKf
                                        ; -- End function
	.section	.AMDGPU.csdata,"",@progbits
; Kernel info:
; codeLenInByte = 4532
; NumSgprs: 50
; NumVgprs: 23
; ScratchSize: 0
; MemoryBound: 0
; FloatMode: 240
; IeeeMode: 1
; LDSByteSize: 4096 bytes/workgroup (compile time only)
; SGPRBlocks: 6
; VGPRBlocks: 2
; NumSGPRsForWavesPerEU: 50
; NumVGPRsForWavesPerEU: 23
; Occupancy: 16
; WaveLimiterHint : 1
; COMPUTE_PGM_RSRC2:SCRATCH_EN: 0
; COMPUTE_PGM_RSRC2:USER_SGPR: 15
; COMPUTE_PGM_RSRC2:TRAP_HANDLER: 0
; COMPUTE_PGM_RSRC2:TGID_X_EN: 1
; COMPUTE_PGM_RSRC2:TGID_Y_EN: 0
; COMPUTE_PGM_RSRC2:TGID_Z_EN: 0
; COMPUTE_PGM_RSRC2:TIDIG_COMP_CNT: 2
	.section	.text._ZN4vllm38concat_and_cache_mla_rope_fused_kernelIN3c104HalfENS1_8BFloat16ELb0EfhLNS_18Fp8KVCacheDataTypeE1EEEvPKlPT_S8_PKS7_PKT0_illlliPT3_S6_iiiiPKf,"axG",@progbits,_ZN4vllm38concat_and_cache_mla_rope_fused_kernelIN3c104HalfENS1_8BFloat16ELb0EfhLNS_18Fp8KVCacheDataTypeE1EEEvPKlPT_S8_PKS7_PKT0_illlliPT3_S6_iiiiPKf,comdat
	.protected	_ZN4vllm38concat_and_cache_mla_rope_fused_kernelIN3c104HalfENS1_8BFloat16ELb0EfhLNS_18Fp8KVCacheDataTypeE1EEEvPKlPT_S8_PKS7_PKT0_illlliPT3_S6_iiiiPKf ; -- Begin function _ZN4vllm38concat_and_cache_mla_rope_fused_kernelIN3c104HalfENS1_8BFloat16ELb0EfhLNS_18Fp8KVCacheDataTypeE1EEEvPKlPT_S8_PKS7_PKT0_illlliPT3_S6_iiiiPKf
	.globl	_ZN4vllm38concat_and_cache_mla_rope_fused_kernelIN3c104HalfENS1_8BFloat16ELb0EfhLNS_18Fp8KVCacheDataTypeE1EEEvPKlPT_S8_PKS7_PKT0_illlliPT3_S6_iiiiPKf
	.p2align	8
	.type	_ZN4vllm38concat_and_cache_mla_rope_fused_kernelIN3c104HalfENS1_8BFloat16ELb0EfhLNS_18Fp8KVCacheDataTypeE1EEEvPKlPT_S8_PKS7_PKT0_illlliPT3_S6_iiiiPKf,@function
_ZN4vllm38concat_and_cache_mla_rope_fused_kernelIN3c104HalfENS1_8BFloat16ELb0EfhLNS_18Fp8KVCacheDataTypeE1EEEvPKlPT_S8_PKS7_PKT0_illlliPT3_S6_iiiiPKf: ; @_ZN4vllm38concat_and_cache_mla_rope_fused_kernelIN3c104HalfENS1_8BFloat16ELb0EfhLNS_18Fp8KVCacheDataTypeE1EEEvPKlPT_S8_PKS7_PKT0_illlliPT3_S6_iiiiPKf
; %bb.0:
	s_load_b64 s[6:7], s[2:3], 0x60
	s_mov_b32 s16, s15
	s_mov_b32 s17, 0
	s_delay_alu instid0(SALU_CYCLE_1)
	s_lshl_b64 s[4:5], s[16:17], 3
	s_waitcnt lgkmcnt(0)
	s_add_u32 s6, s6, s4
	s_addc_u32 s7, s7, s5
	s_load_b64 s[28:29], s[6:7], 0x0
	s_waitcnt lgkmcnt(0)
	v_cmp_lt_i64_e64 s6, s[28:29], 0
	s_delay_alu instid0(VALU_DEP_1)
	s_and_b32 vcc_lo, exec_lo, s6
	s_cbranch_vccnz .LBB65_67
; %bb.1:
	s_clause 0x3
	s_load_b32 s21, s[2:3], 0x28
	s_load_b64 s[6:7], s[2:3], 0x0
	s_load_b128 s[12:15], s[2:3], 0x10
	s_load_b32 s17, s[2:3], 0x50
	v_and_b32_e32 v1, 0x3ff, v0
	s_delay_alu instid0(VALU_DEP_1)
	v_lshlrev_b32_e32 v4, 1, v1
	s_waitcnt lgkmcnt(0)
	s_ashr_i32 s24, s21, 31
	s_add_u32 s4, s6, s4
	s_addc_u32 s5, s7, s5
	s_lshr_b32 s20, s21, 31
	s_load_b64 s[22:23], s[4:5], 0x0
	s_clause 0x2
	s_load_b64 s[26:27], s[2:3], 0x20
	s_load_b64 s[18:19], s[2:3], 0x58
	s_load_b256 s[4:11], s[2:3], 0x30
	s_add_i32 s20, s21, s20
	s_delay_alu instid0(SALU_CYCLE_1) | instskip(NEXT) | instid1(SALU_CYCLE_1)
	s_ashr_i32 s20, s20, 1
	s_mul_i32 s17, s20, s17
	s_waitcnt lgkmcnt(0)
	s_mul_i32 s24, s22, s24
	s_mul_hi_u32 s25, s22, s21
	s_mul_i32 s23, s23, s21
	s_add_i32 s24, s25, s24
	s_mul_i32 s30, s22, s21
	s_add_i32 s31, s24, s23
	s_mov_b32 s22, exec_lo
	v_cmpx_gt_i32_e64 s17, v1
	s_cbranch_execz .LBB65_4
; %bb.2:
	s_clause 0x1
	s_load_b64 s[34:35], s[2:3], 0x8
	s_load_b32 s36, s[2:3], 0x8c
	s_lshl_b64 s[24:25], s[30:31], 1
	s_mul_i32 s5, s16, s5
	s_mul_hi_u32 s21, s16, s4
	s_add_u32 s23, s26, s24
	s_mul_i32 s4, s16, s4
	s_addc_u32 s24, s27, s25
	s_add_i32 s5, s21, s5
	s_ashr_i32 s21, s20, 31
	s_lshl_b64 s[4:5], s[4:5], 1
	s_waitcnt lgkmcnt(0)
	s_add_u32 s25, s34, s4
	s_addc_u32 s33, s35, s5
	s_abs_i32 s34, s20
	s_and_b32 s36, s36, 0xffff
	v_cvt_f32_u32_e32 v2, s34
	s_sub_i32 s4, 0, s34
	s_mov_b32 s35, 0
	s_sub_i32 s37, 0, s20
	s_lshl_b32 s39, s36, 1
	v_rcp_iflag_f32_e32 v2, v2
	s_waitcnt_depctr 0xfff
	v_mul_f32_e32 v2, 0x4f7ffffe, v2
	s_delay_alu instid0(VALU_DEP_1) | instskip(NEXT) | instid1(VALU_DEP_1)
	v_cvt_u32_f32_e32 v3, v2
	v_mul_lo_u32 v2, s4, v3
	s_lshl_b32 s4, s20, 1
	s_delay_alu instid0(SALU_CYCLE_1) | instskip(SKIP_1) | instid1(VALU_DEP_1)
	s_sub_i32 s38, 0, s4
	s_lshl_b64 s[4:5], s[20:21], 1
	v_mul_hi_u32 v5, v3, v2
	s_delay_alu instid0(VALU_DEP_1)
	v_dual_mov_b32 v2, v4 :: v_dual_add_nc_u32 v5, v3, v5
	v_mov_b32_e32 v3, v1
.LBB65_3:                               ; =>This Inner Loop Header: Depth=1
	s_delay_alu instid0(VALU_DEP_1) | instskip(SKIP_1) | instid1(VALU_DEP_2)
	v_sub_nc_u32_e32 v6, 0, v3
	v_ashrrev_i32_e32 v7, 31, v3
	v_max_i32_e32 v6, v3, v6
	s_delay_alu instid0(VALU_DEP_2) | instskip(NEXT) | instid1(VALU_DEP_2)
	v_xor_b32_e32 v7, s21, v7
	v_mul_hi_u32 v8, v6, v5
	s_delay_alu instid0(VALU_DEP_1) | instskip(SKIP_1) | instid1(VALU_DEP_2)
	v_mul_lo_u32 v9, v8, s34
	v_add_nc_u32_e32 v10, 1, v8
	v_sub_nc_u32_e32 v6, v6, v9
	s_delay_alu instid0(VALU_DEP_1) | instskip(SKIP_1) | instid1(VALU_DEP_4)
	v_subrev_nc_u32_e32 v9, s34, v6
	v_cmp_le_u32_e32 vcc_lo, s34, v6
	v_cndmask_b32_e32 v8, v8, v10, vcc_lo
	s_delay_alu instid0(VALU_DEP_1) | instskip(NEXT) | instid1(VALU_DEP_1)
	v_dual_cndmask_b32 v6, v6, v9 :: v_dual_add_nc_u32 v9, 1, v8
	v_cmp_le_u32_e32 vcc_lo, s34, v6
	s_delay_alu instid0(VALU_DEP_2) | instskip(NEXT) | instid1(VALU_DEP_1)
	v_cndmask_b32_e32 v6, v8, v9, vcc_lo
	v_xor_b32_e32 v6, v6, v7
	s_delay_alu instid0(VALU_DEP_1) | instskip(NEXT) | instid1(VALU_DEP_1)
	v_sub_nc_u32_e32 v12, v6, v7
	v_mad_u64_u32 v[6:7], null, s37, v12, v[3:4]
	v_ashrrev_i32_e32 v7, 31, v12
	v_mul_lo_u32 v13, v12, s7
	v_mad_u64_u32 v[8:9], null, v12, s6, 0
	v_mad_u64_u32 v[10:11], null, s38, v12, v[2:3]
	v_add_nc_u32_e32 v3, s36, v3
	v_mul_lo_u32 v12, v7, s6
	v_ashrrev_i32_e32 v7, 31, v6
	v_add_nc_u32_e32 v2, s39, v2
	v_ashrrev_i32_e32 v11, 31, v10
	s_delay_alu instid0(VALU_DEP_3) | instskip(SKIP_1) | instid1(VALU_DEP_3)
	v_lshlrev_b64 v[6:7], 1, v[6:7]
	v_add3_u32 v9, v9, v13, v12
	v_lshlrev_b64 v[10:11], 1, v[10:11]
	s_delay_alu instid0(VALU_DEP_3) | instskip(NEXT) | instid1(VALU_DEP_3)
	v_add_co_u32 v6, vcc_lo, s23, v6
	v_lshlrev_b64 v[8:9], 1, v[8:9]
	v_add_co_ci_u32_e32 v7, vcc_lo, s24, v7, vcc_lo
	s_delay_alu instid0(VALU_DEP_3) | instskip(NEXT) | instid1(VALU_DEP_2)
	v_add_co_u32 v12, vcc_lo, v6, s4
	v_add_co_ci_u32_e32 v13, vcc_lo, s5, v7, vcc_lo
	s_delay_alu instid0(VALU_DEP_4)
	v_add_co_u32 v8, vcc_lo, s25, v8
	v_add_co_ci_u32_e32 v9, vcc_lo, s33, v9, vcc_lo
	s_clause 0x1
	global_load_u16 v14, v[6:7], off
	global_load_u16 v12, v[12:13], off
	v_add_co_u32 v6, vcc_lo, v8, v10
	v_add_co_ci_u32_e32 v7, vcc_lo, v9, v11, vcc_lo
	v_cmp_le_i32_e32 vcc_lo, s17, v3
	global_load_b32 v8, v[6:7], off
	s_or_b32 s35, vcc_lo, s35
	s_waitcnt vmcnt(2)
	v_lshlrev_b32_e32 v10, 16, v14
	s_waitcnt vmcnt(1)
	v_lshlrev_b32_e32 v9, 16, v12
	s_delay_alu instid0(VALU_DEP_2) | instskip(NEXT) | instid1(VALU_DEP_2)
	v_cvt_f16_f32_e32 v10, v10
	v_cvt_f16_f32_e32 v9, v9
	s_waitcnt vmcnt(0)
	v_lshrrev_b32_e32 v11, 16, v8
	s_delay_alu instid0(VALU_DEP_1) | instskip(SKIP_1) | instid1(VALU_DEP_2)
	v_mul_f16_e32 v12, v11, v9
	v_mul_f16_e32 v9, v8, v9
	v_fma_f16 v8, v8, v10, -v12
	s_delay_alu instid0(VALU_DEP_2) | instskip(NEXT) | instid1(VALU_DEP_1)
	v_fmac_f16_e32 v9, v11, v10
	v_pack_b32_f16 v8, v8, v9
	global_store_b32 v[6:7], v8, off
	s_and_not1_b32 exec_lo, exec_lo, s35
	s_cbranch_execnz .LBB65_3
.LBB65_4:
	s_or_b32 exec_lo, exec_lo, s22
	s_load_b128 s[4:7], s[2:3], 0x68
	s_waitcnt lgkmcnt(0)
	s_ashr_i32 s35, s7, 31
	s_mov_b32 s34, s7
	s_delay_alu instid0(SALU_CYCLE_1) | instskip(SKIP_1) | instid1(SALU_CYCLE_1)
	s_or_b64 s[24:25], s[28:29], s[34:35]
	s_mov_b32 s24, 0
	s_cmp_lg_u64 s[24:25], 0
	s_cbranch_scc0 .LBB65_68
; %bb.5:
	s_add_u32 s36, s34, s35
	s_mov_b32 s22, s35
	s_mov_b32 s23, s35
	s_addc_u32 s37, s35, s35
	s_delay_alu instid0(SALU_CYCLE_1) | instskip(NEXT) | instid1(SALU_CYCLE_1)
	s_xor_b64 s[36:37], s[36:37], s[22:23]
	v_cvt_f32_u32_e32 v2, s36
	v_cvt_f32_u32_e32 v3, s37
	s_sub_u32 s21, 0, s36
	s_subb_u32 s25, 0, s37
	s_delay_alu instid0(VALU_DEP_1) | instskip(NEXT) | instid1(VALU_DEP_1)
	v_fmamk_f32 v2, v3, 0x4f800000, v2
	v_rcp_f32_e32 v2, v2
	s_waitcnt_depctr 0xfff
	v_mul_f32_e32 v2, 0x5f7ffffc, v2
	s_delay_alu instid0(VALU_DEP_1) | instskip(NEXT) | instid1(VALU_DEP_1)
	v_mul_f32_e32 v3, 0x2f800000, v2
	v_trunc_f32_e32 v3, v3
	s_delay_alu instid0(VALU_DEP_1) | instskip(SKIP_1) | instid1(VALU_DEP_2)
	v_fmamk_f32 v2, v3, 0xcf800000, v2
	v_cvt_u32_f32_e32 v3, v3
	v_cvt_u32_f32_e32 v2, v2
	s_delay_alu instid0(VALU_DEP_2) | instskip(NEXT) | instid1(VALU_DEP_2)
	v_readfirstlane_b32 s7, v3
	v_readfirstlane_b32 s17, v2
	s_delay_alu instid0(VALU_DEP_2) | instskip(NEXT) | instid1(VALU_DEP_1)
	s_mul_i32 s33, s21, s7
	s_mul_hi_u32 s39, s21, s17
	s_mul_i32 s38, s25, s17
	s_add_i32 s33, s39, s33
	s_mul_i32 s40, s21, s17
	s_add_i32 s33, s33, s38
	s_mul_hi_u32 s39, s17, s40
	s_mul_hi_u32 s41, s7, s40
	s_mul_i32 s38, s7, s40
	s_mul_hi_u32 s40, s17, s33
	s_mul_i32 s17, s17, s33
	s_mul_hi_u32 s42, s7, s33
	s_add_u32 s17, s39, s17
	s_addc_u32 s39, 0, s40
	s_add_u32 s17, s17, s38
	s_mul_i32 s33, s7, s33
	s_addc_u32 s17, s39, s41
	s_addc_u32 s38, s42, 0
	s_add_u32 s17, s17, s33
	s_addc_u32 s33, 0, s38
	v_add_co_u32 v2, s17, v2, s17
	s_delay_alu instid0(VALU_DEP_1) | instskip(SKIP_1) | instid1(VALU_DEP_1)
	s_cmp_lg_u32 s17, 0
	s_addc_u32 s7, s7, s33
	v_readfirstlane_b32 s17, v2
	s_mul_i32 s33, s21, s7
	s_delay_alu instid0(VALU_DEP_1)
	s_mul_hi_u32 s38, s21, s17
	s_mul_i32 s25, s25, s17
	s_add_i32 s33, s38, s33
	s_mul_i32 s21, s21, s17
	s_add_i32 s33, s33, s25
	s_mul_hi_u32 s38, s7, s21
	s_mul_i32 s39, s7, s21
	s_mul_hi_u32 s21, s17, s21
	s_mul_hi_u32 s40, s17, s33
	s_mul_i32 s17, s17, s33
	s_mul_hi_u32 s25, s7, s33
	s_add_u32 s17, s21, s17
	s_addc_u32 s21, 0, s40
	s_add_u32 s17, s17, s39
	s_mul_i32 s33, s7, s33
	s_addc_u32 s17, s21, s38
	s_addc_u32 s21, s25, 0
	s_add_u32 s17, s17, s33
	s_addc_u32 s21, 0, s21
	v_add_co_u32 v2, s17, v2, s17
	s_delay_alu instid0(VALU_DEP_1) | instskip(SKIP_2) | instid1(VALU_DEP_1)
	s_cmp_lg_u32 s17, 0
	s_addc_u32 s7, s7, s21
	s_ashr_i32 s38, s29, 31
	v_readfirstlane_b32 s17, v2
	s_add_u32 s40, s28, s38
	s_mov_b32 s39, s38
	s_addc_u32 s41, s29, s38
	s_delay_alu instid0(SALU_CYCLE_1) | instskip(NEXT) | instid1(SALU_CYCLE_1)
	s_xor_b64 s[40:41], s[40:41], s[38:39]
	s_mul_i32 s25, s40, s7
	s_mul_hi_u32 s33, s40, s17
	s_mul_hi_u32 s21, s40, s7
	s_mul_hi_u32 s43, s41, s17
	s_mul_i32 s17, s41, s17
	s_add_u32 s25, s33, s25
	s_addc_u32 s21, 0, s21
	s_mul_hi_u32 s42, s41, s7
	s_add_u32 s17, s25, s17
	s_mul_i32 s7, s41, s7
	s_addc_u32 s17, s21, s43
	s_addc_u32 s21, s42, 0
	s_add_u32 s7, s17, s7
	s_addc_u32 s17, 0, s21
	s_mul_hi_u32 s21, s36, s7
	s_mul_i32 s33, s36, s17
	s_mul_i32 s42, s36, s7
	s_add_i32 s21, s21, s33
	v_sub_co_u32 v2, s33, s40, s42
	s_mul_i32 s25, s37, s7
	s_delay_alu instid0(SALU_CYCLE_1) | instskip(NEXT) | instid1(VALU_DEP_1)
	s_add_i32 s21, s21, s25
	v_sub_co_u32 v3, s40, v2, s36
	s_sub_i32 s25, s41, s21
	s_cmp_lg_u32 s33, 0
	s_subb_u32 s25, s25, s37
	s_cmp_lg_u32 s40, 0
	v_readfirstlane_b32 s40, v3
	s_subb_u32 s25, s25, 0
	s_delay_alu instid0(SALU_CYCLE_1) | instskip(SKIP_1) | instid1(VALU_DEP_1)
	s_cmp_ge_u32 s25, s37
	s_cselect_b32 s42, -1, 0
	s_cmp_ge_u32 s40, s36
	s_cselect_b32 s40, -1, 0
	s_cmp_eq_u32 s25, s37
	s_cselect_b32 s25, s40, s42
	s_add_u32 s40, s7, 1
	s_addc_u32 s42, s17, 0
	s_add_u32 s43, s7, 2
	s_addc_u32 s44, s17, 0
	s_cmp_lg_u32 s25, 0
	s_cselect_b32 s25, s43, s40
	s_cselect_b32 s40, s44, s42
	s_cmp_lg_u32 s33, 0
	v_readfirstlane_b32 s33, v2
	s_subb_u32 s21, s41, s21
	s_delay_alu instid0(SALU_CYCLE_1) | instskip(SKIP_1) | instid1(VALU_DEP_1)
	s_cmp_ge_u32 s21, s37
	s_cselect_b32 s41, -1, 0
	s_cmp_ge_u32 s33, s36
	s_cselect_b32 s33, -1, 0
	s_cmp_eq_u32 s21, s37
	s_cselect_b32 s21, s33, s41
	s_delay_alu instid0(SALU_CYCLE_1) | instskip(SKIP_3) | instid1(SALU_CYCLE_1)
	s_cmp_lg_u32 s21, 0
	s_cselect_b32 s37, s40, s17
	s_cselect_b32 s36, s25, s7
	s_xor_b64 s[22:23], s[38:39], s[22:23]
	s_xor_b64 s[36:37], s[36:37], s[22:23]
	s_delay_alu instid0(SALU_CYCLE_1)
	s_sub_u32 s22, s36, s22
	s_subb_u32 s23, s37, s23
	s_and_not1_b32 vcc_lo, exec_lo, s24
	s_cbranch_vccnz .LBB65_7
.LBB65_6:
	v_cvt_f32_u32_e32 v2, s34
	s_sub_i32 s17, 0, s34
	s_mov_b32 s23, 0
	s_delay_alu instid0(VALU_DEP_1) | instskip(SKIP_2) | instid1(VALU_DEP_1)
	v_rcp_iflag_f32_e32 v2, v2
	s_waitcnt_depctr 0xfff
	v_mul_f32_e32 v2, 0x4f7ffffe, v2
	v_cvt_u32_f32_e32 v2, v2
	s_delay_alu instid0(VALU_DEP_1) | instskip(NEXT) | instid1(VALU_DEP_1)
	v_readfirstlane_b32 s7, v2
	s_mul_i32 s17, s17, s7
	s_delay_alu instid0(SALU_CYCLE_1) | instskip(NEXT) | instid1(SALU_CYCLE_1)
	s_mul_hi_u32 s17, s7, s17
	s_add_i32 s7, s7, s17
	s_delay_alu instid0(SALU_CYCLE_1) | instskip(NEXT) | instid1(SALU_CYCLE_1)
	s_mul_hi_u32 s7, s28, s7
	s_mul_i32 s17, s7, s34
	s_add_i32 s21, s7, 1
	s_sub_i32 s17, s28, s17
	s_delay_alu instid0(SALU_CYCLE_1)
	s_sub_i32 s22, s17, s34
	s_cmp_ge_u32 s17, s34
	s_cselect_b32 s7, s21, s7
	s_cselect_b32 s17, s22, s17
	s_add_i32 s21, s7, 1
	s_cmp_ge_u32 s17, s34
	s_cselect_b32 s22, s21, s7
.LBB65_7:
	s_load_b64 s[24:25], s[2:3], 0x78
	s_mul_i32 s7, s22, s35
	s_mul_hi_u32 s17, s22, s34
	s_mul_i32 s21, s22, s34
	s_add_i32 s7, s17, s7
	s_mul_i32 s17, s23, s34
	s_mul_i32 s33, s23, s4
	s_add_i32 s17, s7, s17
	s_sub_u32 s7, s28, s21
	s_subb_u32 s17, s29, s17
	s_mul_hi_u32 s29, s22, s4
	s_mul_i32 s34, s22, s4
	s_mul_hi_u32 s28, s7, s5
	s_mul_i32 s17, s17, s5
	s_mul_i32 s23, s7, s5
	s_mov_b32 s35, exec_lo
	v_cmpx_gt_i32_e64 s20, v1
	s_cbranch_execz .LBB65_46
; %bb.8:
	s_load_b64 s[36:37], s[0:1], 0x4
	s_load_b32 s0, s[2:3], 0x8c
	s_ashr_i32 s40, s4, 31
	s_ashr_i32 s41, s5, 31
	v_bfe_u32 v2, v0, 10, 10
	v_bfe_u32 v3, v0, 20, 10
	s_lshl_b64 s[38:39], s[30:31], 1
	s_mul_i32 s30, s22, s40
	s_mul_i32 s40, s7, s41
	s_add_i32 s30, s29, s30
	s_add_i32 s40, s28, s40
	s_ashr_i32 s21, s20, 31
	s_ashr_i32 s42, s6, 31
	s_add_i32 s41, s30, s33
	s_add_i32 s40, s40, s17
	s_waitcnt lgkmcnt(0)
	s_load_b32 s1, s[24:25], 0x0
	s_mul_i32 s9, s9, s16
	s_mul_hi_u32 s31, s8, s16
	s_mul_i32 s8, s8, s16
	v_mov_b32_e32 v19, v1
	s_lshr_b32 s36, s36, 16
	s_and_b32 s30, s0, 0xffff
	s_mul_i32 s36, s36, s37
	s_add_u32 s0, s26, s38
	v_mul_lo_u32 v0, s36, v1
	s_addc_u32 s27, s27, s39
	s_lshl_b32 s26, s30, 1
	s_lshl_b64 s[38:39], s[20:21], 1
	s_add_u32 s21, s34, s23
	s_delay_alu instid0(VALU_DEP_1) | instskip(SKIP_1) | instid1(VALU_DEP_1)
	v_mad_u32_u24 v2, v2, s37, v0
	v_add_co_u32 v0, s0, s0, v4
	v_add_co_ci_u32_e64 v12, null, s27, 0, s0
	s_addc_u32 s0, s41, s40
	s_add_u32 s27, s18, s6
	s_addc_u32 s36, s19, s42
	s_add_u32 s21, s27, s21
	s_addc_u32 s0, s36, s0
	s_add_i32 s9, s31, s9
	v_add_lshl_u32 v13, v2, v3, 1
	v_lshlrev_b32_e32 v2, 2, v1
	s_lshl_b64 s[8:9], s[8:9], 1
	v_add_co_u32 v3, s21, s21, v4
	s_delay_alu instid0(VALU_DEP_1)
	v_add_co_ci_u32_e64 v4, null, s0, 0, s21
	s_add_u32 s0, s12, s8
	v_add_co_u32 v15, vcc_lo, v0, s38
	s_addc_u32 s8, s13, s9
	v_add_co_u32 v2, s0, s0, v2
	v_add_co_ci_u32_e32 v16, vcc_lo, s39, v12, vcc_lo
	v_add_co_ci_u32_e64 v5, null, s8, 0, s0
	v_add_co_u32 v17, vcc_lo, v3, 1
	v_add_co_ci_u32_e32 v18, vcc_lo, 0, v4, vcc_lo
	v_add_co_u32 v2, vcc_lo, v2, 2
	v_add_nc_u32_e32 v14, 0x800, v13
	v_add_co_ci_u32_e32 v3, vcc_lo, 0, v5, vcc_lo
	v_mov_b32_e32 v5, 0
	s_mov_b32 s12, 0
	s_lshl_b32 s13, s30, 2
	s_mov_b64 s[8:9], 0
	s_branch .LBB65_10
.LBB65_9:                               ;   in Loop: Header=BB65_10 Depth=1
	s_or_b32 exec_lo, exec_lo, s0
	v_add_nc_u32_e32 v19, s30, v19
	v_add_co_u32 v2, s0, v2, s13
	s_delay_alu instid0(VALU_DEP_1) | instskip(NEXT) | instid1(VALU_DEP_3)
	v_add_co_ci_u32_e64 v3, s0, 0, v3, s0
	v_cmp_le_i32_e32 vcc_lo, s20, v19
	s_add_u32 s8, s8, s26
	s_addc_u32 s9, s9, 0
	global_store_b8 v[6:7], v9, off
	s_or_b32 s12, vcc_lo, s12
	s_delay_alu instid0(SALU_CYCLE_1)
	s_and_not1_b32 exec_lo, exec_lo, s12
	s_cbranch_execz .LBB65_46
.LBB65_10:                              ; =>This Inner Loop Header: Depth=1
	v_add_co_u32 v6, vcc_lo, v15, s8
	v_add_co_ci_u32_e32 v7, vcc_lo, s9, v16, vcc_lo
	v_add_co_u32 v8, vcc_lo, v0, s8
	v_add_co_ci_u32_e32 v9, vcc_lo, s9, v12, vcc_lo
	global_load_u16 v4, v[6:7], off
	global_load_b32 v6, v[2:3], off offset:-2
	global_load_u16 v7, v[8:9], off
	s_waitcnt vmcnt(2)
	v_lshlrev_b32_e32 v4, 16, v4
	s_waitcnt vmcnt(1)
	v_lshrrev_b32_e32 v8, 16, v6
	s_waitcnt vmcnt(0)
	v_lshlrev_b32_e32 v7, 16, v7
	v_cvt_f16_f32_e32 v4, v4
	s_delay_alu instid0(VALU_DEP_2) | instskip(NEXT) | instid1(VALU_DEP_2)
	v_cvt_f16_f32_e32 v7, v7
	v_mul_f16_e32 v9, v8, v4
	v_mul_f16_e32 v4, v6, v4
	s_delay_alu instid0(VALU_DEP_2) | instskip(NEXT) | instid1(VALU_DEP_2)
	v_fma_f16 v20, v6, v7, -v9
	v_fmac_f16_e32 v4, v8, v7
	ds_store_b16 v14, v20
	ds_load_b32 v9, v14
	ds_store_b16 v13, v4
	v_pack_b32_f16 v20, v20, v4
	global_store_b32 v[2:3], v20, off offset:-2
	s_waitcnt lgkmcnt(0)
	v_div_scale_f32 v10, null, s1, s1, v9
	s_delay_alu instid0(VALU_DEP_1) | instskip(SKIP_2) | instid1(VALU_DEP_1)
	v_rcp_f32_e32 v11, v10
	s_waitcnt_depctr 0xfff
	v_fma_f32 v21, -v10, v11, 1.0
	v_fmac_f32_e32 v11, v21, v11
	v_div_scale_f32 v21, vcc_lo, v9, s1, v9
	s_delay_alu instid0(VALU_DEP_1) | instskip(NEXT) | instid1(VALU_DEP_1)
	v_mul_f32_e32 v22, v21, v11
	v_fma_f32 v23, -v10, v22, v21
	s_delay_alu instid0(VALU_DEP_1) | instskip(NEXT) | instid1(VALU_DEP_1)
	v_fmac_f32_e32 v22, v23, v11
	v_fma_f32 v6, -v10, v22, v21
	ds_load_b32 v10, v13
	v_div_fmas_f32 v6, v6, v11, v22
	s_delay_alu instid0(VALU_DEP_1) | instskip(SKIP_1) | instid1(VALU_DEP_2)
	v_div_fixup_f32 v6, v6, s1, v9
	v_mov_b32_e32 v9, v5
	v_lshrrev_b32_e32 v7, 24, v6
	v_and_b32_e32 v8, 0x7f800000, v6
	v_and_b32_e32 v4, 0x7fffff, v6
	s_delay_alu instid0(VALU_DEP_3) | instskip(NEXT) | instid1(VALU_DEP_3)
	v_and_b32_e32 v11, 0x80, v7
	v_cmp_ne_u64_e32 vcc_lo, 0x7f800000, v[8:9]
	s_delay_alu instid0(VALU_DEP_2) | instskip(SKIP_1) | instid1(SALU_CYCLE_1)
	v_or_b32_e32 v8, 0x7e, v11
	s_and_saveexec_b32 s0, vcc_lo
	s_xor_b32 s21, exec_lo, s0
	s_cbranch_execz .LBB65_26
; %bb.11:                               ;   in Loop: Header=BB65_10 Depth=1
	v_dual_mov_b32 v21, v5 :: v_dual_and_b32 v20, 0x7fffffff, v6
	s_mov_b32 s0, exec_lo
	s_delay_alu instid0(VALU_DEP_1)
	v_cmpx_gt_u64_e32 0x43e00001, v[20:21]
	s_xor_b32 s27, exec_lo, s0
	s_cbranch_execz .LBB65_25
; %bb.12:                               ;   in Loop: Header=BB65_10 Depth=1
	v_mov_b32_e32 v8, 0
	s_mov_b32 s31, exec_lo
	v_cmpx_ne_u32_e32 0, v6
	s_cbranch_execz .LBB65_24
; %bb.13:                               ;   in Loop: Header=BB65_10 Depth=1
	v_bfe_u32 v20, v6, 23, 8
	v_or_b32_e32 v8, 0x800000, v4
	s_delay_alu instid0(VALU_DEP_2) | instskip(SKIP_1) | instid1(VALU_DEP_2)
	v_sub_nc_u32_e32 v6, 0x79, v20
	v_cmp_gt_u32_e32 vcc_lo, 0x7a, v20
	v_cndmask_b32_e32 v6, 0, v6, vcc_lo
	v_cmp_eq_u32_e32 vcc_lo, 0, v20
	s_delay_alu instid0(VALU_DEP_2) | instskip(SKIP_1) | instid1(VALU_DEP_2)
	v_cndmask_b32_e64 v21, v6, 0x78, vcc_lo
	v_cndmask_b32_e32 v4, v8, v4, vcc_lo
	v_add_nc_u32_e32 v6, 20, v21
	v_add_nc_u32_e32 v8, 19, v21
	s_delay_alu instid0(VALU_DEP_2) | instskip(NEXT) | instid1(VALU_DEP_2)
	v_lshlrev_b64 v[6:7], v6, -1
	v_lshlrev_b64 v[8:9], v8, 1
	s_delay_alu instid0(VALU_DEP_2) | instskip(NEXT) | instid1(VALU_DEP_3)
	v_not_b32_e32 v7, v7
	v_not_b32_e32 v6, v6
	s_delay_alu instid0(VALU_DEP_2) | instskip(NEXT) | instid1(VALU_DEP_2)
	v_and_b32_e32 v23, 0, v7
	v_and_b32_e32 v22, v4, v6
	v_lshrrev_b64 v[6:7], v21, v[4:5]
	s_delay_alu instid0(VALU_DEP_2) | instskip(NEXT) | instid1(VALU_DEP_2)
	v_cmp_eq_u64_e64 s0, v[22:23], v[8:9]
	v_dual_mov_b32 v9, v7 :: v_dual_mov_b32 v8, v6
	s_delay_alu instid0(VALU_DEP_2)
	s_and_saveexec_b32 s36, s0
; %bb.14:                               ;   in Loop: Header=BB65_10 Depth=1
	v_bfe_u32 v4, v6, 20, 1
	s_delay_alu instid0(VALU_DEP_1) | instskip(NEXT) | instid1(VALU_DEP_1)
	v_add_co_u32 v4, s0, v6, v4
	v_add_co_u32 v8, s0, v4, -1
; %bb.15:                               ;   in Loop: Header=BB65_10 Depth=1
	s_or_b32 exec_lo, exec_lo, s36
	v_add_nc_u32_e32 v4, 0xffffff81, v20
	v_lshrrev_b32_e32 v9, 23, v6
	s_mov_b32 s0, exec_lo
	s_delay_alu instid0(VALU_DEP_2) | instskip(NEXT) | instid1(VALU_DEP_1)
	v_cndmask_b32_e64 v4, v4, 0xffffff82, vcc_lo
	v_add3_u32 v9, v21, v4, v9
	v_and_b32_e32 v4, 0xfffff, v8
	s_delay_alu instid0(VALU_DEP_2) | instskip(NEXT) | instid1(VALU_DEP_2)
	v_add_nc_u32_e32 v8, 6, v9
	v_add_co_u32 v6, vcc_lo, v4, v6
	v_add_co_ci_u32_e32 v7, vcc_lo, 0, v7, vcc_lo
                                        ; implicit-def: $vgpr4
	s_delay_alu instid0(VALU_DEP_3)
	v_cmpx_ne_u32_e32 0, v8
	s_xor_b32 s0, exec_lo, s0
; %bb.16:                               ;   in Loop: Header=BB65_10 Depth=1
	s_delay_alu instid0(VALU_DEP_2) | instskip(SKIP_1) | instid1(VALU_DEP_1)
	v_cmp_lt_u64_e32 vcc_lo, 0xffffff, v[6:7]
	v_add_nc_u32_e32 v4, 7, v9
	v_cndmask_b32_e32 v4, v8, v4, vcc_lo
	v_cndmask_b32_e64 v8, 0, 1, vcc_lo
	s_delay_alu instid0(VALU_DEP_1)
	v_lshrrev_b64 v[6:7], v8, v[6:7]
; %bb.17:                               ;   in Loop: Header=BB65_10 Depth=1
	s_and_not1_saveexec_b32 s0, s0
; %bb.18:                               ;   in Loop: Header=BB65_10 Depth=1
	s_delay_alu instid0(VALU_DEP_1)
	v_bfe_u32 v4, v6, 23, 1
; %bb.19:                               ;   in Loop: Header=BB65_10 Depth=1
	s_or_b32 exec_lo, exec_lo, s0
	s_delay_alu instid0(VALU_DEP_2) | instskip(NEXT) | instid1(VALU_DEP_2)
	v_lshrrev_b64 v[6:7], 20, v[6:7]
	v_cmp_gt_i32_e32 vcc_lo, 16, v4
	v_cmp_ne_u32_e64 s0, 0, v4
                                        ; implicit-def: $vgpr8
	s_delay_alu instid0(VALU_DEP_3) | instskip(NEXT) | instid1(VALU_DEP_1)
	v_dual_cndmask_b32 v7, 0, v7 :: v_dual_cndmask_b32 v6, 7, v6
	v_cmp_ne_u64_e32 vcc_lo, 0, v[6:7]
	s_delay_alu instid0(VALU_DEP_3) | instskip(NEXT) | instid1(SALU_CYCLE_1)
	s_or_b32 s0, s0, vcc_lo
	s_and_saveexec_b32 s36, s0
	s_delay_alu instid0(SALU_CYCLE_1)
	s_xor_b32 s0, exec_lo, s36
; %bb.20:                               ;   in Loop: Header=BB65_10 Depth=1
	v_min_i32_e32 v4, 15, v4
	s_delay_alu instid0(VALU_DEP_1) | instskip(NEXT) | instid1(VALU_DEP_1)
	v_lshl_or_b32 v4, v4, 3, v11
                                        ; implicit-def: $vgpr11
	v_and_or_b32 v8, v6, 7, v4
; %bb.21:                               ;   in Loop: Header=BB65_10 Depth=1
	s_and_not1_saveexec_b32 s0, s0
; %bb.22:                               ;   in Loop: Header=BB65_10 Depth=1
	v_mov_b32_e32 v8, v11
; %bb.23:                               ;   in Loop: Header=BB65_10 Depth=1
	s_or_b32 exec_lo, exec_lo, s0
.LBB65_24:                              ;   in Loop: Header=BB65_10 Depth=1
	s_delay_alu instid0(SALU_CYCLE_1)
	s_or_b32 exec_lo, exec_lo, s31
.LBB65_25:                              ;   in Loop: Header=BB65_10 Depth=1
	s_and_not1_saveexec_b32 s0, s27
	s_delay_alu instid0(SALU_CYCLE_1)
	s_or_b32 exec_lo, exec_lo, s0
                                        ; implicit-def: $vgpr7
.LBB65_26:                              ;   in Loop: Header=BB65_10 Depth=1
	s_and_not1_saveexec_b32 s0, s21
; %bb.27:                               ;   in Loop: Header=BB65_10 Depth=1
	v_cmp_eq_u64_e32 vcc_lo, 0, v[4:5]
	v_or_b32_e32 v6, 0x7f, v7
	s_delay_alu instid0(VALU_DEP_1)
	v_cndmask_b32_e32 v8, v6, v8, vcc_lo
; %bb.28:                               ;   in Loop: Header=BB65_10 Depth=1
	s_or_b32 exec_lo, exec_lo, s0
	s_waitcnt lgkmcnt(0)
	v_div_scale_f32 v4, null, s1, s1, v10
	v_div_scale_f32 v9, vcc_lo, v10, s1, v10
	s_mov_b32 s0, exec_lo
	s_delay_alu instid0(VALU_DEP_2) | instskip(SKIP_3) | instid1(VALU_DEP_1)
	v_rcp_f32_e32 v6, v4
	v_mov_b32_e32 v22, v5
	s_waitcnt_depctr 0xfff
	v_fma_f32 v7, -v4, v6, 1.0
	v_fmac_f32_e32 v6, v7, v6
	s_delay_alu instid0(VALU_DEP_1) | instskip(NEXT) | instid1(VALU_DEP_1)
	v_mul_f32_e32 v7, v9, v6
	v_fma_f32 v11, -v4, v7, v9
	s_delay_alu instid0(VALU_DEP_1) | instskip(NEXT) | instid1(VALU_DEP_1)
	v_fmac_f32_e32 v7, v11, v6
	v_fma_f32 v4, -v4, v7, v9
	s_delay_alu instid0(VALU_DEP_1) | instskip(SKIP_2) | instid1(VALU_DEP_3)
	v_div_fmas_f32 v4, v4, v6, v7
	v_add_co_u32 v6, vcc_lo, v17, s8
	v_add_co_ci_u32_e32 v7, vcc_lo, s9, v18, vcc_lo
	v_div_fixup_f32 v10, v4, s1, v10
	global_store_b8 v[6:7], v8, off offset:-1
	v_lshrrev_b32_e32 v11, 24, v10
	v_and_b32_e32 v21, 0x7f800000, v10
	v_and_b32_e32 v4, 0x7fffff, v10
	s_delay_alu instid0(VALU_DEP_3) | instskip(NEXT) | instid1(VALU_DEP_1)
	v_and_b32_e32 v20, 0x80, v11
	v_or_b32_e32 v9, 0x7e, v20
	s_delay_alu instid0(VALU_DEP_4)
	v_cmpx_ne_u64_e32 0x7f800000, v[21:22]
	s_xor_b32 s21, exec_lo, s0
	s_cbranch_execz .LBB65_44
; %bb.29:                               ;   in Loop: Header=BB65_10 Depth=1
	v_dual_mov_b32 v22, v5 :: v_dual_and_b32 v21, 0x7fffffff, v10
	s_mov_b32 s0, exec_lo
	s_delay_alu instid0(VALU_DEP_1)
	v_cmpx_gt_u64_e32 0x43e00001, v[21:22]
	s_xor_b32 s27, exec_lo, s0
	s_cbranch_execz .LBB65_43
; %bb.30:                               ;   in Loop: Header=BB65_10 Depth=1
	v_mov_b32_e32 v9, 0
	s_mov_b32 s31, exec_lo
	v_cmpx_ne_u32_e32 0, v10
	s_cbranch_execz .LBB65_42
; %bb.31:                               ;   in Loop: Header=BB65_10 Depth=1
	v_bfe_u32 v21, v10, 23, 8
	v_or_b32_e32 v10, 0x800000, v4
	s_delay_alu instid0(VALU_DEP_2) | instskip(SKIP_1) | instid1(VALU_DEP_2)
	v_sub_nc_u32_e32 v8, 0x79, v21
	v_cmp_gt_u32_e32 vcc_lo, 0x7a, v21
	v_cndmask_b32_e32 v8, 0, v8, vcc_lo
	v_cmp_eq_u32_e32 vcc_lo, 0, v21
	s_delay_alu instid0(VALU_DEP_2) | instskip(SKIP_1) | instid1(VALU_DEP_2)
	v_cndmask_b32_e64 v22, v8, 0x78, vcc_lo
	v_cndmask_b32_e32 v4, v10, v4, vcc_lo
	v_add_nc_u32_e32 v8, 20, v22
	v_add_nc_u32_e32 v10, 19, v22
	s_delay_alu instid0(VALU_DEP_2) | instskip(NEXT) | instid1(VALU_DEP_2)
	v_lshlrev_b64 v[8:9], v8, -1
	v_lshlrev_b64 v[10:11], v10, 1
	s_delay_alu instid0(VALU_DEP_2) | instskip(NEXT) | instid1(VALU_DEP_3)
	v_not_b32_e32 v9, v9
	v_not_b32_e32 v8, v8
	s_delay_alu instid0(VALU_DEP_2) | instskip(NEXT) | instid1(VALU_DEP_2)
	v_and_b32_e32 v24, 0, v9
	v_and_b32_e32 v23, v4, v8
	v_lshrrev_b64 v[8:9], v22, v[4:5]
	s_delay_alu instid0(VALU_DEP_2) | instskip(NEXT) | instid1(VALU_DEP_2)
	v_cmp_eq_u64_e64 s0, v[23:24], v[10:11]
	v_dual_mov_b32 v11, v9 :: v_dual_mov_b32 v10, v8
	s_delay_alu instid0(VALU_DEP_2)
	s_and_saveexec_b32 s36, s0
; %bb.32:                               ;   in Loop: Header=BB65_10 Depth=1
	v_bfe_u32 v4, v8, 20, 1
	s_delay_alu instid0(VALU_DEP_1) | instskip(NEXT) | instid1(VALU_DEP_1)
	v_add_co_u32 v4, s0, v8, v4
	v_add_co_u32 v10, s0, v4, -1
; %bb.33:                               ;   in Loop: Header=BB65_10 Depth=1
	s_or_b32 exec_lo, exec_lo, s36
	v_add_nc_u32_e32 v4, 0xffffff81, v21
	v_lshrrev_b32_e32 v11, 23, v8
	s_mov_b32 s0, exec_lo
	s_delay_alu instid0(VALU_DEP_2) | instskip(NEXT) | instid1(VALU_DEP_1)
	v_cndmask_b32_e64 v4, v4, 0xffffff82, vcc_lo
	v_add3_u32 v11, v22, v4, v11
	v_and_b32_e32 v4, 0xfffff, v10
	s_delay_alu instid0(VALU_DEP_2) | instskip(NEXT) | instid1(VALU_DEP_2)
	v_add_nc_u32_e32 v10, 6, v11
	v_add_co_u32 v8, vcc_lo, v4, v8
	v_add_co_ci_u32_e32 v9, vcc_lo, 0, v9, vcc_lo
                                        ; implicit-def: $vgpr4
	s_delay_alu instid0(VALU_DEP_3)
	v_cmpx_ne_u32_e32 0, v10
	s_xor_b32 s0, exec_lo, s0
; %bb.34:                               ;   in Loop: Header=BB65_10 Depth=1
	s_delay_alu instid0(VALU_DEP_2) | instskip(SKIP_1) | instid1(VALU_DEP_1)
	v_cmp_lt_u64_e32 vcc_lo, 0xffffff, v[8:9]
	v_add_nc_u32_e32 v4, 7, v11
	v_cndmask_b32_e32 v4, v10, v4, vcc_lo
	v_cndmask_b32_e64 v10, 0, 1, vcc_lo
	s_delay_alu instid0(VALU_DEP_1)
	v_lshrrev_b64 v[8:9], v10, v[8:9]
; %bb.35:                               ;   in Loop: Header=BB65_10 Depth=1
	s_and_not1_saveexec_b32 s0, s0
; %bb.36:                               ;   in Loop: Header=BB65_10 Depth=1
	s_delay_alu instid0(VALU_DEP_1)
	v_bfe_u32 v4, v8, 23, 1
; %bb.37:                               ;   in Loop: Header=BB65_10 Depth=1
	s_or_b32 exec_lo, exec_lo, s0
	s_delay_alu instid0(VALU_DEP_2) | instskip(NEXT) | instid1(VALU_DEP_2)
	v_lshrrev_b64 v[8:9], 20, v[8:9]
	v_cmp_gt_i32_e32 vcc_lo, 16, v4
	v_cmp_ne_u32_e64 s0, 0, v4
	s_delay_alu instid0(VALU_DEP_3) | instskip(NEXT) | instid1(VALU_DEP_1)
	v_dual_cndmask_b32 v9, 0, v9 :: v_dual_cndmask_b32 v8, 7, v8
	v_cmp_ne_u64_e32 vcc_lo, 0, v[8:9]
                                        ; implicit-def: $vgpr9
	s_delay_alu instid0(VALU_DEP_3) | instskip(NEXT) | instid1(SALU_CYCLE_1)
	s_or_b32 s0, s0, vcc_lo
	s_and_saveexec_b32 s36, s0
	s_delay_alu instid0(SALU_CYCLE_1)
	s_xor_b32 s0, exec_lo, s36
; %bb.38:                               ;   in Loop: Header=BB65_10 Depth=1
	v_min_i32_e32 v4, 15, v4
	s_delay_alu instid0(VALU_DEP_1) | instskip(NEXT) | instid1(VALU_DEP_1)
	v_lshl_or_b32 v4, v4, 3, v20
                                        ; implicit-def: $vgpr20
	v_and_or_b32 v9, v8, 7, v4
; %bb.39:                               ;   in Loop: Header=BB65_10 Depth=1
	s_and_not1_saveexec_b32 s0, s0
; %bb.40:                               ;   in Loop: Header=BB65_10 Depth=1
	v_mov_b32_e32 v9, v20
; %bb.41:                               ;   in Loop: Header=BB65_10 Depth=1
	s_or_b32 exec_lo, exec_lo, s0
.LBB65_42:                              ;   in Loop: Header=BB65_10 Depth=1
	s_delay_alu instid0(SALU_CYCLE_1)
	s_or_b32 exec_lo, exec_lo, s31
.LBB65_43:                              ;   in Loop: Header=BB65_10 Depth=1
	s_and_not1_saveexec_b32 s0, s27
	s_delay_alu instid0(SALU_CYCLE_1)
	s_or_b32 exec_lo, exec_lo, s0
                                        ; implicit-def: $vgpr11
.LBB65_44:                              ;   in Loop: Header=BB65_10 Depth=1
	s_and_not1_saveexec_b32 s0, s21
	s_cbranch_execz .LBB65_9
; %bb.45:                               ;   in Loop: Header=BB65_10 Depth=1
	v_cmp_eq_u64_e32 vcc_lo, 0, v[4:5]
	v_or_b32_e32 v8, 0x7f, v11
	s_delay_alu instid0(VALU_DEP_1)
	v_cndmask_b32_e32 v9, v8, v9, vcc_lo
	s_branch .LBB65_9
.LBB65_46:
	s_or_b32 exec_lo, exec_lo, s35
	s_delay_alu instid0(SALU_CYCLE_1)
	s_mov_b32 s0, exec_lo
	v_cmpx_gt_i32_e64 s6, v1
	s_cbranch_execz .LBB65_67
; %bb.47:
	s_mul_i32 s1, s16, s11
	s_mul_hi_u32 s8, s16, s10
	s_mul_i32 s0, s16, s10
	s_add_i32 s1, s8, s1
	v_mov_b32_e32 v4, 0
	s_lshl_b64 s[8:9], s[0:1], 1
	s_load_b32 s0, s[2:3], 0x8c
	s_waitcnt lgkmcnt(0)
	s_load_b32 s3, s[24:25], 0x0
	s_add_u32 s1, s14, s8
	s_addc_u32 s2, s15, s9
	s_ashr_i32 s4, s4, 31
	s_delay_alu instid0(SALU_CYCLE_1) | instskip(NEXT) | instid1(SALU_CYCLE_1)
	s_mul_i32 s4, s22, s4
	s_add_i32 s4, s29, s4
	s_delay_alu instid0(SALU_CYCLE_1) | instskip(SKIP_3) | instid1(SALU_CYCLE_1)
	s_add_i32 s4, s4, s33
	s_add_u32 s8, s18, s34
	s_addc_u32 s9, s19, s4
	s_ashr_i32 s4, s5, 31
	s_mul_i32 s7, s7, s4
	s_delay_alu instid0(SALU_CYCLE_1) | instskip(NEXT) | instid1(SALU_CYCLE_1)
	s_add_i32 s4, s28, s7
	s_add_i32 s5, s4, s17
	s_add_u32 s4, s8, s23
	s_addc_u32 s5, s9, s5
	s_and_b32 s7, s0, 0xffff
	s_mov_b32 s8, 0
	s_branch .LBB65_49
.LBB65_48:                              ;   in Loop: Header=BB65_49 Depth=1
	s_or_b32 exec_lo, exec_lo, s0
	v_add_co_u32 v7, vcc_lo, s4, v1
	v_add_nc_u32_e32 v1, s7, v1
	v_add_co_ci_u32_e32 v8, vcc_lo, s5, v2, vcc_lo
	s_delay_alu instid0(VALU_DEP_2) | instskip(SKIP_2) | instid1(SALU_CYCLE_1)
	v_cmp_le_i32_e32 vcc_lo, s6, v1
	global_store_b8 v[7:8], v6, off
	s_or_b32 s8, vcc_lo, s8
	s_and_not1_b32 exec_lo, exec_lo, s8
	s_cbranch_execz .LBB65_67
.LBB65_49:                              ; =>This Inner Loop Header: Depth=1
	v_ashrrev_i32_e32 v2, 31, v1
	s_mov_b32 s0, exec_lo
	v_mov_b32_e32 v9, v4
	s_delay_alu instid0(VALU_DEP_2) | instskip(NEXT) | instid1(VALU_DEP_1)
	v_lshlrev_b64 v[5:6], 1, v[1:2]
	v_add_co_u32 v5, vcc_lo, s1, v5
	s_delay_alu instid0(VALU_DEP_2) | instskip(SKIP_3) | instid1(VALU_DEP_1)
	v_add_co_ci_u32_e32 v6, vcc_lo, s2, v6, vcc_lo
	global_load_b32 v0, v[5:6], off
	s_waitcnt vmcnt(0) lgkmcnt(0)
	v_div_scale_f32 v3, null, s3, s3, v0
	v_rcp_f32_e32 v5, v3
	s_waitcnt_depctr 0xfff
	v_fma_f32 v6, -v3, v5, 1.0
	s_delay_alu instid0(VALU_DEP_1) | instskip(SKIP_1) | instid1(VALU_DEP_1)
	v_fmac_f32_e32 v5, v6, v5
	v_div_scale_f32 v6, vcc_lo, v0, s3, v0
	v_mul_f32_e32 v7, v6, v5
	s_delay_alu instid0(VALU_DEP_1) | instskip(NEXT) | instid1(VALU_DEP_1)
	v_fma_f32 v8, -v3, v7, v6
	v_fmac_f32_e32 v7, v8, v5
	s_delay_alu instid0(VALU_DEP_1) | instskip(NEXT) | instid1(VALU_DEP_1)
	v_fma_f32 v3, -v3, v7, v6
	v_div_fmas_f32 v3, v3, v5, v7
	s_delay_alu instid0(VALU_DEP_1) | instskip(NEXT) | instid1(VALU_DEP_1)
	v_div_fixup_f32 v5, v3, s3, v0
	v_lshrrev_b32_e32 v7, 24, v5
	v_and_b32_e32 v8, 0x7f800000, v5
	v_and_b32_e32 v3, 0x7fffff, v5
	s_delay_alu instid0(VALU_DEP_3) | instskip(NEXT) | instid1(VALU_DEP_1)
	v_and_b32_e32 v0, 0x80, v7
	v_or_b32_e32 v6, 0x7e, v0
	s_delay_alu instid0(VALU_DEP_4)
	v_cmpx_ne_u64_e32 0x7f800000, v[8:9]
	s_xor_b32 s9, exec_lo, s0
	s_cbranch_execz .LBB65_65
; %bb.50:                               ;   in Loop: Header=BB65_49 Depth=1
	v_dual_mov_b32 v8, v4 :: v_dual_and_b32 v7, 0x7fffffff, v5
	s_mov_b32 s0, exec_lo
	s_delay_alu instid0(VALU_DEP_1)
	v_cmpx_gt_u64_e32 0x43e00001, v[7:8]
	s_xor_b32 s10, exec_lo, s0
	s_cbranch_execz .LBB65_64
; %bb.51:                               ;   in Loop: Header=BB65_49 Depth=1
	v_mov_b32_e32 v6, 0
	s_mov_b32 s11, exec_lo
	v_cmpx_ne_u32_e32 0, v5
	s_cbranch_execz .LBB65_63
; %bb.52:                               ;   in Loop: Header=BB65_49 Depth=1
	v_bfe_u32 v9, v5, 23, 8
	v_or_b32_e32 v7, 0x800000, v3
	s_delay_alu instid0(VALU_DEP_2) | instskip(SKIP_1) | instid1(VALU_DEP_2)
	v_sub_nc_u32_e32 v5, 0x79, v9
	v_cmp_gt_u32_e32 vcc_lo, 0x7a, v9
	v_cndmask_b32_e32 v5, 0, v5, vcc_lo
	v_cmp_eq_u32_e32 vcc_lo, 0, v9
	s_delay_alu instid0(VALU_DEP_2) | instskip(SKIP_1) | instid1(VALU_DEP_2)
	v_cndmask_b32_e64 v10, v5, 0x78, vcc_lo
	v_cndmask_b32_e32 v3, v7, v3, vcc_lo
	v_add_nc_u32_e32 v5, 20, v10
	v_add_nc_u32_e32 v7, 19, v10
	s_delay_alu instid0(VALU_DEP_2) | instskip(NEXT) | instid1(VALU_DEP_2)
	v_lshlrev_b64 v[5:6], v5, -1
	v_lshlrev_b64 v[7:8], v7, 1
	s_delay_alu instid0(VALU_DEP_2) | instskip(NEXT) | instid1(VALU_DEP_3)
	v_not_b32_e32 v6, v6
	v_not_b32_e32 v5, v5
	s_delay_alu instid0(VALU_DEP_2) | instskip(NEXT) | instid1(VALU_DEP_2)
	v_and_b32_e32 v12, 0, v6
	v_and_b32_e32 v11, v3, v5
	v_lshrrev_b64 v[5:6], v10, v[3:4]
	s_delay_alu instid0(VALU_DEP_2) | instskip(NEXT) | instid1(VALU_DEP_2)
	v_cmp_eq_u64_e64 s0, v[11:12], v[7:8]
	v_dual_mov_b32 v8, v6 :: v_dual_mov_b32 v7, v5
	s_delay_alu instid0(VALU_DEP_2)
	s_and_saveexec_b32 s12, s0
; %bb.53:                               ;   in Loop: Header=BB65_49 Depth=1
	v_bfe_u32 v3, v5, 20, 1
	s_delay_alu instid0(VALU_DEP_1) | instskip(NEXT) | instid1(VALU_DEP_1)
	v_add_co_u32 v3, s0, v5, v3
	v_add_co_u32 v7, s0, v3, -1
; %bb.54:                               ;   in Loop: Header=BB65_49 Depth=1
	s_or_b32 exec_lo, exec_lo, s12
	v_add_nc_u32_e32 v3, 0xffffff81, v9
	v_lshrrev_b32_e32 v8, 23, v5
	s_mov_b32 s0, exec_lo
	s_delay_alu instid0(VALU_DEP_2) | instskip(NEXT) | instid1(VALU_DEP_1)
	v_cndmask_b32_e64 v3, v3, 0xffffff82, vcc_lo
	v_add3_u32 v8, v10, v3, v8
	v_and_b32_e32 v3, 0xfffff, v7
	s_delay_alu instid0(VALU_DEP_2) | instskip(NEXT) | instid1(VALU_DEP_2)
	v_add_nc_u32_e32 v7, 6, v8
	v_add_co_u32 v5, vcc_lo, v3, v5
	v_add_co_ci_u32_e32 v6, vcc_lo, 0, v6, vcc_lo
                                        ; implicit-def: $vgpr3
	s_delay_alu instid0(VALU_DEP_3)
	v_cmpx_ne_u32_e32 0, v7
	s_xor_b32 s0, exec_lo, s0
; %bb.55:                               ;   in Loop: Header=BB65_49 Depth=1
	s_delay_alu instid0(VALU_DEP_2) | instskip(SKIP_1) | instid1(VALU_DEP_1)
	v_cmp_lt_u64_e32 vcc_lo, 0xffffff, v[5:6]
	v_add_nc_u32_e32 v3, 7, v8
	v_cndmask_b32_e32 v3, v7, v3, vcc_lo
	v_cndmask_b32_e64 v7, 0, 1, vcc_lo
	s_delay_alu instid0(VALU_DEP_1)
	v_lshrrev_b64 v[5:6], v7, v[5:6]
; %bb.56:                               ;   in Loop: Header=BB65_49 Depth=1
	s_and_not1_saveexec_b32 s0, s0
; %bb.57:                               ;   in Loop: Header=BB65_49 Depth=1
	s_delay_alu instid0(VALU_DEP_1)
	v_bfe_u32 v3, v5, 23, 1
; %bb.58:                               ;   in Loop: Header=BB65_49 Depth=1
	s_or_b32 exec_lo, exec_lo, s0
	s_delay_alu instid0(VALU_DEP_2) | instskip(NEXT) | instid1(VALU_DEP_2)
	v_lshrrev_b64 v[5:6], 20, v[5:6]
	v_cmp_gt_i32_e32 vcc_lo, 16, v3
	v_cmp_ne_u32_e64 s0, 0, v3
	s_delay_alu instid0(VALU_DEP_3) | instskip(NEXT) | instid1(VALU_DEP_1)
	v_dual_cndmask_b32 v6, 0, v6 :: v_dual_cndmask_b32 v5, 7, v5
	v_cmp_ne_u64_e32 vcc_lo, 0, v[5:6]
                                        ; implicit-def: $vgpr6
	s_delay_alu instid0(VALU_DEP_3) | instskip(NEXT) | instid1(SALU_CYCLE_1)
	s_or_b32 s0, s0, vcc_lo
	s_and_saveexec_b32 s12, s0
	s_delay_alu instid0(SALU_CYCLE_1)
	s_xor_b32 s0, exec_lo, s12
; %bb.59:                               ;   in Loop: Header=BB65_49 Depth=1
	v_min_i32_e32 v3, 15, v3
	s_delay_alu instid0(VALU_DEP_1) | instskip(NEXT) | instid1(VALU_DEP_1)
	v_lshl_or_b32 v0, v3, 3, v0
	v_and_or_b32 v6, v5, 7, v0
                                        ; implicit-def: $vgpr0
; %bb.60:                               ;   in Loop: Header=BB65_49 Depth=1
	s_and_not1_saveexec_b32 s0, s0
; %bb.61:                               ;   in Loop: Header=BB65_49 Depth=1
	v_mov_b32_e32 v6, v0
; %bb.62:                               ;   in Loop: Header=BB65_49 Depth=1
	s_or_b32 exec_lo, exec_lo, s0
.LBB65_63:                              ;   in Loop: Header=BB65_49 Depth=1
	s_delay_alu instid0(SALU_CYCLE_1)
	s_or_b32 exec_lo, exec_lo, s11
.LBB65_64:                              ;   in Loop: Header=BB65_49 Depth=1
	s_and_not1_saveexec_b32 s0, s10
	s_delay_alu instid0(SALU_CYCLE_1)
	s_or_b32 exec_lo, exec_lo, s0
                                        ; implicit-def: $vgpr7
.LBB65_65:                              ;   in Loop: Header=BB65_49 Depth=1
	s_and_not1_saveexec_b32 s0, s9
	s_cbranch_execz .LBB65_48
; %bb.66:                               ;   in Loop: Header=BB65_49 Depth=1
	v_cmp_eq_u64_e32 vcc_lo, 0, v[3:4]
	v_or_b32_e32 v0, 0x7f, v7
	s_delay_alu instid0(VALU_DEP_1)
	v_cndmask_b32_e32 v6, v0, v6, vcc_lo
	s_branch .LBB65_48
.LBB65_67:
	s_nop 0
	s_sendmsg sendmsg(MSG_DEALLOC_VGPRS)
	s_endpgm
.LBB65_68:
                                        ; implicit-def: $sgpr22_sgpr23
	s_branch .LBB65_6
	.section	.rodata,"a",@progbits
	.p2align	6, 0x0
	.amdhsa_kernel _ZN4vllm38concat_and_cache_mla_rope_fused_kernelIN3c104HalfENS1_8BFloat16ELb0EfhLNS_18Fp8KVCacheDataTypeE1EEEvPKlPT_S8_PKS7_PKT0_illlliPT3_S6_iiiiPKf
		.amdhsa_group_segment_fixed_size 4096
		.amdhsa_private_segment_fixed_size 0
		.amdhsa_kernarg_size 384
		.amdhsa_user_sgpr_count 15
		.amdhsa_user_sgpr_dispatch_ptr 1
		.amdhsa_user_sgpr_queue_ptr 0
		.amdhsa_user_sgpr_kernarg_segment_ptr 1
		.amdhsa_user_sgpr_dispatch_id 0
		.amdhsa_user_sgpr_private_segment_size 0
		.amdhsa_wavefront_size32 1
		.amdhsa_uses_dynamic_stack 0
		.amdhsa_enable_private_segment 0
		.amdhsa_system_sgpr_workgroup_id_x 1
		.amdhsa_system_sgpr_workgroup_id_y 0
		.amdhsa_system_sgpr_workgroup_id_z 0
		.amdhsa_system_sgpr_workgroup_info 0
		.amdhsa_system_vgpr_workitem_id 2
		.amdhsa_next_free_vgpr 25
		.amdhsa_next_free_sgpr 45
		.amdhsa_reserve_vcc 1
		.amdhsa_float_round_mode_32 0
		.amdhsa_float_round_mode_16_64 0
		.amdhsa_float_denorm_mode_32 3
		.amdhsa_float_denorm_mode_16_64 3
		.amdhsa_dx10_clamp 1
		.amdhsa_ieee_mode 1
		.amdhsa_fp16_overflow 0
		.amdhsa_workgroup_processor_mode 1
		.amdhsa_memory_ordered 1
		.amdhsa_forward_progress 0
		.amdhsa_shared_vgpr_count 0
		.amdhsa_exception_fp_ieee_invalid_op 0
		.amdhsa_exception_fp_denorm_src 0
		.amdhsa_exception_fp_ieee_div_zero 0
		.amdhsa_exception_fp_ieee_overflow 0
		.amdhsa_exception_fp_ieee_underflow 0
		.amdhsa_exception_fp_ieee_inexact 0
		.amdhsa_exception_int_div_zero 0
	.end_amdhsa_kernel
	.section	.text._ZN4vllm38concat_and_cache_mla_rope_fused_kernelIN3c104HalfENS1_8BFloat16ELb0EfhLNS_18Fp8KVCacheDataTypeE1EEEvPKlPT_S8_PKS7_PKT0_illlliPT3_S6_iiiiPKf,"axG",@progbits,_ZN4vllm38concat_and_cache_mla_rope_fused_kernelIN3c104HalfENS1_8BFloat16ELb0EfhLNS_18Fp8KVCacheDataTypeE1EEEvPKlPT_S8_PKS7_PKT0_illlliPT3_S6_iiiiPKf,comdat
.Lfunc_end65:
	.size	_ZN4vllm38concat_and_cache_mla_rope_fused_kernelIN3c104HalfENS1_8BFloat16ELb0EfhLNS_18Fp8KVCacheDataTypeE1EEEvPKlPT_S8_PKS7_PKT0_illlliPT3_S6_iiiiPKf, .Lfunc_end65-_ZN4vllm38concat_and_cache_mla_rope_fused_kernelIN3c104HalfENS1_8BFloat16ELb0EfhLNS_18Fp8KVCacheDataTypeE1EEEvPKlPT_S8_PKS7_PKT0_illlliPT3_S6_iiiiPKf
                                        ; -- End function
	.section	.AMDGPU.csdata,"",@progbits
; Kernel info:
; codeLenInByte = 4528
; NumSgprs: 47
; NumVgprs: 25
; ScratchSize: 0
; MemoryBound: 0
; FloatMode: 240
; IeeeMode: 1
; LDSByteSize: 4096 bytes/workgroup (compile time only)
; SGPRBlocks: 5
; VGPRBlocks: 3
; NumSGPRsForWavesPerEU: 47
; NumVGPRsForWavesPerEU: 25
; Occupancy: 16
; WaveLimiterHint : 1
; COMPUTE_PGM_RSRC2:SCRATCH_EN: 0
; COMPUTE_PGM_RSRC2:USER_SGPR: 15
; COMPUTE_PGM_RSRC2:TRAP_HANDLER: 0
; COMPUTE_PGM_RSRC2:TGID_X_EN: 1
; COMPUTE_PGM_RSRC2:TGID_Y_EN: 0
; COMPUTE_PGM_RSRC2:TGID_Z_EN: 0
; COMPUTE_PGM_RSRC2:TIDIG_COMP_CNT: 2
	.section	.text._ZN4vllm38concat_and_cache_mla_rope_fused_kernelIN3c108BFloat16EfLb1EfhLNS_18Fp8KVCacheDataTypeE1EEEvPKlPT_S7_PKS6_PKT0_illlliPT3_S5_iiiiPKf,"axG",@progbits,_ZN4vllm38concat_and_cache_mla_rope_fused_kernelIN3c108BFloat16EfLb1EfhLNS_18Fp8KVCacheDataTypeE1EEEvPKlPT_S7_PKS6_PKT0_illlliPT3_S5_iiiiPKf,comdat
	.protected	_ZN4vllm38concat_and_cache_mla_rope_fused_kernelIN3c108BFloat16EfLb1EfhLNS_18Fp8KVCacheDataTypeE1EEEvPKlPT_S7_PKS6_PKT0_illlliPT3_S5_iiiiPKf ; -- Begin function _ZN4vllm38concat_and_cache_mla_rope_fused_kernelIN3c108BFloat16EfLb1EfhLNS_18Fp8KVCacheDataTypeE1EEEvPKlPT_S7_PKS6_PKT0_illlliPT3_S5_iiiiPKf
	.globl	_ZN4vllm38concat_and_cache_mla_rope_fused_kernelIN3c108BFloat16EfLb1EfhLNS_18Fp8KVCacheDataTypeE1EEEvPKlPT_S7_PKS6_PKT0_illlliPT3_S5_iiiiPKf
	.p2align	8
	.type	_ZN4vllm38concat_and_cache_mla_rope_fused_kernelIN3c108BFloat16EfLb1EfhLNS_18Fp8KVCacheDataTypeE1EEEvPKlPT_S7_PKS6_PKT0_illlliPT3_S5_iiiiPKf,@function
_ZN4vllm38concat_and_cache_mla_rope_fused_kernelIN3c108BFloat16EfLb1EfhLNS_18Fp8KVCacheDataTypeE1EEEvPKlPT_S7_PKS6_PKT0_illlliPT3_S5_iiiiPKf: ; @_ZN4vllm38concat_and_cache_mla_rope_fused_kernelIN3c108BFloat16EfLb1EfhLNS_18Fp8KVCacheDataTypeE1EEEvPKlPT_S7_PKS6_PKT0_illlliPT3_S5_iiiiPKf
; %bb.0:
	s_load_b64 s[6:7], s[2:3], 0x60
	s_mov_b32 s16, s15
	s_mov_b32 s17, 0
	s_delay_alu instid0(SALU_CYCLE_1)
	s_lshl_b64 s[4:5], s[16:17], 3
	s_waitcnt lgkmcnt(0)
	s_add_u32 s6, s6, s4
	s_addc_u32 s7, s7, s5
	s_load_b64 s[30:31], s[6:7], 0x0
	s_waitcnt lgkmcnt(0)
	v_cmp_lt_i64_e64 s6, s[30:31], 0
	s_delay_alu instid0(VALU_DEP_1)
	s_and_b32 vcc_lo, exec_lo, s6
	s_cbranch_vccnz .LBB66_67
; %bb.1:
	s_clause 0x3
	s_load_b32 s21, s[2:3], 0x28
	s_load_b64 s[6:7], s[2:3], 0x0
	s_load_b128 s[12:15], s[2:3], 0x10
	s_load_b32 s17, s[2:3], 0x50
	v_and_b32_e32 v1, 0x3ff, v0
	s_mov_b32 s33, exec_lo
	s_waitcnt lgkmcnt(0)
	s_ashr_i32 s24, s21, 31
	s_add_u32 s4, s6, s4
	s_addc_u32 s5, s7, s5
	s_lshr_b32 s20, s21, 31
	s_load_b64 s[22:23], s[4:5], 0x0
	s_clause 0x2
	s_load_b64 s[26:27], s[2:3], 0x20
	s_load_b64 s[18:19], s[2:3], 0x58
	s_load_b256 s[4:11], s[2:3], 0x30
	s_add_i32 s20, s21, s20
	s_delay_alu instid0(SALU_CYCLE_1) | instskip(NEXT) | instid1(SALU_CYCLE_1)
	s_ashr_i32 s20, s20, 1
	s_mul_i32 s17, s20, s17
	s_waitcnt lgkmcnt(0)
	s_mul_i32 s24, s22, s24
	s_mul_hi_u32 s25, s22, s21
	s_mul_i32 s23, s23, s21
	s_add_i32 s24, s25, s24
	s_mul_i32 s28, s22, s21
	s_add_i32 s29, s24, s23
	v_cmpx_gt_i32_e64 s17, v1
	s_cbranch_execz .LBB66_4
; %bb.2:
	s_load_b64 s[22:23], s[2:3], 0x8
	s_lshl_b64 s[24:25], s[28:29], 2
	s_mul_i32 s5, s16, s5
	s_mul_hi_u32 s21, s16, s4
	s_add_u32 s34, s26, s24
	s_load_b32 s24, s[2:3], 0x8c
	s_mul_i32 s4, s16, s4
	s_addc_u32 s35, s27, s25
	s_add_i32 s5, s21, s5
	s_ashr_i32 s21, s20, 31
	s_lshl_b64 s[4:5], s[4:5], 1
	s_mov_b32 s39, 0
	s_waitcnt lgkmcnt(0)
	s_add_u32 s36, s22, s4
	s_addc_u32 s37, s23, s5
	s_abs_i32 s38, s20
	s_sub_i32 s41, 0, s20
	v_cvt_f32_u32_e32 v2, s38
	s_sub_i32 s4, 0, s38
	s_and_b32 s40, s24, 0xffff
	s_lshl_b64 s[22:23], s[20:21], 2
	s_lshl_b64 s[24:25], s[20:21], 1
	v_rcp_iflag_f32_e32 v2, v2
	s_waitcnt_depctr 0xfff
	v_mul_f32_e32 v2, 0x4f7ffffe, v2
	s_delay_alu instid0(VALU_DEP_1) | instskip(NEXT) | instid1(VALU_DEP_1)
	v_cvt_u32_f32_e32 v2, v2
	v_mul_lo_u32 v3, s4, v2
	s_delay_alu instid0(VALU_DEP_1) | instskip(NEXT) | instid1(VALU_DEP_1)
	v_mul_hi_u32 v3, v2, v3
	v_dual_mov_b32 v2, v1 :: v_dual_add_nc_u32 v3, v2, v3
.LBB66_3:                               ; =>This Inner Loop Header: Depth=1
	s_delay_alu instid0(VALU_DEP_1) | instskip(SKIP_1) | instid1(VALU_DEP_2)
	v_sub_nc_u32_e32 v4, 0, v2
	v_ashrrev_i32_e32 v5, 31, v2
	v_max_i32_e32 v4, v2, v4
	s_delay_alu instid0(VALU_DEP_2) | instskip(NEXT) | instid1(VALU_DEP_2)
	v_xor_b32_e32 v5, s21, v5
	v_mul_hi_u32 v6, v4, v3
	s_delay_alu instid0(VALU_DEP_1) | instskip(SKIP_1) | instid1(VALU_DEP_2)
	v_mul_lo_u32 v7, v6, s38
	v_add_nc_u32_e32 v8, 1, v6
	v_sub_nc_u32_e32 v4, v4, v7
	s_delay_alu instid0(VALU_DEP_1) | instskip(SKIP_1) | instid1(VALU_DEP_4)
	v_subrev_nc_u32_e32 v7, s38, v4
	v_cmp_le_u32_e32 vcc_lo, s38, v4
	v_cndmask_b32_e32 v6, v6, v8, vcc_lo
	s_delay_alu instid0(VALU_DEP_1) | instskip(NEXT) | instid1(VALU_DEP_1)
	v_dual_cndmask_b32 v4, v4, v7 :: v_dual_add_nc_u32 v7, 1, v6
	v_cmp_le_u32_e32 vcc_lo, s38, v4
	s_delay_alu instid0(VALU_DEP_2) | instskip(NEXT) | instid1(VALU_DEP_1)
	v_cndmask_b32_e32 v4, v6, v7, vcc_lo
	v_xor_b32_e32 v4, v4, v5
	s_delay_alu instid0(VALU_DEP_1) | instskip(NEXT) | instid1(VALU_DEP_1)
	v_sub_nc_u32_e32 v8, v4, v5
	v_ashrrev_i32_e32 v9, 31, v8
	v_mad_u64_u32 v[4:5], null, s41, v8, v[2:3]
	v_mul_lo_u32 v10, v8, s7
	v_mad_u64_u32 v[6:7], null, v8, s6, 0
	s_delay_alu instid0(VALU_DEP_4) | instskip(SKIP_2) | instid1(VALU_DEP_3)
	v_mul_lo_u32 v8, v9, s6
	v_add_nc_u32_e32 v2, s40, v2
	v_ashrrev_i32_e32 v5, 31, v4
	v_add3_u32 v7, v7, v10, v8
	s_delay_alu instid0(VALU_DEP_2) | instskip(SKIP_1) | instid1(VALU_DEP_3)
	v_lshlrev_b64 v[8:9], 2, v[4:5]
	v_lshlrev_b64 v[4:5], 1, v[4:5]
	;; [unrolled: 1-line block ×3, first 2 shown]
	s_delay_alu instid0(VALU_DEP_3) | instskip(NEXT) | instid1(VALU_DEP_4)
	v_add_co_u32 v8, vcc_lo, s34, v8
	v_add_co_ci_u32_e32 v9, vcc_lo, s35, v9, vcc_lo
	global_load_b32 v10, v[8:9], off
	v_add_co_u32 v8, vcc_lo, v8, s22
	v_add_co_ci_u32_e32 v9, vcc_lo, s23, v9, vcc_lo
	v_add_co_u32 v6, vcc_lo, s36, v6
	v_add_co_ci_u32_e32 v7, vcc_lo, s37, v7, vcc_lo
	global_load_b32 v8, v[8:9], off
	v_add_co_u32 v4, vcc_lo, v6, v4
	v_add_co_ci_u32_e32 v5, vcc_lo, v7, v5, vcc_lo
	s_delay_alu instid0(VALU_DEP_2) | instskip(NEXT) | instid1(VALU_DEP_2)
	v_add_co_u32 v6, vcc_lo, v4, s24
	v_add_co_ci_u32_e32 v7, vcc_lo, s25, v5, vcc_lo
	s_clause 0x1
	global_load_u16 v9, v[4:5], off
	global_load_u16 v11, v[6:7], off
	s_waitcnt vmcnt(3)
	v_bfe_u32 v12, v10, 16, 1
	v_cmp_o_f32_e32 vcc_lo, v10, v10
	s_delay_alu instid0(VALU_DEP_2) | instskip(SKIP_2) | instid1(VALU_DEP_2)
	v_add3_u32 v12, v10, v12, 0x7fff
	s_waitcnt vmcnt(2)
	v_bfe_u32 v13, v8, 16, 1
	v_and_b32_e32 v12, 0xffff0000, v12
	s_delay_alu instid0(VALU_DEP_2) | instskip(NEXT) | instid1(VALU_DEP_2)
	v_add3_u32 v13, v8, v13, 0x7fff
	v_cndmask_b32_e32 v10, 0x7fc00000, v12, vcc_lo
	v_cmp_o_f32_e32 vcc_lo, v8, v8
	s_delay_alu instid0(VALU_DEP_3) | instskip(SKIP_3) | instid1(VALU_DEP_2)
	v_and_b32_e32 v12, 0xffff0000, v13
	s_waitcnt vmcnt(1)
	v_lshlrev_b32_e32 v9, 16, v9
	s_waitcnt vmcnt(0)
	v_dual_cndmask_b32 v12, 0x7fc00000, v12 :: v_dual_lshlrev_b32 v11, 16, v11
	s_delay_alu instid0(VALU_DEP_2) | instskip(NEXT) | instid1(VALU_DEP_2)
	v_mul_f32_e32 v8, v10, v9
	v_mul_f32_e32 v9, v12, v9
	s_delay_alu instid0(VALU_DEP_2) | instskip(SKIP_1) | instid1(VALU_DEP_3)
	v_bfe_u32 v13, v8, 16, 1
	v_cmp_o_f32_e64 s4, v8, v8
	v_bfe_u32 v15, v9, 16, 1
	s_delay_alu instid0(VALU_DEP_3) | instskip(SKIP_2) | instid1(VALU_DEP_4)
	v_add3_u32 v13, v8, v13, 0x7fff
	v_mul_f32_e32 v10, v10, v11
	v_mul_f32_e32 v11, v12, v11
	v_add3_u32 v15, v9, v15, 0x7fff
	s_delay_alu instid0(VALU_DEP_4) | instskip(NEXT) | instid1(VALU_DEP_4)
	v_and_b32_e32 v13, 0xffff0000, v13
	v_bfe_u32 v12, v10, 16, 1
	s_delay_alu instid0(VALU_DEP_4) | instskip(SKIP_1) | instid1(VALU_DEP_3)
	v_bfe_u32 v14, v11, 16, 1
	v_cmp_o_f32_e32 vcc_lo, v10, v10
	v_add3_u32 v12, v10, v12, 0x7fff
	s_delay_alu instid0(VALU_DEP_3) | instskip(SKIP_4) | instid1(VALU_DEP_1)
	v_add3_u32 v14, v11, v14, 0x7fff
	v_cndmask_b32_e64 v10, 0x7fc00000, v13, s4
	v_and_b32_e32 v13, 0xffff0000, v15
	v_cmp_o_f32_e64 s4, v11, v11
	v_and_b32_e32 v12, 0xffff0000, v12
	v_cndmask_b32_e32 v12, 0x7fc00000, v12, vcc_lo
	v_cmp_o_f32_e32 vcc_lo, v9, v9
	v_cndmask_b32_e32 v9, 0x7fc00000, v13, vcc_lo
	v_and_b32_e32 v8, 0xffff0000, v14
	v_cmp_le_i32_e32 vcc_lo, s17, v2
	s_delay_alu instid0(VALU_DEP_3) | instskip(NEXT) | instid1(VALU_DEP_3)
	v_add_f32_e32 v9, v12, v9
	v_cndmask_b32_e64 v8, 0x7fc00000, v8, s4
	s_or_b32 s39, vcc_lo, s39
	s_delay_alu instid0(VALU_DEP_2) | instskip(NEXT) | instid1(VALU_DEP_2)
	v_bfe_u32 v11, v9, 16, 1
	v_sub_f32_e32 v8, v10, v8
	v_cmp_o_f32_e64 s4, v9, v9
	s_delay_alu instid0(VALU_DEP_3) | instskip(NEXT) | instid1(VALU_DEP_3)
	v_add3_u32 v11, v9, v11, 0x7fff
	v_bfe_u32 v10, v8, 16, 1
	v_cmp_o_f32_e64 s5, v8, v8
	s_delay_alu instid0(VALU_DEP_3) | instskip(NEXT) | instid1(VALU_DEP_3)
	v_lshrrev_b32_e32 v11, 16, v11
	v_add3_u32 v10, v8, v10, 0x7fff
	s_delay_alu instid0(VALU_DEP_2) | instskip(NEXT) | instid1(VALU_DEP_2)
	v_cndmask_b32_e64 v9, 0x7fc0, v11, s4
	v_lshrrev_b32_e32 v10, 16, v10
	s_delay_alu instid0(VALU_DEP_1)
	v_cndmask_b32_e64 v8, 0x7fc0, v10, s5
	s_clause 0x1
	global_store_b16 v[4:5], v8, off
	global_store_b16 v[6:7], v9, off
	s_and_not1_b32 exec_lo, exec_lo, s39
	s_cbranch_execnz .LBB66_3
.LBB66_4:
	s_or_b32 exec_lo, exec_lo, s33
	s_load_b128 s[4:7], s[2:3], 0x68
	s_waitcnt lgkmcnt(0)
	s_ashr_i32 s35, s7, 31
	s_mov_b32 s34, s7
	s_delay_alu instid0(SALU_CYCLE_1) | instskip(SKIP_1) | instid1(SALU_CYCLE_1)
	s_or_b64 s[24:25], s[30:31], s[34:35]
	s_mov_b32 s24, 0
	s_cmp_lg_u64 s[24:25], 0
	s_cbranch_scc0 .LBB66_68
; %bb.5:
	s_add_u32 s36, s34, s35
	s_mov_b32 s22, s35
	s_mov_b32 s23, s35
	s_addc_u32 s37, s35, s35
	s_delay_alu instid0(SALU_CYCLE_1) | instskip(NEXT) | instid1(SALU_CYCLE_1)
	s_xor_b64 s[36:37], s[36:37], s[22:23]
	v_cvt_f32_u32_e32 v2, s36
	v_cvt_f32_u32_e32 v3, s37
	s_sub_u32 s21, 0, s36
	s_subb_u32 s25, 0, s37
	s_delay_alu instid0(VALU_DEP_1) | instskip(NEXT) | instid1(VALU_DEP_1)
	v_fmamk_f32 v2, v3, 0x4f800000, v2
	v_rcp_f32_e32 v2, v2
	s_waitcnt_depctr 0xfff
	v_mul_f32_e32 v2, 0x5f7ffffc, v2
	s_delay_alu instid0(VALU_DEP_1) | instskip(NEXT) | instid1(VALU_DEP_1)
	v_mul_f32_e32 v3, 0x2f800000, v2
	v_trunc_f32_e32 v3, v3
	s_delay_alu instid0(VALU_DEP_1) | instskip(SKIP_1) | instid1(VALU_DEP_2)
	v_fmamk_f32 v2, v3, 0xcf800000, v2
	v_cvt_u32_f32_e32 v3, v3
	v_cvt_u32_f32_e32 v2, v2
	s_delay_alu instid0(VALU_DEP_2) | instskip(NEXT) | instid1(VALU_DEP_2)
	v_readfirstlane_b32 s7, v3
	v_readfirstlane_b32 s17, v2
	s_delay_alu instid0(VALU_DEP_2) | instskip(NEXT) | instid1(VALU_DEP_1)
	s_mul_i32 s33, s21, s7
	s_mul_hi_u32 s39, s21, s17
	s_mul_i32 s38, s25, s17
	s_add_i32 s33, s39, s33
	s_mul_i32 s40, s21, s17
	s_add_i32 s33, s33, s38
	s_mul_hi_u32 s39, s17, s40
	s_mul_hi_u32 s41, s7, s40
	s_mul_i32 s38, s7, s40
	s_mul_hi_u32 s40, s17, s33
	s_mul_i32 s17, s17, s33
	s_mul_hi_u32 s42, s7, s33
	s_add_u32 s17, s39, s17
	s_addc_u32 s39, 0, s40
	s_add_u32 s17, s17, s38
	s_mul_i32 s33, s7, s33
	s_addc_u32 s17, s39, s41
	s_addc_u32 s38, s42, 0
	s_add_u32 s17, s17, s33
	s_addc_u32 s33, 0, s38
	v_add_co_u32 v2, s17, v2, s17
	s_delay_alu instid0(VALU_DEP_1) | instskip(SKIP_1) | instid1(VALU_DEP_1)
	s_cmp_lg_u32 s17, 0
	s_addc_u32 s7, s7, s33
	v_readfirstlane_b32 s17, v2
	s_mul_i32 s33, s21, s7
	s_delay_alu instid0(VALU_DEP_1)
	s_mul_hi_u32 s38, s21, s17
	s_mul_i32 s25, s25, s17
	s_add_i32 s33, s38, s33
	s_mul_i32 s21, s21, s17
	s_add_i32 s33, s33, s25
	s_mul_hi_u32 s38, s7, s21
	s_mul_i32 s39, s7, s21
	s_mul_hi_u32 s21, s17, s21
	s_mul_hi_u32 s40, s17, s33
	s_mul_i32 s17, s17, s33
	s_mul_hi_u32 s25, s7, s33
	s_add_u32 s17, s21, s17
	s_addc_u32 s21, 0, s40
	s_add_u32 s17, s17, s39
	s_mul_i32 s33, s7, s33
	s_addc_u32 s17, s21, s38
	s_addc_u32 s21, s25, 0
	s_add_u32 s17, s17, s33
	s_addc_u32 s21, 0, s21
	v_add_co_u32 v2, s17, v2, s17
	s_delay_alu instid0(VALU_DEP_1) | instskip(SKIP_2) | instid1(VALU_DEP_1)
	s_cmp_lg_u32 s17, 0
	s_addc_u32 s7, s7, s21
	s_ashr_i32 s38, s31, 31
	v_readfirstlane_b32 s17, v2
	s_add_u32 s40, s30, s38
	s_mov_b32 s39, s38
	s_addc_u32 s41, s31, s38
	s_delay_alu instid0(SALU_CYCLE_1) | instskip(NEXT) | instid1(SALU_CYCLE_1)
	s_xor_b64 s[40:41], s[40:41], s[38:39]
	s_mul_i32 s25, s40, s7
	s_mul_hi_u32 s33, s40, s17
	s_mul_hi_u32 s21, s40, s7
	s_mul_hi_u32 s43, s41, s17
	s_mul_i32 s17, s41, s17
	s_add_u32 s25, s33, s25
	s_addc_u32 s21, 0, s21
	s_mul_hi_u32 s42, s41, s7
	s_add_u32 s17, s25, s17
	s_mul_i32 s7, s41, s7
	s_addc_u32 s17, s21, s43
	s_addc_u32 s21, s42, 0
	s_add_u32 s7, s17, s7
	s_addc_u32 s17, 0, s21
	s_mul_hi_u32 s21, s36, s7
	s_mul_i32 s33, s36, s17
	s_mul_i32 s42, s36, s7
	s_add_i32 s21, s21, s33
	v_sub_co_u32 v2, s33, s40, s42
	s_mul_i32 s25, s37, s7
	s_delay_alu instid0(SALU_CYCLE_1) | instskip(NEXT) | instid1(VALU_DEP_1)
	s_add_i32 s21, s21, s25
	v_sub_co_u32 v3, s40, v2, s36
	s_sub_i32 s25, s41, s21
	s_cmp_lg_u32 s33, 0
	s_subb_u32 s25, s25, s37
	s_cmp_lg_u32 s40, 0
	v_readfirstlane_b32 s40, v3
	s_subb_u32 s25, s25, 0
	s_delay_alu instid0(SALU_CYCLE_1) | instskip(SKIP_1) | instid1(VALU_DEP_1)
	s_cmp_ge_u32 s25, s37
	s_cselect_b32 s42, -1, 0
	s_cmp_ge_u32 s40, s36
	s_cselect_b32 s40, -1, 0
	s_cmp_eq_u32 s25, s37
	s_cselect_b32 s25, s40, s42
	s_add_u32 s40, s7, 1
	s_addc_u32 s42, s17, 0
	s_add_u32 s43, s7, 2
	s_addc_u32 s44, s17, 0
	s_cmp_lg_u32 s25, 0
	s_cselect_b32 s25, s43, s40
	s_cselect_b32 s40, s44, s42
	s_cmp_lg_u32 s33, 0
	v_readfirstlane_b32 s33, v2
	s_subb_u32 s21, s41, s21
	s_delay_alu instid0(SALU_CYCLE_1) | instskip(SKIP_1) | instid1(VALU_DEP_1)
	s_cmp_ge_u32 s21, s37
	s_cselect_b32 s41, -1, 0
	s_cmp_ge_u32 s33, s36
	s_cselect_b32 s33, -1, 0
	s_cmp_eq_u32 s21, s37
	s_cselect_b32 s21, s33, s41
	s_delay_alu instid0(SALU_CYCLE_1) | instskip(SKIP_3) | instid1(SALU_CYCLE_1)
	s_cmp_lg_u32 s21, 0
	s_cselect_b32 s37, s40, s17
	s_cselect_b32 s36, s25, s7
	s_xor_b64 s[22:23], s[38:39], s[22:23]
	s_xor_b64 s[36:37], s[36:37], s[22:23]
	s_delay_alu instid0(SALU_CYCLE_1)
	s_sub_u32 s22, s36, s22
	s_subb_u32 s23, s37, s23
	s_and_not1_b32 vcc_lo, exec_lo, s24
	s_cbranch_vccnz .LBB66_7
.LBB66_6:
	v_cvt_f32_u32_e32 v2, s34
	s_sub_i32 s17, 0, s34
	s_mov_b32 s23, 0
	s_delay_alu instid0(VALU_DEP_1) | instskip(SKIP_2) | instid1(VALU_DEP_1)
	v_rcp_iflag_f32_e32 v2, v2
	s_waitcnt_depctr 0xfff
	v_mul_f32_e32 v2, 0x4f7ffffe, v2
	v_cvt_u32_f32_e32 v2, v2
	s_delay_alu instid0(VALU_DEP_1) | instskip(NEXT) | instid1(VALU_DEP_1)
	v_readfirstlane_b32 s7, v2
	s_mul_i32 s17, s17, s7
	s_delay_alu instid0(SALU_CYCLE_1) | instskip(NEXT) | instid1(SALU_CYCLE_1)
	s_mul_hi_u32 s17, s7, s17
	s_add_i32 s7, s7, s17
	s_delay_alu instid0(SALU_CYCLE_1) | instskip(NEXT) | instid1(SALU_CYCLE_1)
	s_mul_hi_u32 s7, s30, s7
	s_mul_i32 s17, s7, s34
	s_add_i32 s21, s7, 1
	s_sub_i32 s17, s30, s17
	s_delay_alu instid0(SALU_CYCLE_1)
	s_sub_i32 s22, s17, s34
	s_cmp_ge_u32 s17, s34
	s_cselect_b32 s7, s21, s7
	s_cselect_b32 s17, s22, s17
	s_add_i32 s21, s7, 1
	s_cmp_ge_u32 s17, s34
	s_cselect_b32 s22, s21, s7
.LBB66_7:
	s_load_b64 s[24:25], s[2:3], 0x78
	s_mul_i32 s7, s22, s35
	s_mul_hi_u32 s17, s22, s34
	s_mul_i32 s21, s22, s34
	s_add_i32 s7, s17, s7
	s_mul_i32 s17, s23, s34
	s_mul_i32 s33, s23, s4
	s_add_i32 s17, s7, s17
	s_sub_u32 s7, s30, s21
	s_subb_u32 s17, s31, s17
	s_mul_hi_u32 s31, s22, s4
	s_mul_i32 s34, s22, s4
	s_mul_hi_u32 s30, s7, s5
	s_mul_i32 s17, s17, s5
	s_mul_i32 s23, s7, s5
	s_mov_b32 s35, exec_lo
	v_cmpx_gt_i32_e64 s20, v1
	s_cbranch_execz .LBB66_46
; %bb.8:
	s_load_b64 s[40:41], s[0:1], 0x4
	s_waitcnt lgkmcnt(0)
	s_load_b32 s1, s[24:25], 0x0
	s_load_b32 s39, s[2:3], 0x8c
	s_mul_i32 s43, s9, s16
	s_ashr_i32 s0, s4, 31
	s_ashr_i32 s37, s5, 31
	s_mul_hi_u32 s44, s8, s16
	s_mul_i32 s42, s8, s16
	s_mul_i32 s0, s22, s0
	;; [unrolled: 1-line block ×3, first 2 shown]
	s_add_i32 s0, s31, s0
	s_add_i32 s8, s30, s8
	v_bfe_u32 v2, v0, 10, 10
	s_ashr_i32 s21, s20, 31
	s_add_i32 s0, s0, s33
	s_add_i32 s8, s8, s17
	v_bfe_u32 v0, v0, 20, 10
	v_dual_mov_b32 v3, 0 :: v_dual_lshlrev_b32 v4, 2, v1
	s_mov_b32 s36, 0
	s_lshr_b32 s9, s40, 16
	s_add_u32 s45, s34, s23
	s_mul_i32 s9, s9, s41
	s_addc_u32 s0, s0, s8
	v_mul_lo_u32 v5, s9, v1
	s_add_u32 s8, s45, s18
	s_addc_u32 s9, s0, s19
	s_ashr_i32 s46, s6, 31
	s_add_u32 s37, s8, s6
	s_addc_u32 s38, s9, s46
	s_lshl_b64 s[8:9], s[28:29], 2
	s_waitcnt lgkmcnt(0)
	s_and_b32 s39, s39, 0xffff
	v_mad_u32_u24 v2, v2, s41, v5
	s_add_u32 s8, s26, s8
	s_addc_u32 s9, s27, s9
	s_add_i32 s43, s44, s43
	v_add_co_u32 v4, s8, s8, v4
	v_add_lshl_u32 v0, v2, v0, 1
	v_lshlrev_b32_e32 v2, 1, v1
	s_lshl_b64 s[40:41], s[42:43], 1
	s_lshl_b32 s28, s39, 2
	v_add_co_ci_u32_e64 v5, null, s9, 0, s8
	s_lshl_b64 s[8:9], s[20:21], 2
	s_lshl_b64 s[26:27], s[20:21], 1
	s_add_u32 s12, s12, s40
	s_addc_u32 s13, s13, s41
	v_add_co_u32 v6, s12, s12, v2
	s_lshl_b32 s29, s39, 1
	v_add_co_ci_u32_e64 v7, null, s13, 0, s12
	s_add_u32 s12, s45, s20
	s_addc_u32 s0, s0, s21
	v_add_nc_u32_e32 v12, 0x800, v0
	s_add_u32 s12, s12, s6
	s_addc_u32 s0, s0, s46
	s_add_u32 s21, s18, s12
	s_addc_u32 s40, s19, s0
	s_mov_b64 s[12:13], 0
	s_branch .LBB66_10
.LBB66_9:                               ;   in Loop: Header=BB66_10 Depth=1
	s_or_b32 exec_lo, exec_lo, s0
	s_add_u32 s12, s12, s39
	v_add_co_u32 v4, vcc_lo, v4, s28
	v_add_nc_u32_e32 v2, s12, v1
	v_add_co_ci_u32_e32 v5, vcc_lo, 0, v5, vcc_lo
	v_add_co_u32 v6, vcc_lo, v6, s29
	v_add_co_ci_u32_e32 v7, vcc_lo, 0, v7, vcc_lo
	v_add_co_u32 v8, s0, s21, v1
	s_addc_u32 s13, s13, 0
	v_cmp_le_i32_e32 vcc_lo, s20, v2
	s_add_u32 s21, s21, s39
	v_add_co_ci_u32_e64 v9, null, s40, 0, s0
	s_addc_u32 s40, s40, 0
	s_add_u32 s37, s37, s39
	s_addc_u32 s38, s38, 0
	s_or_b32 s36, vcc_lo, s36
	global_store_b8 v[8:9], v10, off
	s_and_not1_b32 exec_lo, exec_lo, s36
	s_cbranch_execz .LBB66_46
.LBB66_10:                              ; =>This Inner Loop Header: Depth=1
	v_add_co_u32 v8, vcc_lo, v4, s8
	v_add_co_ci_u32_e32 v9, vcc_lo, s9, v5, vcc_lo
	v_add_co_u32 v15, vcc_lo, v6, s26
	s_clause 0x1
	global_load_b32 v2, v[4:5], off
	global_load_b32 v8, v[8:9], off
	v_add_co_ci_u32_e32 v16, vcc_lo, s27, v7, vcc_lo
	s_clause 0x1
	global_load_u16 v9, v[6:7], off
	global_load_u16 v10, v[15:16], off
	s_waitcnt vmcnt(3)
	v_bfe_u32 v11, v2, 16, 1
	s_waitcnt vmcnt(2)
	v_bfe_u32 v13, v8, 16, 1
	v_cmp_o_f32_e32 vcc_lo, v2, v2
	s_delay_alu instid0(VALU_DEP_3) | instskip(NEXT) | instid1(VALU_DEP_3)
	v_add3_u32 v11, v2, v11, 0x7fff
	v_add3_u32 v13, v8, v13, 0x7fff
	s_waitcnt vmcnt(0)
	v_lshlrev_b32_e32 v10, 16, v10
	s_delay_alu instid0(VALU_DEP_3) | instskip(SKIP_2) | instid1(VALU_DEP_3)
	v_and_b32_e32 v11, 0xffff0000, v11
	v_lshlrev_b32_e32 v9, 16, v9
	v_and_b32_e32 v13, 0xffff0000, v13
	v_cndmask_b32_e32 v2, 0x7fc00000, v11, vcc_lo
	v_cmp_o_f32_e32 vcc_lo, v8, v8
	s_delay_alu instid0(VALU_DEP_2) | instskip(NEXT) | instid1(VALU_DEP_4)
	v_mul_f32_e32 v11, v2, v9
	v_cndmask_b32_e32 v8, 0x7fc00000, v13, vcc_lo
	v_mul_f32_e32 v2, v2, v10
	s_delay_alu instid0(VALU_DEP_3) | instskip(NEXT) | instid1(VALU_DEP_3)
	v_bfe_u32 v14, v11, 16, 1
	v_mul_f32_e32 v13, v8, v10
	v_cmp_o_f32_e32 vcc_lo, v11, v11
	s_delay_alu instid0(VALU_DEP_4) | instskip(SKIP_3) | instid1(VALU_DEP_4)
	v_bfe_u32 v10, v2, 16, 1
	v_mul_f32_e32 v8, v8, v9
	v_add3_u32 v14, v11, v14, 0x7fff
	v_bfe_u32 v17, v13, 16, 1
	v_add3_u32 v10, v2, v10, 0x7fff
	s_delay_alu instid0(VALU_DEP_3) | instskip(NEXT) | instid1(VALU_DEP_3)
	v_and_b32_e32 v14, 0xffff0000, v14
	v_add3_u32 v17, v13, v17, 0x7fff
	s_delay_alu instid0(VALU_DEP_2) | instskip(NEXT) | instid1(VALU_DEP_2)
	v_cndmask_b32_e32 v11, 0x7fc00000, v14, vcc_lo
	v_and_b32_e32 v17, 0xffff0000, v17
	v_cmp_o_f32_e32 vcc_lo, v13, v13
	s_delay_alu instid0(VALU_DEP_2) | instskip(NEXT) | instid1(VALU_DEP_1)
	v_cndmask_b32_e32 v13, 0x7fc00000, v17, vcc_lo
	v_sub_f32_e32 v11, v11, v13
	s_delay_alu instid0(VALU_DEP_1) | instskip(SKIP_1) | instid1(VALU_DEP_2)
	v_bfe_u32 v13, v11, 16, 1
	v_cmp_o_f32_e32 vcc_lo, v11, v11
	v_add3_u32 v13, v11, v13, 0x7fff
	s_delay_alu instid0(VALU_DEP_1) | instskip(NEXT) | instid1(VALU_DEP_1)
	v_lshrrev_b32_e32 v13, 16, v13
	v_cndmask_b32_e32 v11, 0x7fc0, v13, vcc_lo
	v_bfe_u32 v13, v8, 16, 1
	v_cmp_o_f32_e32 vcc_lo, v2, v2
	ds_store_b16 v12, v11
	ds_load_b32 v14, v12
	v_add3_u32 v13, v8, v13, 0x7fff
	s_delay_alu instid0(VALU_DEP_1) | instskip(SKIP_2) | instid1(VALU_DEP_1)
	v_and_b32_e32 v13, 0xffff0000, v13
	s_waitcnt lgkmcnt(0)
	v_div_scale_f32 v9, null, s1, s1, v14
	v_rcp_f32_e32 v17, v9
	s_waitcnt_depctr 0xfff
	v_fma_f32 v18, -v9, v17, 1.0
	s_delay_alu instid0(VALU_DEP_1) | instskip(NEXT) | instid1(VALU_DEP_1)
	v_dual_fmac_f32 v17, v18, v17 :: v_dual_and_b32 v10, 0xffff0000, v10
	v_cndmask_b32_e32 v2, 0x7fc00000, v10, vcc_lo
	v_cmp_o_f32_e32 vcc_lo, v8, v8
	v_cndmask_b32_e32 v8, 0x7fc00000, v13, vcc_lo
	v_div_scale_f32 v10, vcc_lo, v14, s1, v14
	s_delay_alu instid0(VALU_DEP_2) | instskip(NEXT) | instid1(VALU_DEP_2)
	v_add_f32_e32 v2, v2, v8
	v_mul_f32_e32 v8, v10, v17
	s_delay_alu instid0(VALU_DEP_2) | instskip(NEXT) | instid1(VALU_DEP_2)
	v_bfe_u32 v13, v2, 16, 1
	v_fma_f32 v18, -v9, v8, v10
	v_cmp_o_f32_e64 s0, v2, v2
	s_delay_alu instid0(VALU_DEP_3) | instskip(NEXT) | instid1(VALU_DEP_3)
	v_add3_u32 v13, v2, v13, 0x7fff
	v_fmac_f32_e32 v8, v18, v17
	v_mov_b32_e32 v18, v3
	s_delay_alu instid0(VALU_DEP_3) | instskip(NEXT) | instid1(VALU_DEP_3)
	v_lshrrev_b32_e32 v13, 16, v13
	v_fma_f32 v9, -v9, v8, v10
	s_delay_alu instid0(VALU_DEP_2) | instskip(NEXT) | instid1(VALU_DEP_2)
	v_cndmask_b32_e64 v19, 0x7fc0, v13, s0
	v_div_fmas_f32 v2, v9, v17, v8
	s_mov_b32 s0, exec_lo
	ds_store_b16 v0, v19
	ds_load_b32 v13, v0
	v_div_fixup_f32 v8, v2, s1, v14
	s_clause 0x1
	global_store_b16 v[6:7], v11, off
	global_store_b16 v[15:16], v19, off
	v_lshrrev_b32_e32 v10, 24, v8
	v_and_b32_e32 v17, 0x7f800000, v8
	v_and_b32_e32 v2, 0x7fffff, v8
	s_delay_alu instid0(VALU_DEP_3) | instskip(NEXT) | instid1(VALU_DEP_1)
	v_and_b32_e32 v14, 0x80, v10
	v_or_b32_e32 v9, 0x7e, v14
	s_delay_alu instid0(VALU_DEP_4)
	v_cmpx_ne_u64_e32 0x7f800000, v[17:18]
	s_xor_b32 s41, exec_lo, s0
	s_cbranch_execz .LBB66_26
; %bb.11:                               ;   in Loop: Header=BB66_10 Depth=1
	v_dual_mov_b32 v11, v3 :: v_dual_and_b32 v10, 0x7fffffff, v8
	s_mov_b32 s0, exec_lo
	s_delay_alu instid0(VALU_DEP_1)
	v_cmpx_gt_u64_e32 0x43e00001, v[10:11]
	s_xor_b32 s42, exec_lo, s0
	s_cbranch_execz .LBB66_25
; %bb.12:                               ;   in Loop: Header=BB66_10 Depth=1
	v_mov_b32_e32 v9, 0
	s_mov_b32 s43, exec_lo
	v_cmpx_ne_u32_e32 0, v8
	s_cbranch_execz .LBB66_24
; %bb.13:                               ;   in Loop: Header=BB66_10 Depth=1
	v_bfe_u32 v15, v8, 23, 8
	v_or_b32_e32 v10, 0x800000, v2
	s_delay_alu instid0(VALU_DEP_2) | instskip(SKIP_1) | instid1(VALU_DEP_2)
	v_sub_nc_u32_e32 v8, 0x79, v15
	v_cmp_gt_u32_e32 vcc_lo, 0x7a, v15
	v_cndmask_b32_e32 v8, 0, v8, vcc_lo
	v_cmp_eq_u32_e32 vcc_lo, 0, v15
	s_delay_alu instid0(VALU_DEP_2) | instskip(SKIP_1) | instid1(VALU_DEP_2)
	v_cndmask_b32_e64 v16, v8, 0x78, vcc_lo
	v_cndmask_b32_e32 v2, v10, v2, vcc_lo
	v_add_nc_u32_e32 v8, 20, v16
	v_add_nc_u32_e32 v10, 19, v16
	s_delay_alu instid0(VALU_DEP_2) | instskip(NEXT) | instid1(VALU_DEP_2)
	v_lshlrev_b64 v[8:9], v8, -1
	v_lshlrev_b64 v[10:11], v10, 1
	s_delay_alu instid0(VALU_DEP_2) | instskip(NEXT) | instid1(VALU_DEP_3)
	v_not_b32_e32 v9, v9
	v_not_b32_e32 v8, v8
	s_delay_alu instid0(VALU_DEP_2) | instskip(NEXT) | instid1(VALU_DEP_2)
	v_and_b32_e32 v18, 0, v9
	v_and_b32_e32 v17, v2, v8
	v_lshrrev_b64 v[8:9], v16, v[2:3]
	s_delay_alu instid0(VALU_DEP_2) | instskip(NEXT) | instid1(VALU_DEP_2)
	v_cmp_eq_u64_e64 s0, v[17:18], v[10:11]
	v_dual_mov_b32 v11, v9 :: v_dual_mov_b32 v10, v8
	s_delay_alu instid0(VALU_DEP_2)
	s_and_saveexec_b32 s44, s0
; %bb.14:                               ;   in Loop: Header=BB66_10 Depth=1
	v_bfe_u32 v2, v8, 20, 1
	s_delay_alu instid0(VALU_DEP_1) | instskip(NEXT) | instid1(VALU_DEP_1)
	v_add_co_u32 v2, s0, v8, v2
	v_add_co_u32 v10, s0, v2, -1
; %bb.15:                               ;   in Loop: Header=BB66_10 Depth=1
	s_or_b32 exec_lo, exec_lo, s44
	v_add_nc_u32_e32 v2, 0xffffff81, v15
	v_lshrrev_b32_e32 v11, 23, v8
	s_mov_b32 s0, exec_lo
	s_delay_alu instid0(VALU_DEP_2) | instskip(NEXT) | instid1(VALU_DEP_1)
	v_cndmask_b32_e64 v2, v2, 0xffffff82, vcc_lo
	v_add3_u32 v11, v16, v2, v11
	v_and_b32_e32 v2, 0xfffff, v10
	s_delay_alu instid0(VALU_DEP_2) | instskip(NEXT) | instid1(VALU_DEP_2)
	v_add_nc_u32_e32 v10, 6, v11
	v_add_co_u32 v8, vcc_lo, v2, v8
	v_add_co_ci_u32_e32 v9, vcc_lo, 0, v9, vcc_lo
                                        ; implicit-def: $vgpr2
	s_delay_alu instid0(VALU_DEP_3)
	v_cmpx_ne_u32_e32 0, v10
	s_xor_b32 s0, exec_lo, s0
; %bb.16:                               ;   in Loop: Header=BB66_10 Depth=1
	s_delay_alu instid0(VALU_DEP_2) | instskip(SKIP_1) | instid1(VALU_DEP_1)
	v_cmp_lt_u64_e32 vcc_lo, 0xffffff, v[8:9]
	v_add_nc_u32_e32 v2, 7, v11
	v_cndmask_b32_e32 v2, v10, v2, vcc_lo
	v_cndmask_b32_e64 v10, 0, 1, vcc_lo
	s_delay_alu instid0(VALU_DEP_1)
	v_lshrrev_b64 v[8:9], v10, v[8:9]
; %bb.17:                               ;   in Loop: Header=BB66_10 Depth=1
	s_and_not1_saveexec_b32 s0, s0
; %bb.18:                               ;   in Loop: Header=BB66_10 Depth=1
	s_delay_alu instid0(VALU_DEP_1)
	v_bfe_u32 v2, v8, 23, 1
; %bb.19:                               ;   in Loop: Header=BB66_10 Depth=1
	s_or_b32 exec_lo, exec_lo, s0
	s_delay_alu instid0(VALU_DEP_2) | instskip(NEXT) | instid1(VALU_DEP_2)
	v_lshrrev_b64 v[8:9], 20, v[8:9]
	v_cmp_gt_i32_e32 vcc_lo, 16, v2
	v_cmp_ne_u32_e64 s0, 0, v2
	s_delay_alu instid0(VALU_DEP_3) | instskip(NEXT) | instid1(VALU_DEP_1)
	v_dual_cndmask_b32 v9, 0, v9 :: v_dual_cndmask_b32 v8, 7, v8
	v_cmp_ne_u64_e32 vcc_lo, 0, v[8:9]
                                        ; implicit-def: $vgpr9
	s_delay_alu instid0(VALU_DEP_3) | instskip(NEXT) | instid1(SALU_CYCLE_1)
	s_or_b32 s0, s0, vcc_lo
	s_and_saveexec_b32 s44, s0
	s_delay_alu instid0(SALU_CYCLE_1)
	s_xor_b32 s0, exec_lo, s44
; %bb.20:                               ;   in Loop: Header=BB66_10 Depth=1
	v_min_i32_e32 v2, 15, v2
	s_delay_alu instid0(VALU_DEP_1) | instskip(NEXT) | instid1(VALU_DEP_1)
	v_lshl_or_b32 v2, v2, 3, v14
                                        ; implicit-def: $vgpr14
	v_and_or_b32 v9, v8, 7, v2
; %bb.21:                               ;   in Loop: Header=BB66_10 Depth=1
	s_and_not1_saveexec_b32 s0, s0
; %bb.22:                               ;   in Loop: Header=BB66_10 Depth=1
	v_mov_b32_e32 v9, v14
; %bb.23:                               ;   in Loop: Header=BB66_10 Depth=1
	s_or_b32 exec_lo, exec_lo, s0
.LBB66_24:                              ;   in Loop: Header=BB66_10 Depth=1
	s_delay_alu instid0(SALU_CYCLE_1)
	s_or_b32 exec_lo, exec_lo, s43
.LBB66_25:                              ;   in Loop: Header=BB66_10 Depth=1
	s_and_not1_saveexec_b32 s0, s42
	s_delay_alu instid0(SALU_CYCLE_1)
	s_or_b32 exec_lo, exec_lo, s0
                                        ; implicit-def: $vgpr10
.LBB66_26:                              ;   in Loop: Header=BB66_10 Depth=1
	s_and_not1_saveexec_b32 s0, s41
; %bb.27:                               ;   in Loop: Header=BB66_10 Depth=1
	v_cmp_eq_u64_e32 vcc_lo, 0, v[2:3]
	v_or_b32_e32 v8, 0x7f, v10
	s_delay_alu instid0(VALU_DEP_1)
	v_cndmask_b32_e32 v9, v8, v9, vcc_lo
; %bb.28:                               ;   in Loop: Header=BB66_10 Depth=1
	s_or_b32 exec_lo, exec_lo, s0
	s_waitcnt lgkmcnt(0)
	v_div_scale_f32 v2, null, s1, s1, v13
	v_div_scale_f32 v11, vcc_lo, v13, s1, v13
	v_add_co_u32 v16, s0, s37, v1
	s_delay_alu instid0(VALU_DEP_3)
	v_rcp_f32_e32 v8, v2
	v_add_co_ci_u32_e64 v17, null, s38, 0, s0
	s_mov_b32 s0, exec_lo
	v_mov_b32_e32 v15, v3
	global_store_b8 v[16:17], v9, off
	v_fma_f32 v10, -v2, v8, 1.0
	s_delay_alu instid0(VALU_DEP_1) | instskip(NEXT) | instid1(VALU_DEP_1)
	v_fmac_f32_e32 v8, v10, v8
	v_mul_f32_e32 v10, v11, v8
	s_delay_alu instid0(VALU_DEP_1) | instskip(NEXT) | instid1(VALU_DEP_1)
	v_fma_f32 v14, -v2, v10, v11
	v_fmac_f32_e32 v10, v14, v8
	s_delay_alu instid0(VALU_DEP_1) | instskip(NEXT) | instid1(VALU_DEP_1)
	v_fma_f32 v2, -v2, v10, v11
	v_div_fmas_f32 v2, v2, v8, v10
	s_delay_alu instid0(VALU_DEP_1) | instskip(NEXT) | instid1(VALU_DEP_1)
	v_div_fixup_f32 v8, v2, s1, v13
	v_lshrrev_b32_e32 v11, 24, v8
	v_and_b32_e32 v14, 0x7f800000, v8
	v_and_b32_e32 v2, 0x7fffff, v8
	s_delay_alu instid0(VALU_DEP_3) | instskip(NEXT) | instid1(VALU_DEP_1)
	v_and_b32_e32 v13, 0x80, v11
	v_or_b32_e32 v10, 0x7e, v13
	s_delay_alu instid0(VALU_DEP_4)
	v_cmpx_ne_u64_e32 0x7f800000, v[14:15]
	s_xor_b32 s41, exec_lo, s0
	s_cbranch_execz .LBB66_44
; %bb.29:                               ;   in Loop: Header=BB66_10 Depth=1
	v_dual_mov_b32 v15, v3 :: v_dual_and_b32 v14, 0x7fffffff, v8
	s_mov_b32 s0, exec_lo
	s_delay_alu instid0(VALU_DEP_1)
	v_cmpx_gt_u64_e32 0x43e00001, v[14:15]
	s_xor_b32 s42, exec_lo, s0
	s_cbranch_execz .LBB66_43
; %bb.30:                               ;   in Loop: Header=BB66_10 Depth=1
	v_mov_b32_e32 v10, 0
	s_mov_b32 s43, exec_lo
	v_cmpx_ne_u32_e32 0, v8
	s_cbranch_execz .LBB66_42
; %bb.31:                               ;   in Loop: Header=BB66_10 Depth=1
	v_bfe_u32 v14, v8, 23, 8
	v_or_b32_e32 v10, 0x800000, v2
	s_delay_alu instid0(VALU_DEP_2) | instskip(SKIP_1) | instid1(VALU_DEP_2)
	v_sub_nc_u32_e32 v8, 0x79, v14
	v_cmp_gt_u32_e32 vcc_lo, 0x7a, v14
	v_cndmask_b32_e32 v8, 0, v8, vcc_lo
	v_cmp_eq_u32_e32 vcc_lo, 0, v14
	s_delay_alu instid0(VALU_DEP_2) | instskip(SKIP_1) | instid1(VALU_DEP_2)
	v_cndmask_b32_e64 v15, v8, 0x78, vcc_lo
	v_cndmask_b32_e32 v2, v10, v2, vcc_lo
	v_add_nc_u32_e32 v8, 20, v15
	v_add_nc_u32_e32 v10, 19, v15
	s_delay_alu instid0(VALU_DEP_2) | instskip(NEXT) | instid1(VALU_DEP_2)
	v_lshlrev_b64 v[8:9], v8, -1
	v_lshlrev_b64 v[10:11], v10, 1
	s_delay_alu instid0(VALU_DEP_2) | instskip(NEXT) | instid1(VALU_DEP_3)
	v_not_b32_e32 v9, v9
	v_not_b32_e32 v8, v8
	s_delay_alu instid0(VALU_DEP_2) | instskip(NEXT) | instid1(VALU_DEP_2)
	v_and_b32_e32 v17, 0, v9
	v_and_b32_e32 v16, v2, v8
	v_lshrrev_b64 v[8:9], v15, v[2:3]
	s_delay_alu instid0(VALU_DEP_2) | instskip(NEXT) | instid1(VALU_DEP_2)
	v_cmp_eq_u64_e64 s0, v[16:17], v[10:11]
	v_dual_mov_b32 v11, v9 :: v_dual_mov_b32 v10, v8
	s_delay_alu instid0(VALU_DEP_2)
	s_and_saveexec_b32 s44, s0
; %bb.32:                               ;   in Loop: Header=BB66_10 Depth=1
	v_bfe_u32 v2, v8, 20, 1
	s_delay_alu instid0(VALU_DEP_1) | instskip(NEXT) | instid1(VALU_DEP_1)
	v_add_co_u32 v2, s0, v8, v2
	v_add_co_u32 v10, s0, v2, -1
; %bb.33:                               ;   in Loop: Header=BB66_10 Depth=1
	s_or_b32 exec_lo, exec_lo, s44
	v_add_nc_u32_e32 v2, 0xffffff81, v14
	v_lshrrev_b32_e32 v11, 23, v8
	s_mov_b32 s0, exec_lo
	s_delay_alu instid0(VALU_DEP_2) | instskip(NEXT) | instid1(VALU_DEP_1)
	v_cndmask_b32_e64 v2, v2, 0xffffff82, vcc_lo
	v_add3_u32 v11, v15, v2, v11
	v_and_b32_e32 v2, 0xfffff, v10
	s_delay_alu instid0(VALU_DEP_2) | instskip(NEXT) | instid1(VALU_DEP_2)
	v_add_nc_u32_e32 v10, 6, v11
	v_add_co_u32 v8, vcc_lo, v2, v8
	v_add_co_ci_u32_e32 v9, vcc_lo, 0, v9, vcc_lo
                                        ; implicit-def: $vgpr2
	s_delay_alu instid0(VALU_DEP_3)
	v_cmpx_ne_u32_e32 0, v10
	s_xor_b32 s0, exec_lo, s0
; %bb.34:                               ;   in Loop: Header=BB66_10 Depth=1
	s_delay_alu instid0(VALU_DEP_2) | instskip(SKIP_1) | instid1(VALU_DEP_1)
	v_cmp_lt_u64_e32 vcc_lo, 0xffffff, v[8:9]
	v_add_nc_u32_e32 v2, 7, v11
	v_cndmask_b32_e32 v2, v10, v2, vcc_lo
	v_cndmask_b32_e64 v10, 0, 1, vcc_lo
	s_delay_alu instid0(VALU_DEP_1)
	v_lshrrev_b64 v[8:9], v10, v[8:9]
; %bb.35:                               ;   in Loop: Header=BB66_10 Depth=1
	s_and_not1_saveexec_b32 s0, s0
; %bb.36:                               ;   in Loop: Header=BB66_10 Depth=1
	s_delay_alu instid0(VALU_DEP_1)
	v_bfe_u32 v2, v8, 23, 1
; %bb.37:                               ;   in Loop: Header=BB66_10 Depth=1
	s_or_b32 exec_lo, exec_lo, s0
	s_delay_alu instid0(VALU_DEP_2) | instskip(NEXT) | instid1(VALU_DEP_2)
	v_lshrrev_b64 v[8:9], 20, v[8:9]
	v_cmp_gt_i32_e32 vcc_lo, 16, v2
	v_cmp_ne_u32_e64 s0, 0, v2
                                        ; implicit-def: $vgpr10
	s_delay_alu instid0(VALU_DEP_3) | instskip(NEXT) | instid1(VALU_DEP_1)
	v_dual_cndmask_b32 v9, 0, v9 :: v_dual_cndmask_b32 v8, 7, v8
	v_cmp_ne_u64_e32 vcc_lo, 0, v[8:9]
	s_delay_alu instid0(VALU_DEP_3) | instskip(NEXT) | instid1(SALU_CYCLE_1)
	s_or_b32 s0, s0, vcc_lo
	s_and_saveexec_b32 s44, s0
	s_delay_alu instid0(SALU_CYCLE_1)
	s_xor_b32 s0, exec_lo, s44
; %bb.38:                               ;   in Loop: Header=BB66_10 Depth=1
	v_min_i32_e32 v2, 15, v2
	s_delay_alu instid0(VALU_DEP_1) | instskip(NEXT) | instid1(VALU_DEP_1)
	v_lshl_or_b32 v2, v2, 3, v13
                                        ; implicit-def: $vgpr13
	v_and_or_b32 v10, v8, 7, v2
; %bb.39:                               ;   in Loop: Header=BB66_10 Depth=1
	s_and_not1_saveexec_b32 s0, s0
; %bb.40:                               ;   in Loop: Header=BB66_10 Depth=1
	v_mov_b32_e32 v10, v13
; %bb.41:                               ;   in Loop: Header=BB66_10 Depth=1
	s_or_b32 exec_lo, exec_lo, s0
.LBB66_42:                              ;   in Loop: Header=BB66_10 Depth=1
	s_delay_alu instid0(SALU_CYCLE_1)
	s_or_b32 exec_lo, exec_lo, s43
.LBB66_43:                              ;   in Loop: Header=BB66_10 Depth=1
	s_and_not1_saveexec_b32 s0, s42
	s_delay_alu instid0(SALU_CYCLE_1)
	s_or_b32 exec_lo, exec_lo, s0
                                        ; implicit-def: $vgpr11
.LBB66_44:                              ;   in Loop: Header=BB66_10 Depth=1
	s_and_not1_saveexec_b32 s0, s41
	s_cbranch_execz .LBB66_9
; %bb.45:                               ;   in Loop: Header=BB66_10 Depth=1
	v_cmp_eq_u64_e32 vcc_lo, 0, v[2:3]
	v_or_b32_e32 v8, 0x7f, v11
	s_delay_alu instid0(VALU_DEP_1)
	v_cndmask_b32_e32 v10, v8, v10, vcc_lo
	s_branch .LBB66_9
.LBB66_46:
	s_or_b32 exec_lo, exec_lo, s35
	s_delay_alu instid0(SALU_CYCLE_1)
	s_mov_b32 s0, exec_lo
	v_cmpx_gt_i32_e64 s6, v1
	s_cbranch_execz .LBB66_67
; %bb.47:
	s_mul_i32 s1, s16, s11
	s_mul_hi_u32 s8, s16, s10
	s_mul_i32 s0, s16, s10
	s_add_i32 s1, s8, s1
	v_mov_b32_e32 v4, 0
	s_lshl_b64 s[8:9], s[0:1], 1
	s_load_b32 s0, s[2:3], 0x8c
	s_waitcnt lgkmcnt(0)
	s_load_b32 s3, s[24:25], 0x0
	s_add_u32 s1, s14, s8
	s_addc_u32 s2, s15, s9
	s_ashr_i32 s4, s4, 31
	s_delay_alu instid0(SALU_CYCLE_1) | instskip(NEXT) | instid1(SALU_CYCLE_1)
	s_mul_i32 s4, s22, s4
	s_add_i32 s4, s31, s4
	s_delay_alu instid0(SALU_CYCLE_1) | instskip(SKIP_3) | instid1(SALU_CYCLE_1)
	s_add_i32 s4, s4, s33
	s_add_u32 s8, s18, s34
	s_addc_u32 s9, s19, s4
	s_ashr_i32 s4, s5, 31
	s_mul_i32 s7, s7, s4
	s_delay_alu instid0(SALU_CYCLE_1) | instskip(NEXT) | instid1(SALU_CYCLE_1)
	s_add_i32 s4, s30, s7
	s_add_i32 s5, s4, s17
	s_add_u32 s4, s8, s23
	s_addc_u32 s5, s9, s5
	s_and_b32 s7, s0, 0xffff
	s_mov_b32 s8, 0
	s_branch .LBB66_49
.LBB66_48:                              ;   in Loop: Header=BB66_49 Depth=1
	s_or_b32 exec_lo, exec_lo, s0
	v_add_co_u32 v7, vcc_lo, s4, v1
	v_add_nc_u32_e32 v1, s7, v1
	v_add_co_ci_u32_e32 v8, vcc_lo, s5, v2, vcc_lo
	s_delay_alu instid0(VALU_DEP_2) | instskip(SKIP_2) | instid1(SALU_CYCLE_1)
	v_cmp_le_i32_e32 vcc_lo, s6, v1
	global_store_b8 v[7:8], v6, off
	s_or_b32 s8, vcc_lo, s8
	s_and_not1_b32 exec_lo, exec_lo, s8
	s_cbranch_execz .LBB66_67
.LBB66_49:                              ; =>This Inner Loop Header: Depth=1
	v_ashrrev_i32_e32 v2, 31, v1
	s_mov_b32 s0, exec_lo
	v_mov_b32_e32 v9, v4
	s_delay_alu instid0(VALU_DEP_2) | instskip(NEXT) | instid1(VALU_DEP_1)
	v_lshlrev_b64 v[5:6], 1, v[1:2]
	v_add_co_u32 v5, vcc_lo, s1, v5
	s_delay_alu instid0(VALU_DEP_2) | instskip(SKIP_3) | instid1(VALU_DEP_1)
	v_add_co_ci_u32_e32 v6, vcc_lo, s2, v6, vcc_lo
	global_load_b32 v0, v[5:6], off
	s_waitcnt vmcnt(0) lgkmcnt(0)
	v_div_scale_f32 v3, null, s3, s3, v0
	v_rcp_f32_e32 v5, v3
	s_waitcnt_depctr 0xfff
	v_fma_f32 v6, -v3, v5, 1.0
	s_delay_alu instid0(VALU_DEP_1) | instskip(SKIP_1) | instid1(VALU_DEP_1)
	v_fmac_f32_e32 v5, v6, v5
	v_div_scale_f32 v6, vcc_lo, v0, s3, v0
	v_mul_f32_e32 v7, v6, v5
	s_delay_alu instid0(VALU_DEP_1) | instskip(NEXT) | instid1(VALU_DEP_1)
	v_fma_f32 v8, -v3, v7, v6
	v_fmac_f32_e32 v7, v8, v5
	s_delay_alu instid0(VALU_DEP_1) | instskip(NEXT) | instid1(VALU_DEP_1)
	v_fma_f32 v3, -v3, v7, v6
	v_div_fmas_f32 v3, v3, v5, v7
	s_delay_alu instid0(VALU_DEP_1) | instskip(NEXT) | instid1(VALU_DEP_1)
	v_div_fixup_f32 v5, v3, s3, v0
	v_lshrrev_b32_e32 v7, 24, v5
	v_and_b32_e32 v8, 0x7f800000, v5
	v_and_b32_e32 v3, 0x7fffff, v5
	s_delay_alu instid0(VALU_DEP_3) | instskip(NEXT) | instid1(VALU_DEP_1)
	v_and_b32_e32 v0, 0x80, v7
	v_or_b32_e32 v6, 0x7e, v0
	s_delay_alu instid0(VALU_DEP_4)
	v_cmpx_ne_u64_e32 0x7f800000, v[8:9]
	s_xor_b32 s9, exec_lo, s0
	s_cbranch_execz .LBB66_65
; %bb.50:                               ;   in Loop: Header=BB66_49 Depth=1
	v_dual_mov_b32 v8, v4 :: v_dual_and_b32 v7, 0x7fffffff, v5
	s_mov_b32 s0, exec_lo
	s_delay_alu instid0(VALU_DEP_1)
	v_cmpx_gt_u64_e32 0x43e00001, v[7:8]
	s_xor_b32 s10, exec_lo, s0
	s_cbranch_execz .LBB66_64
; %bb.51:                               ;   in Loop: Header=BB66_49 Depth=1
	v_mov_b32_e32 v6, 0
	s_mov_b32 s11, exec_lo
	v_cmpx_ne_u32_e32 0, v5
	s_cbranch_execz .LBB66_63
; %bb.52:                               ;   in Loop: Header=BB66_49 Depth=1
	v_bfe_u32 v9, v5, 23, 8
	v_or_b32_e32 v7, 0x800000, v3
	s_delay_alu instid0(VALU_DEP_2) | instskip(SKIP_1) | instid1(VALU_DEP_2)
	v_sub_nc_u32_e32 v5, 0x79, v9
	v_cmp_gt_u32_e32 vcc_lo, 0x7a, v9
	v_cndmask_b32_e32 v5, 0, v5, vcc_lo
	v_cmp_eq_u32_e32 vcc_lo, 0, v9
	s_delay_alu instid0(VALU_DEP_2) | instskip(SKIP_1) | instid1(VALU_DEP_2)
	v_cndmask_b32_e64 v10, v5, 0x78, vcc_lo
	v_cndmask_b32_e32 v3, v7, v3, vcc_lo
	v_add_nc_u32_e32 v5, 20, v10
	v_add_nc_u32_e32 v7, 19, v10
	s_delay_alu instid0(VALU_DEP_2) | instskip(NEXT) | instid1(VALU_DEP_2)
	v_lshlrev_b64 v[5:6], v5, -1
	v_lshlrev_b64 v[7:8], v7, 1
	s_delay_alu instid0(VALU_DEP_2) | instskip(NEXT) | instid1(VALU_DEP_3)
	v_not_b32_e32 v6, v6
	v_not_b32_e32 v5, v5
	s_delay_alu instid0(VALU_DEP_2) | instskip(NEXT) | instid1(VALU_DEP_2)
	v_and_b32_e32 v12, 0, v6
	v_and_b32_e32 v11, v3, v5
	v_lshrrev_b64 v[5:6], v10, v[3:4]
	s_delay_alu instid0(VALU_DEP_2) | instskip(NEXT) | instid1(VALU_DEP_2)
	v_cmp_eq_u64_e64 s0, v[11:12], v[7:8]
	v_dual_mov_b32 v8, v6 :: v_dual_mov_b32 v7, v5
	s_delay_alu instid0(VALU_DEP_2)
	s_and_saveexec_b32 s12, s0
; %bb.53:                               ;   in Loop: Header=BB66_49 Depth=1
	v_bfe_u32 v3, v5, 20, 1
	s_delay_alu instid0(VALU_DEP_1) | instskip(NEXT) | instid1(VALU_DEP_1)
	v_add_co_u32 v3, s0, v5, v3
	v_add_co_u32 v7, s0, v3, -1
; %bb.54:                               ;   in Loop: Header=BB66_49 Depth=1
	s_or_b32 exec_lo, exec_lo, s12
	v_add_nc_u32_e32 v3, 0xffffff81, v9
	v_lshrrev_b32_e32 v8, 23, v5
	s_mov_b32 s0, exec_lo
	s_delay_alu instid0(VALU_DEP_2) | instskip(NEXT) | instid1(VALU_DEP_1)
	v_cndmask_b32_e64 v3, v3, 0xffffff82, vcc_lo
	v_add3_u32 v8, v10, v3, v8
	v_and_b32_e32 v3, 0xfffff, v7
	s_delay_alu instid0(VALU_DEP_2) | instskip(NEXT) | instid1(VALU_DEP_2)
	v_add_nc_u32_e32 v7, 6, v8
	v_add_co_u32 v5, vcc_lo, v3, v5
	v_add_co_ci_u32_e32 v6, vcc_lo, 0, v6, vcc_lo
                                        ; implicit-def: $vgpr3
	s_delay_alu instid0(VALU_DEP_3)
	v_cmpx_ne_u32_e32 0, v7
	s_xor_b32 s0, exec_lo, s0
; %bb.55:                               ;   in Loop: Header=BB66_49 Depth=1
	s_delay_alu instid0(VALU_DEP_2) | instskip(SKIP_1) | instid1(VALU_DEP_1)
	v_cmp_lt_u64_e32 vcc_lo, 0xffffff, v[5:6]
	v_add_nc_u32_e32 v3, 7, v8
	v_cndmask_b32_e32 v3, v7, v3, vcc_lo
	v_cndmask_b32_e64 v7, 0, 1, vcc_lo
	s_delay_alu instid0(VALU_DEP_1)
	v_lshrrev_b64 v[5:6], v7, v[5:6]
; %bb.56:                               ;   in Loop: Header=BB66_49 Depth=1
	s_and_not1_saveexec_b32 s0, s0
; %bb.57:                               ;   in Loop: Header=BB66_49 Depth=1
	s_delay_alu instid0(VALU_DEP_1)
	v_bfe_u32 v3, v5, 23, 1
; %bb.58:                               ;   in Loop: Header=BB66_49 Depth=1
	s_or_b32 exec_lo, exec_lo, s0
	s_delay_alu instid0(VALU_DEP_2) | instskip(NEXT) | instid1(VALU_DEP_2)
	v_lshrrev_b64 v[5:6], 20, v[5:6]
	v_cmp_gt_i32_e32 vcc_lo, 16, v3
	v_cmp_ne_u32_e64 s0, 0, v3
	s_delay_alu instid0(VALU_DEP_3) | instskip(NEXT) | instid1(VALU_DEP_1)
	v_dual_cndmask_b32 v6, 0, v6 :: v_dual_cndmask_b32 v5, 7, v5
	v_cmp_ne_u64_e32 vcc_lo, 0, v[5:6]
                                        ; implicit-def: $vgpr6
	s_delay_alu instid0(VALU_DEP_3) | instskip(NEXT) | instid1(SALU_CYCLE_1)
	s_or_b32 s0, s0, vcc_lo
	s_and_saveexec_b32 s12, s0
	s_delay_alu instid0(SALU_CYCLE_1)
	s_xor_b32 s0, exec_lo, s12
; %bb.59:                               ;   in Loop: Header=BB66_49 Depth=1
	v_min_i32_e32 v3, 15, v3
	s_delay_alu instid0(VALU_DEP_1) | instskip(NEXT) | instid1(VALU_DEP_1)
	v_lshl_or_b32 v0, v3, 3, v0
	v_and_or_b32 v6, v5, 7, v0
                                        ; implicit-def: $vgpr0
; %bb.60:                               ;   in Loop: Header=BB66_49 Depth=1
	s_and_not1_saveexec_b32 s0, s0
; %bb.61:                               ;   in Loop: Header=BB66_49 Depth=1
	v_mov_b32_e32 v6, v0
; %bb.62:                               ;   in Loop: Header=BB66_49 Depth=1
	s_or_b32 exec_lo, exec_lo, s0
.LBB66_63:                              ;   in Loop: Header=BB66_49 Depth=1
	s_delay_alu instid0(SALU_CYCLE_1)
	s_or_b32 exec_lo, exec_lo, s11
.LBB66_64:                              ;   in Loop: Header=BB66_49 Depth=1
	s_and_not1_saveexec_b32 s0, s10
	s_delay_alu instid0(SALU_CYCLE_1)
	s_or_b32 exec_lo, exec_lo, s0
                                        ; implicit-def: $vgpr7
.LBB66_65:                              ;   in Loop: Header=BB66_49 Depth=1
	s_and_not1_saveexec_b32 s0, s9
	s_cbranch_execz .LBB66_48
; %bb.66:                               ;   in Loop: Header=BB66_49 Depth=1
	v_cmp_eq_u64_e32 vcc_lo, 0, v[3:4]
	v_or_b32_e32 v0, 0x7f, v7
	s_delay_alu instid0(VALU_DEP_1)
	v_cndmask_b32_e32 v6, v0, v6, vcc_lo
	s_branch .LBB66_48
.LBB66_67:
	s_nop 0
	s_sendmsg sendmsg(MSG_DEALLOC_VGPRS)
	s_endpgm
.LBB66_68:
                                        ; implicit-def: $sgpr22_sgpr23
	s_branch .LBB66_6
	.section	.rodata,"a",@progbits
	.p2align	6, 0x0
	.amdhsa_kernel _ZN4vllm38concat_and_cache_mla_rope_fused_kernelIN3c108BFloat16EfLb1EfhLNS_18Fp8KVCacheDataTypeE1EEEvPKlPT_S7_PKS6_PKT0_illlliPT3_S5_iiiiPKf
		.amdhsa_group_segment_fixed_size 4096
		.amdhsa_private_segment_fixed_size 0
		.amdhsa_kernarg_size 384
		.amdhsa_user_sgpr_count 15
		.amdhsa_user_sgpr_dispatch_ptr 1
		.amdhsa_user_sgpr_queue_ptr 0
		.amdhsa_user_sgpr_kernarg_segment_ptr 1
		.amdhsa_user_sgpr_dispatch_id 0
		.amdhsa_user_sgpr_private_segment_size 0
		.amdhsa_wavefront_size32 1
		.amdhsa_uses_dynamic_stack 0
		.amdhsa_enable_private_segment 0
		.amdhsa_system_sgpr_workgroup_id_x 1
		.amdhsa_system_sgpr_workgroup_id_y 0
		.amdhsa_system_sgpr_workgroup_id_z 0
		.amdhsa_system_sgpr_workgroup_info 0
		.amdhsa_system_vgpr_workitem_id 2
		.amdhsa_next_free_vgpr 20
		.amdhsa_next_free_sgpr 47
		.amdhsa_reserve_vcc 1
		.amdhsa_float_round_mode_32 0
		.amdhsa_float_round_mode_16_64 0
		.amdhsa_float_denorm_mode_32 3
		.amdhsa_float_denorm_mode_16_64 3
		.amdhsa_dx10_clamp 1
		.amdhsa_ieee_mode 1
		.amdhsa_fp16_overflow 0
		.amdhsa_workgroup_processor_mode 1
		.amdhsa_memory_ordered 1
		.amdhsa_forward_progress 0
		.amdhsa_shared_vgpr_count 0
		.amdhsa_exception_fp_ieee_invalid_op 0
		.amdhsa_exception_fp_denorm_src 0
		.amdhsa_exception_fp_ieee_div_zero 0
		.amdhsa_exception_fp_ieee_overflow 0
		.amdhsa_exception_fp_ieee_underflow 0
		.amdhsa_exception_fp_ieee_inexact 0
		.amdhsa_exception_int_div_zero 0
	.end_amdhsa_kernel
	.section	.text._ZN4vllm38concat_and_cache_mla_rope_fused_kernelIN3c108BFloat16EfLb1EfhLNS_18Fp8KVCacheDataTypeE1EEEvPKlPT_S7_PKS6_PKT0_illlliPT3_S5_iiiiPKf,"axG",@progbits,_ZN4vllm38concat_and_cache_mla_rope_fused_kernelIN3c108BFloat16EfLb1EfhLNS_18Fp8KVCacheDataTypeE1EEEvPKlPT_S7_PKS6_PKT0_illlliPT3_S5_iiiiPKf,comdat
.Lfunc_end66:
	.size	_ZN4vllm38concat_and_cache_mla_rope_fused_kernelIN3c108BFloat16EfLb1EfhLNS_18Fp8KVCacheDataTypeE1EEEvPKlPT_S7_PKS6_PKT0_illlliPT3_S5_iiiiPKf, .Lfunc_end66-_ZN4vllm38concat_and_cache_mla_rope_fused_kernelIN3c108BFloat16EfLb1EfhLNS_18Fp8KVCacheDataTypeE1EEEvPKlPT_S7_PKS6_PKT0_illlliPT3_S5_iiiiPKf
                                        ; -- End function
	.section	.AMDGPU.csdata,"",@progbits
; Kernel info:
; codeLenInByte = 5280
; NumSgprs: 49
; NumVgprs: 20
; ScratchSize: 0
; MemoryBound: 0
; FloatMode: 240
; IeeeMode: 1
; LDSByteSize: 4096 bytes/workgroup (compile time only)
; SGPRBlocks: 6
; VGPRBlocks: 2
; NumSGPRsForWavesPerEU: 49
; NumVGPRsForWavesPerEU: 20
; Occupancy: 16
; WaveLimiterHint : 1
; COMPUTE_PGM_RSRC2:SCRATCH_EN: 0
; COMPUTE_PGM_RSRC2:USER_SGPR: 15
; COMPUTE_PGM_RSRC2:TRAP_HANDLER: 0
; COMPUTE_PGM_RSRC2:TGID_X_EN: 1
; COMPUTE_PGM_RSRC2:TGID_Y_EN: 0
; COMPUTE_PGM_RSRC2:TGID_Z_EN: 0
; COMPUTE_PGM_RSRC2:TIDIG_COMP_CNT: 2
	.section	.text._ZN4vllm38concat_and_cache_mla_rope_fused_kernelIN3c108BFloat16EfLb0EfhLNS_18Fp8KVCacheDataTypeE1EEEvPKlPT_S7_PKS6_PKT0_illlliPT3_S5_iiiiPKf,"axG",@progbits,_ZN4vllm38concat_and_cache_mla_rope_fused_kernelIN3c108BFloat16EfLb0EfhLNS_18Fp8KVCacheDataTypeE1EEEvPKlPT_S7_PKS6_PKT0_illlliPT3_S5_iiiiPKf,comdat
	.protected	_ZN4vllm38concat_and_cache_mla_rope_fused_kernelIN3c108BFloat16EfLb0EfhLNS_18Fp8KVCacheDataTypeE1EEEvPKlPT_S7_PKS6_PKT0_illlliPT3_S5_iiiiPKf ; -- Begin function _ZN4vllm38concat_and_cache_mla_rope_fused_kernelIN3c108BFloat16EfLb0EfhLNS_18Fp8KVCacheDataTypeE1EEEvPKlPT_S7_PKS6_PKT0_illlliPT3_S5_iiiiPKf
	.globl	_ZN4vllm38concat_and_cache_mla_rope_fused_kernelIN3c108BFloat16EfLb0EfhLNS_18Fp8KVCacheDataTypeE1EEEvPKlPT_S7_PKS6_PKT0_illlliPT3_S5_iiiiPKf
	.p2align	8
	.type	_ZN4vllm38concat_and_cache_mla_rope_fused_kernelIN3c108BFloat16EfLb0EfhLNS_18Fp8KVCacheDataTypeE1EEEvPKlPT_S7_PKS6_PKT0_illlliPT3_S5_iiiiPKf,@function
_ZN4vllm38concat_and_cache_mla_rope_fused_kernelIN3c108BFloat16EfLb0EfhLNS_18Fp8KVCacheDataTypeE1EEEvPKlPT_S7_PKS6_PKT0_illlliPT3_S5_iiiiPKf: ; @_ZN4vllm38concat_and_cache_mla_rope_fused_kernelIN3c108BFloat16EfLb0EfhLNS_18Fp8KVCacheDataTypeE1EEEvPKlPT_S7_PKS6_PKT0_illlliPT3_S5_iiiiPKf
; %bb.0:
	s_load_b64 s[6:7], s[2:3], 0x60
	s_mov_b32 s16, s15
	s_mov_b32 s17, 0
	s_delay_alu instid0(SALU_CYCLE_1)
	s_lshl_b64 s[4:5], s[16:17], 3
	s_waitcnt lgkmcnt(0)
	s_add_u32 s6, s6, s4
	s_addc_u32 s7, s7, s5
	s_load_b64 s[28:29], s[6:7], 0x0
	s_waitcnt lgkmcnt(0)
	v_cmp_lt_i64_e64 s6, s[28:29], 0
	s_delay_alu instid0(VALU_DEP_1)
	s_and_b32 vcc_lo, exec_lo, s6
	s_cbranch_vccnz .LBB67_67
; %bb.1:
	s_clause 0x3
	s_load_b32 s21, s[2:3], 0x28
	s_load_b64 s[6:7], s[2:3], 0x0
	s_load_b128 s[12:15], s[2:3], 0x10
	s_load_b32 s17, s[2:3], 0x50
	v_and_b32_e32 v1, 0x3ff, v0
	s_delay_alu instid0(VALU_DEP_1)
	v_lshlrev_b32_e32 v4, 1, v1
	s_waitcnt lgkmcnt(0)
	s_ashr_i32 s24, s21, 31
	s_add_u32 s4, s6, s4
	s_addc_u32 s5, s7, s5
	s_lshr_b32 s20, s21, 31
	s_load_b64 s[22:23], s[4:5], 0x0
	s_clause 0x2
	s_load_b64 s[26:27], s[2:3], 0x20
	s_load_b64 s[18:19], s[2:3], 0x58
	s_load_b256 s[4:11], s[2:3], 0x30
	s_add_i32 s20, s21, s20
	s_delay_alu instid0(SALU_CYCLE_1) | instskip(NEXT) | instid1(SALU_CYCLE_1)
	s_ashr_i32 s20, s20, 1
	s_mul_i32 s17, s20, s17
	s_waitcnt lgkmcnt(0)
	s_mul_i32 s24, s22, s24
	s_mul_hi_u32 s25, s22, s21
	s_mul_i32 s23, s23, s21
	s_add_i32 s24, s25, s24
	s_mul_i32 s30, s22, s21
	s_add_i32 s31, s24, s23
	s_mov_b32 s24, exec_lo
	v_cmpx_gt_i32_e64 s17, v1
	s_cbranch_execz .LBB67_4
; %bb.2:
	s_load_b64 s[22:23], s[2:3], 0x8
	s_lshl_b64 s[34:35], s[30:31], 2
	s_mul_i32 s21, s16, s5
	s_mul_hi_u32 s33, s16, s4
	s_add_u32 s5, s26, s34
	s_mul_i32 s36, s16, s4
	s_load_b32 s4, s[2:3], 0x8c
	s_addc_u32 s25, s27, s35
	s_add_i32 s37, s33, s21
	s_ashr_i32 s21, s20, 31
	s_lshl_b64 s[34:35], s[36:37], 1
	s_mov_b32 s36, 0
	s_waitcnt lgkmcnt(0)
	s_add_u32 s33, s22, s34
	s_addc_u32 s34, s23, s35
	s_abs_i32 s35, s20
	s_sub_i32 s38, 0, s20
	v_cvt_f32_u32_e32 v2, s35
	s_sub_i32 s22, 0, s35
	s_and_b32 s37, s4, 0xffff
	s_lshl_b32 s4, s20, 1
	s_lshl_b32 s40, s37, 1
	v_rcp_iflag_f32_e32 v2, v2
	s_sub_i32 s39, 0, s4
	s_waitcnt_depctr 0xfff
	v_mul_f32_e32 v2, 0x4f7ffffe, v2
	s_delay_alu instid0(VALU_DEP_1) | instskip(NEXT) | instid1(VALU_DEP_1)
	v_cvt_u32_f32_e32 v3, v2
	v_mul_lo_u32 v2, s22, v3
	s_lshl_b64 s[22:23], s[20:21], 2
	s_delay_alu instid0(VALU_DEP_1) | instskip(NEXT) | instid1(VALU_DEP_1)
	v_mul_hi_u32 v5, v3, v2
	v_dual_mov_b32 v2, v4 :: v_dual_add_nc_u32 v5, v3, v5
	v_mov_b32_e32 v3, v1
.LBB67_3:                               ; =>This Inner Loop Header: Depth=1
	s_delay_alu instid0(VALU_DEP_1) | instskip(SKIP_1) | instid1(VALU_DEP_2)
	v_sub_nc_u32_e32 v6, 0, v3
	v_ashrrev_i32_e32 v7, 31, v3
	v_max_i32_e32 v6, v3, v6
	s_delay_alu instid0(VALU_DEP_2) | instskip(NEXT) | instid1(VALU_DEP_2)
	v_xor_b32_e32 v7, s21, v7
	v_mul_hi_u32 v8, v6, v5
	s_delay_alu instid0(VALU_DEP_1) | instskip(SKIP_1) | instid1(VALU_DEP_2)
	v_mul_lo_u32 v9, v8, s35
	v_add_nc_u32_e32 v10, 1, v8
	v_sub_nc_u32_e32 v6, v6, v9
	s_delay_alu instid0(VALU_DEP_1) | instskip(SKIP_1) | instid1(VALU_DEP_4)
	v_subrev_nc_u32_e32 v9, s35, v6
	v_cmp_le_u32_e32 vcc_lo, s35, v6
	v_cndmask_b32_e32 v8, v8, v10, vcc_lo
	s_delay_alu instid0(VALU_DEP_1) | instskip(NEXT) | instid1(VALU_DEP_1)
	v_dual_cndmask_b32 v6, v6, v9 :: v_dual_add_nc_u32 v9, 1, v8
	v_cmp_le_u32_e32 vcc_lo, s35, v6
	s_delay_alu instid0(VALU_DEP_2) | instskip(NEXT) | instid1(VALU_DEP_1)
	v_cndmask_b32_e32 v6, v8, v9, vcc_lo
	v_xor_b32_e32 v6, v6, v7
	s_delay_alu instid0(VALU_DEP_1) | instskip(NEXT) | instid1(VALU_DEP_1)
	v_sub_nc_u32_e32 v12, v6, v7
	v_mad_u64_u32 v[6:7], null, s38, v12, v[3:4]
	v_ashrrev_i32_e32 v7, 31, v12
	v_mul_lo_u32 v13, v12, s7
	v_mad_u64_u32 v[8:9], null, v12, s6, 0
	v_mad_u64_u32 v[10:11], null, s39, v12, v[2:3]
	s_delay_alu instid0(VALU_DEP_4) | instskip(SKIP_3) | instid1(VALU_DEP_3)
	v_mul_lo_u32 v12, v7, s6
	v_ashrrev_i32_e32 v7, 31, v6
	v_add_nc_u32_e32 v2, s40, v2
	v_add_nc_u32_e32 v3, s37, v3
	v_lshlrev_b64 v[6:7], 2, v[6:7]
	v_ashrrev_i32_e32 v11, 31, v10
	v_add3_u32 v9, v9, v13, v12
	s_delay_alu instid0(VALU_DEP_3) | instskip(NEXT) | instid1(VALU_DEP_4)
	v_add_co_u32 v6, vcc_lo, s5, v6
	v_add_co_ci_u32_e32 v7, vcc_lo, s25, v7, vcc_lo
	s_delay_alu instid0(VALU_DEP_3)
	v_lshlrev_b64 v[8:9], 1, v[8:9]
	v_lshlrev_b64 v[10:11], 1, v[10:11]
	global_load_b32 v12, v[6:7], off
	v_add_co_u32 v6, vcc_lo, v6, s22
	v_add_co_ci_u32_e32 v7, vcc_lo, s23, v7, vcc_lo
	v_add_co_u32 v8, vcc_lo, s33, v8
	v_add_co_ci_u32_e32 v9, vcc_lo, s34, v9, vcc_lo
	global_load_b32 v13, v[6:7], off
	v_add_co_u32 v6, vcc_lo, v8, v10
	v_add_co_ci_u32_e32 v7, vcc_lo, v9, v11, vcc_lo
	global_load_b32 v8, v[6:7], off
	s_waitcnt vmcnt(2)
	v_bfe_u32 v9, v12, 16, 1
	v_cmp_o_f32_e32 vcc_lo, v12, v12
	s_delay_alu instid0(VALU_DEP_2) | instskip(SKIP_2) | instid1(VALU_DEP_2)
	v_add3_u32 v9, v12, v9, 0x7fff
	s_waitcnt vmcnt(1)
	v_bfe_u32 v10, v13, 16, 1
	v_and_b32_e32 v9, 0xffff0000, v9
	s_delay_alu instid0(VALU_DEP_2) | instskip(NEXT) | instid1(VALU_DEP_2)
	v_add3_u32 v10, v13, v10, 0x7fff
	v_cndmask_b32_e32 v9, 0x7fc00000, v9, vcc_lo
	v_cmp_o_f32_e32 vcc_lo, v13, v13
	s_waitcnt vmcnt(0)
	v_lshlrev_b32_e32 v11, 16, v8
	v_and_b32_e32 v8, 0xffff0000, v8
	v_and_b32_e32 v10, 0xffff0000, v10
	s_delay_alu instid0(VALU_DEP_3) | instskip(NEXT) | instid1(VALU_DEP_2)
	v_mul_f32_e32 v12, v9, v11
	v_dual_mul_f32 v9, v9, v8 :: v_dual_cndmask_b32 v10, 0x7fc00000, v10
	s_delay_alu instid0(VALU_DEP_2) | instskip(NEXT) | instid1(VALU_DEP_2)
	v_bfe_u32 v13, v12, 16, 1
	v_cmp_o_f32_e64 s4, v9, v9
	s_delay_alu instid0(VALU_DEP_3) | instskip(SKIP_3) | instid1(VALU_DEP_2)
	v_mul_f32_e32 v8, v10, v8
	v_mul_f32_e32 v10, v10, v11
	v_bfe_u32 v11, v9, 16, 1
	v_add3_u32 v13, v12, v13, 0x7fff
	v_add3_u32 v11, v9, v11, 0x7fff
	s_delay_alu instid0(VALU_DEP_2) | instskip(SKIP_1) | instid1(VALU_DEP_3)
	v_and_b32_e32 v13, 0xffff0000, v13
	v_cmp_o_f32_e32 vcc_lo, v12, v12
	v_and_b32_e32 v11, 0xffff0000, v11
	v_bfe_u32 v14, v8, 16, 1
	s_delay_alu instid0(VALU_DEP_4) | instskip(NEXT) | instid1(VALU_DEP_3)
	v_cndmask_b32_e32 v13, 0x7fc00000, v13, vcc_lo
	v_cndmask_b32_e64 v11, 0x7fc00000, v11, s4
	s_delay_alu instid0(VALU_DEP_3) | instskip(SKIP_1) | instid1(VALU_DEP_2)
	v_add3_u32 v14, v8, v14, 0x7fff
	v_cmp_o_f32_e64 s4, v8, v8
	v_and_b32_e32 v9, 0xffff0000, v14
	v_bfe_u32 v15, v10, 16, 1
	v_cmp_o_f32_e32 vcc_lo, v10, v10
	s_delay_alu instid0(VALU_DEP_3) | instskip(NEXT) | instid1(VALU_DEP_3)
	v_cndmask_b32_e64 v8, 0x7fc00000, v9, s4
	v_add3_u32 v15, v10, v15, 0x7fff
	s_delay_alu instid0(VALU_DEP_2) | instskip(NEXT) | instid1(VALU_DEP_2)
	v_sub_f32_e32 v8, v13, v8
	v_and_b32_e32 v12, 0xffff0000, v15
	s_delay_alu instid0(VALU_DEP_2) | instskip(NEXT) | instid1(VALU_DEP_2)
	v_bfe_u32 v10, v8, 16, 1
	v_cndmask_b32_e32 v9, 0x7fc00000, v12, vcc_lo
	v_cmp_o_f32_e64 s4, v8, v8
	s_delay_alu instid0(VALU_DEP_3) | instskip(NEXT) | instid1(VALU_DEP_3)
	v_add3_u32 v10, v8, v10, 0x7fff
	v_add_f32_e32 v9, v11, v9
	s_delay_alu instid0(VALU_DEP_2) | instskip(NEXT) | instid1(VALU_DEP_2)
	v_lshrrev_b32_e32 v10, 16, v10
	v_bfe_u32 v11, v9, 16, 1
	v_cmp_o_f32_e32 vcc_lo, v9, v9
	s_delay_alu instid0(VALU_DEP_3) | instskip(NEXT) | instid1(VALU_DEP_3)
	v_cndmask_b32_e64 v8, 0x7fc0, v10, s4
	v_add3_u32 v11, v9, v11, 0x7fff
	s_delay_alu instid0(VALU_DEP_1) | instskip(NEXT) | instid1(VALU_DEP_1)
	v_lshrrev_b32_e32 v11, 16, v11
	v_cndmask_b32_e32 v9, 0x7fc0, v11, vcc_lo
	v_cmp_le_i32_e32 vcc_lo, s17, v3
	s_delay_alu instid0(VALU_DEP_2)
	v_perm_b32 v8, v9, v8, 0x5040100
	s_or_b32 s36, vcc_lo, s36
	global_store_b32 v[6:7], v8, off
	s_and_not1_b32 exec_lo, exec_lo, s36
	s_cbranch_execnz .LBB67_3
.LBB67_4:
	s_or_b32 exec_lo, exec_lo, s24
	s_load_b128 s[4:7], s[2:3], 0x68
	s_waitcnt lgkmcnt(0)
	s_ashr_i32 s35, s7, 31
	s_mov_b32 s34, s7
	s_delay_alu instid0(SALU_CYCLE_1) | instskip(SKIP_1) | instid1(SALU_CYCLE_1)
	s_or_b64 s[24:25], s[28:29], s[34:35]
	s_mov_b32 s24, 0
	s_cmp_lg_u64 s[24:25], 0
	s_cbranch_scc0 .LBB67_68
; %bb.5:
	s_add_u32 s36, s34, s35
	s_mov_b32 s22, s35
	s_mov_b32 s23, s35
	s_addc_u32 s37, s35, s35
	s_delay_alu instid0(SALU_CYCLE_1) | instskip(NEXT) | instid1(SALU_CYCLE_1)
	s_xor_b64 s[36:37], s[36:37], s[22:23]
	v_cvt_f32_u32_e32 v2, s36
	v_cvt_f32_u32_e32 v3, s37
	s_sub_u32 s21, 0, s36
	s_subb_u32 s25, 0, s37
	s_delay_alu instid0(VALU_DEP_1) | instskip(NEXT) | instid1(VALU_DEP_1)
	v_fmamk_f32 v2, v3, 0x4f800000, v2
	v_rcp_f32_e32 v2, v2
	s_waitcnt_depctr 0xfff
	v_mul_f32_e32 v2, 0x5f7ffffc, v2
	s_delay_alu instid0(VALU_DEP_1) | instskip(NEXT) | instid1(VALU_DEP_1)
	v_mul_f32_e32 v3, 0x2f800000, v2
	v_trunc_f32_e32 v3, v3
	s_delay_alu instid0(VALU_DEP_1) | instskip(SKIP_1) | instid1(VALU_DEP_2)
	v_fmamk_f32 v2, v3, 0xcf800000, v2
	v_cvt_u32_f32_e32 v3, v3
	v_cvt_u32_f32_e32 v2, v2
	s_delay_alu instid0(VALU_DEP_2) | instskip(NEXT) | instid1(VALU_DEP_2)
	v_readfirstlane_b32 s7, v3
	v_readfirstlane_b32 s17, v2
	s_delay_alu instid0(VALU_DEP_2) | instskip(NEXT) | instid1(VALU_DEP_1)
	s_mul_i32 s33, s21, s7
	s_mul_hi_u32 s39, s21, s17
	s_mul_i32 s38, s25, s17
	s_add_i32 s33, s39, s33
	s_mul_i32 s40, s21, s17
	s_add_i32 s33, s33, s38
	s_mul_hi_u32 s39, s17, s40
	s_mul_hi_u32 s41, s7, s40
	s_mul_i32 s38, s7, s40
	s_mul_hi_u32 s40, s17, s33
	s_mul_i32 s17, s17, s33
	s_mul_hi_u32 s42, s7, s33
	s_add_u32 s17, s39, s17
	s_addc_u32 s39, 0, s40
	s_add_u32 s17, s17, s38
	s_mul_i32 s33, s7, s33
	s_addc_u32 s17, s39, s41
	s_addc_u32 s38, s42, 0
	s_add_u32 s17, s17, s33
	s_addc_u32 s33, 0, s38
	v_add_co_u32 v2, s17, v2, s17
	s_delay_alu instid0(VALU_DEP_1) | instskip(SKIP_1) | instid1(VALU_DEP_1)
	s_cmp_lg_u32 s17, 0
	s_addc_u32 s7, s7, s33
	v_readfirstlane_b32 s17, v2
	s_mul_i32 s33, s21, s7
	s_delay_alu instid0(VALU_DEP_1)
	s_mul_hi_u32 s38, s21, s17
	s_mul_i32 s25, s25, s17
	s_add_i32 s33, s38, s33
	s_mul_i32 s21, s21, s17
	s_add_i32 s33, s33, s25
	s_mul_hi_u32 s38, s7, s21
	s_mul_i32 s39, s7, s21
	s_mul_hi_u32 s21, s17, s21
	s_mul_hi_u32 s40, s17, s33
	s_mul_i32 s17, s17, s33
	s_mul_hi_u32 s25, s7, s33
	s_add_u32 s17, s21, s17
	s_addc_u32 s21, 0, s40
	s_add_u32 s17, s17, s39
	s_mul_i32 s33, s7, s33
	s_addc_u32 s17, s21, s38
	s_addc_u32 s21, s25, 0
	s_add_u32 s17, s17, s33
	s_addc_u32 s21, 0, s21
	v_add_co_u32 v2, s17, v2, s17
	s_delay_alu instid0(VALU_DEP_1) | instskip(SKIP_2) | instid1(VALU_DEP_1)
	s_cmp_lg_u32 s17, 0
	s_addc_u32 s7, s7, s21
	s_ashr_i32 s38, s29, 31
	v_readfirstlane_b32 s17, v2
	s_add_u32 s40, s28, s38
	s_mov_b32 s39, s38
	s_addc_u32 s41, s29, s38
	s_delay_alu instid0(SALU_CYCLE_1) | instskip(NEXT) | instid1(SALU_CYCLE_1)
	s_xor_b64 s[40:41], s[40:41], s[38:39]
	s_mul_i32 s25, s40, s7
	s_mul_hi_u32 s33, s40, s17
	s_mul_hi_u32 s21, s40, s7
	;; [unrolled: 1-line block ×3, first 2 shown]
	s_mul_i32 s17, s41, s17
	s_add_u32 s25, s33, s25
	s_addc_u32 s21, 0, s21
	s_mul_hi_u32 s42, s41, s7
	s_add_u32 s17, s25, s17
	s_mul_i32 s7, s41, s7
	s_addc_u32 s17, s21, s43
	s_addc_u32 s21, s42, 0
	s_add_u32 s7, s17, s7
	s_addc_u32 s17, 0, s21
	s_mul_hi_u32 s21, s36, s7
	s_mul_i32 s33, s36, s17
	s_mul_i32 s42, s36, s7
	s_add_i32 s21, s21, s33
	v_sub_co_u32 v2, s33, s40, s42
	s_mul_i32 s25, s37, s7
	s_delay_alu instid0(SALU_CYCLE_1) | instskip(NEXT) | instid1(VALU_DEP_1)
	s_add_i32 s21, s21, s25
	v_sub_co_u32 v3, s40, v2, s36
	s_sub_i32 s25, s41, s21
	s_cmp_lg_u32 s33, 0
	s_subb_u32 s25, s25, s37
	s_cmp_lg_u32 s40, 0
	v_readfirstlane_b32 s40, v3
	s_subb_u32 s25, s25, 0
	s_delay_alu instid0(SALU_CYCLE_1) | instskip(SKIP_1) | instid1(VALU_DEP_1)
	s_cmp_ge_u32 s25, s37
	s_cselect_b32 s42, -1, 0
	s_cmp_ge_u32 s40, s36
	s_cselect_b32 s40, -1, 0
	s_cmp_eq_u32 s25, s37
	s_cselect_b32 s25, s40, s42
	s_add_u32 s40, s7, 1
	s_addc_u32 s42, s17, 0
	s_add_u32 s43, s7, 2
	s_addc_u32 s44, s17, 0
	s_cmp_lg_u32 s25, 0
	s_cselect_b32 s25, s43, s40
	s_cselect_b32 s40, s44, s42
	s_cmp_lg_u32 s33, 0
	v_readfirstlane_b32 s33, v2
	s_subb_u32 s21, s41, s21
	s_delay_alu instid0(SALU_CYCLE_1) | instskip(SKIP_1) | instid1(VALU_DEP_1)
	s_cmp_ge_u32 s21, s37
	s_cselect_b32 s41, -1, 0
	s_cmp_ge_u32 s33, s36
	s_cselect_b32 s33, -1, 0
	s_cmp_eq_u32 s21, s37
	s_cselect_b32 s21, s33, s41
	s_delay_alu instid0(SALU_CYCLE_1) | instskip(SKIP_3) | instid1(SALU_CYCLE_1)
	s_cmp_lg_u32 s21, 0
	s_cselect_b32 s37, s40, s17
	s_cselect_b32 s36, s25, s7
	s_xor_b64 s[22:23], s[38:39], s[22:23]
	s_xor_b64 s[36:37], s[36:37], s[22:23]
	s_delay_alu instid0(SALU_CYCLE_1)
	s_sub_u32 s22, s36, s22
	s_subb_u32 s23, s37, s23
	s_and_not1_b32 vcc_lo, exec_lo, s24
	s_cbranch_vccnz .LBB67_7
.LBB67_6:
	v_cvt_f32_u32_e32 v2, s34
	s_sub_i32 s17, 0, s34
	s_mov_b32 s23, 0
	s_delay_alu instid0(VALU_DEP_1) | instskip(SKIP_2) | instid1(VALU_DEP_1)
	v_rcp_iflag_f32_e32 v2, v2
	s_waitcnt_depctr 0xfff
	v_mul_f32_e32 v2, 0x4f7ffffe, v2
	v_cvt_u32_f32_e32 v2, v2
	s_delay_alu instid0(VALU_DEP_1) | instskip(NEXT) | instid1(VALU_DEP_1)
	v_readfirstlane_b32 s7, v2
	s_mul_i32 s17, s17, s7
	s_delay_alu instid0(SALU_CYCLE_1) | instskip(NEXT) | instid1(SALU_CYCLE_1)
	s_mul_hi_u32 s17, s7, s17
	s_add_i32 s7, s7, s17
	s_delay_alu instid0(SALU_CYCLE_1) | instskip(NEXT) | instid1(SALU_CYCLE_1)
	s_mul_hi_u32 s7, s28, s7
	s_mul_i32 s17, s7, s34
	s_add_i32 s21, s7, 1
	s_sub_i32 s17, s28, s17
	s_delay_alu instid0(SALU_CYCLE_1)
	s_sub_i32 s22, s17, s34
	s_cmp_ge_u32 s17, s34
	s_cselect_b32 s7, s21, s7
	s_cselect_b32 s17, s22, s17
	s_add_i32 s21, s7, 1
	s_cmp_ge_u32 s17, s34
	s_cselect_b32 s22, s21, s7
.LBB67_7:
	s_load_b64 s[24:25], s[2:3], 0x78
	s_mul_i32 s7, s22, s35
	s_mul_hi_u32 s17, s22, s34
	s_mul_i32 s21, s22, s34
	s_add_i32 s7, s17, s7
	s_mul_i32 s17, s23, s34
	s_mul_i32 s33, s23, s4
	s_add_i32 s17, s7, s17
	s_sub_u32 s7, s28, s21
	s_subb_u32 s17, s29, s17
	s_mul_hi_u32 s29, s22, s4
	s_mul_i32 s34, s22, s4
	s_mul_hi_u32 s28, s7, s5
	s_mul_i32 s17, s17, s5
	s_mul_i32 s23, s7, s5
	s_mov_b32 s35, exec_lo
	v_cmpx_gt_i32_e64 s20, v1
	s_cbranch_execz .LBB67_46
; %bb.8:
	s_load_b64 s[36:37], s[0:1], 0x4
	s_load_b32 s0, s[2:3], 0x8c
	s_ashr_i32 s40, s4, 31
	s_ashr_i32 s41, s5, 31
	v_bfe_u32 v2, v0, 10, 10
	v_bfe_u32 v3, v0, 20, 10
	s_lshl_b64 s[38:39], s[30:31], 2
	s_mul_i32 s30, s22, s40
	s_mul_i32 s40, s7, s41
	s_add_i32 s30, s29, s30
	s_add_i32 s40, s28, s40
	v_lshlrev_b32_e32 v5, 2, v1
	s_ashr_i32 s21, s20, 31
	s_ashr_i32 s42, s6, 31
	s_mul_i32 s9, s9, s16
	s_mul_hi_u32 s31, s8, s16
	s_add_i32 s41, s30, s33
	s_add_i32 s40, s40, s17
	s_mul_i32 s8, s8, s16
	s_waitcnt lgkmcnt(0)
	s_load_b32 s1, s[24:25], 0x0
	s_lshr_b32 s36, s36, 16
	s_and_b32 s30, s0, 0xffff
	s_mul_i32 s36, s36, s37
	s_add_u32 s0, s26, s38
	v_mul_lo_u32 v0, s36, v1
	s_addc_u32 s27, s27, s39
	s_add_i32 s9, s31, s9
	s_lshl_b32 s26, s30, 2
	s_lshl_b64 s[8:9], s[8:9], 1
	s_lshl_b64 s[38:39], s[20:21], 2
	v_mov_b32_e32 v17, v1
	s_delay_alu instid0(VALU_DEP_2) | instskip(SKIP_1) | instid1(VALU_DEP_1)
	v_mad_u32_u24 v2, v2, s37, v0
	v_add_co_u32 v0, s0, s0, v5
	v_add_co_ci_u32_e64 v10, null, s27, 0, s0
	s_add_u32 s0, s12, s8
	s_addc_u32 s8, s13, s9
	s_add_u32 s9, s34, s23
	s_addc_u32 s12, s41, s40
	;; [unrolled: 2-line block ×3, first 2 shown]
	s_add_u32 s9, s13, s9
	v_add_lshl_u32 v11, v2, v3, 1
	s_addc_u32 s12, s21, s12
	v_add_co_u32 v2, s9, s9, v4
	v_add_co_u32 v12, vcc_lo, v0, s38
	v_add_co_ci_u32_e64 v3, null, s12, 0, s9
	v_add_co_ci_u32_e32 v13, vcc_lo, s39, v10, vcc_lo
	v_add_co_u32 v15, s0, s0, v5
	v_add_co_u32 v2, vcc_lo, v2, 1
	v_dual_mov_b32 v5, 0 :: v_dual_add_nc_u32 v14, 0x800, v11
	v_add_co_ci_u32_e64 v16, null, s8, 0, s0
	v_add_co_ci_u32_e32 v3, vcc_lo, 0, v3, vcc_lo
	s_mov_b32 s12, 0
	s_lshl_b32 s13, s30, 1
	s_mov_b64 s[8:9], 0
	s_branch .LBB67_10
.LBB67_9:                               ;   in Loop: Header=BB67_10 Depth=1
	s_or_b32 exec_lo, exec_lo, s0
	v_add_nc_u32_e32 v17, s30, v17
	global_store_b8 v[2:3], v8, off
	v_add_co_u32 v2, s0, v2, s13
	s_delay_alu instid0(VALU_DEP_1) | instskip(SKIP_4) | instid1(SALU_CYCLE_1)
	v_add_co_ci_u32_e64 v3, s0, 0, v3, s0
	v_cmp_le_i32_e32 vcc_lo, s20, v17
	s_add_u32 s8, s8, s26
	s_addc_u32 s9, s9, 0
	s_or_b32 s12, vcc_lo, s12
	s_and_not1_b32 exec_lo, exec_lo, s12
	s_cbranch_execz .LBB67_46
.LBB67_10:                              ; =>This Inner Loop Header: Depth=1
	v_add_co_u32 v6, vcc_lo, v0, s8
	v_add_co_ci_u32_e32 v7, vcc_lo, s9, v10, vcc_lo
	v_add_co_u32 v8, vcc_lo, v12, s8
	v_add_co_ci_u32_e32 v9, vcc_lo, s9, v13, vcc_lo
	v_add_co_u32 v20, vcc_lo, v15, s8
	s_clause 0x1
	global_load_b32 v4, v[6:7], off
	global_load_b32 v6, v[8:9], off
	v_add_co_ci_u32_e32 v21, vcc_lo, s9, v16, vcc_lo
	global_load_b32 v7, v[20:21], off
	s_waitcnt vmcnt(2)
	v_bfe_u32 v8, v4, 16, 1
	s_waitcnt vmcnt(1)
	v_bfe_u32 v9, v6, 16, 1
	v_cmp_o_f32_e32 vcc_lo, v4, v4
	s_delay_alu instid0(VALU_DEP_3) | instskip(NEXT) | instid1(VALU_DEP_3)
	v_add3_u32 v8, v4, v8, 0x7fff
	v_add3_u32 v9, v6, v9, 0x7fff
	s_waitcnt vmcnt(0)
	v_lshlrev_b32_e32 v18, 16, v7
	v_and_b32_e32 v7, 0xffff0000, v7
	v_and_b32_e32 v8, 0xffff0000, v8
	s_delay_alu instid0(VALU_DEP_1) | instskip(SKIP_2) | instid1(VALU_DEP_3)
	v_cndmask_b32_e32 v4, 0x7fc00000, v8, vcc_lo
	v_and_b32_e32 v9, 0xffff0000, v9
	v_cmp_o_f32_e32 vcc_lo, v6, v6
	v_mul_f32_e32 v8, v4, v18
	s_delay_alu instid0(VALU_DEP_3) | instskip(NEXT) | instid1(VALU_DEP_2)
	v_cndmask_b32_e32 v6, 0x7fc00000, v9, vcc_lo
	v_bfe_u32 v19, v8, 16, 1
	v_cmp_o_f32_e32 vcc_lo, v8, v8
	s_delay_alu instid0(VALU_DEP_3) | instskip(NEXT) | instid1(VALU_DEP_3)
	v_mul_f32_e32 v9, v6, v7
	v_add3_u32 v19, v8, v19, 0x7fff
	s_delay_alu instid0(VALU_DEP_2) | instskip(NEXT) | instid1(VALU_DEP_2)
	v_bfe_u32 v22, v9, 16, 1
	v_and_b32_e32 v19, 0xffff0000, v19
	s_delay_alu instid0(VALU_DEP_2) | instskip(NEXT) | instid1(VALU_DEP_2)
	v_add3_u32 v22, v9, v22, 0x7fff
	v_cndmask_b32_e32 v8, 0x7fc00000, v19, vcc_lo
	v_cmp_o_f32_e32 vcc_lo, v9, v9
	s_delay_alu instid0(VALU_DEP_3) | instskip(NEXT) | instid1(VALU_DEP_1)
	v_and_b32_e32 v22, 0xffff0000, v22
	v_cndmask_b32_e32 v9, 0x7fc00000, v22, vcc_lo
	v_mul_f32_e32 v6, v6, v18
	s_delay_alu instid0(VALU_DEP_2) | instskip(NEXT) | instid1(VALU_DEP_2)
	v_sub_f32_e32 v8, v8, v9
	v_bfe_u32 v19, v6, 16, 1
	v_mul_f32_e32 v4, v4, v7
	s_delay_alu instid0(VALU_DEP_3) | instskip(SKIP_1) | instid1(VALU_DEP_4)
	v_bfe_u32 v9, v8, 16, 1
	v_cmp_o_f32_e32 vcc_lo, v8, v8
	v_add3_u32 v19, v6, v19, 0x7fff
	s_delay_alu instid0(VALU_DEP_4) | instskip(NEXT) | instid1(VALU_DEP_4)
	v_bfe_u32 v18, v4, 16, 1
	v_add3_u32 v9, v8, v9, 0x7fff
	s_delay_alu instid0(VALU_DEP_2) | instskip(NEXT) | instid1(VALU_DEP_2)
	v_add3_u32 v18, v4, v18, 0x7fff
	v_lshrrev_b32_e32 v9, 16, v9
	s_delay_alu instid0(VALU_DEP_2) | instskip(NEXT) | instid1(VALU_DEP_2)
	v_and_b32_e32 v18, 0xffff0000, v18
	v_cndmask_b32_e32 v9, 0x7fc0, v9, vcc_lo
	v_cmp_o_f32_e32 vcc_lo, v4, v4
	ds_store_b16 v14, v9
	ds_load_b32 v8, v14
	v_cndmask_b32_e32 v4, 0x7fc00000, v18, vcc_lo
	v_cmp_o_f32_e32 vcc_lo, v6, v6
	s_waitcnt lgkmcnt(0)
	v_div_scale_f32 v7, null, s1, s1, v8
	s_delay_alu instid0(VALU_DEP_1) | instskip(SKIP_2) | instid1(VALU_DEP_1)
	v_rcp_f32_e32 v22, v7
	s_waitcnt_depctr 0xfff
	v_fma_f32 v23, -v7, v22, 1.0
	v_dual_fmac_f32 v22, v23, v22 :: v_dual_and_b32 v19, 0xffff0000, v19
	s_delay_alu instid0(VALU_DEP_1) | instskip(SKIP_1) | instid1(VALU_DEP_2)
	v_cndmask_b32_e32 v6, 0x7fc00000, v19, vcc_lo
	v_div_scale_f32 v18, vcc_lo, v8, s1, v8
	v_add_f32_e32 v4, v4, v6
	s_delay_alu instid0(VALU_DEP_2) | instskip(NEXT) | instid1(VALU_DEP_2)
	v_mul_f32_e32 v6, v18, v22
	v_bfe_u32 v19, v4, 16, 1
	s_delay_alu instid0(VALU_DEP_2) | instskip(SKIP_1) | instid1(VALU_DEP_3)
	v_fma_f32 v23, -v7, v6, v18
	v_cmp_o_f32_e64 s0, v4, v4
	v_add3_u32 v19, v4, v19, 0x7fff
	s_delay_alu instid0(VALU_DEP_3) | instskip(NEXT) | instid1(VALU_DEP_2)
	v_dual_fmac_f32 v6, v23, v22 :: v_dual_mov_b32 v23, v5
	v_lshrrev_b32_e32 v19, 16, v19
	s_delay_alu instid0(VALU_DEP_2) | instskip(NEXT) | instid1(VALU_DEP_2)
	v_fma_f32 v7, -v7, v6, v18
	v_cndmask_b32_e64 v4, 0x7fc0, v19, s0
	s_delay_alu instid0(VALU_DEP_2)
	v_div_fmas_f32 v6, v7, v22, v6
	s_mov_b32 s0, exec_lo
	ds_store_b16 v11, v4
	ds_load_b32 v18, v11
	v_div_fixup_f32 v6, v6, s1, v8
	v_perm_b32 v9, v4, v9, 0x5040100
	s_delay_alu instid0(VALU_DEP_2) | instskip(SKIP_4) | instid1(VALU_DEP_1)
	v_lshrrev_b32_e32 v8, 24, v6
	v_and_b32_e32 v22, 0x7f800000, v6
	v_and_b32_e32 v4, 0x7fffff, v6
	global_store_b32 v[20:21], v9, off
	v_and_b32_e32 v19, 0x80, v8
	v_or_b32_e32 v7, 0x7e, v19
	v_cmpx_ne_u64_e32 0x7f800000, v[22:23]
	s_xor_b32 s21, exec_lo, s0
	s_cbranch_execz .LBB67_26
; %bb.11:                               ;   in Loop: Header=BB67_10 Depth=1
	v_dual_mov_b32 v9, v5 :: v_dual_and_b32 v8, 0x7fffffff, v6
	s_mov_b32 s0, exec_lo
	s_delay_alu instid0(VALU_DEP_1)
	v_cmpx_gt_u64_e32 0x43e00001, v[8:9]
	s_xor_b32 s27, exec_lo, s0
	s_cbranch_execz .LBB67_25
; %bb.12:                               ;   in Loop: Header=BB67_10 Depth=1
	v_mov_b32_e32 v7, 0
	s_mov_b32 s31, exec_lo
	v_cmpx_ne_u32_e32 0, v6
	s_cbranch_execz .LBB67_24
; %bb.13:                               ;   in Loop: Header=BB67_10 Depth=1
	v_bfe_u32 v20, v6, 23, 8
	v_or_b32_e32 v8, 0x800000, v4
	s_delay_alu instid0(VALU_DEP_2) | instskip(SKIP_1) | instid1(VALU_DEP_2)
	v_sub_nc_u32_e32 v6, 0x79, v20
	v_cmp_gt_u32_e32 vcc_lo, 0x7a, v20
	v_cndmask_b32_e32 v6, 0, v6, vcc_lo
	v_cmp_eq_u32_e32 vcc_lo, 0, v20
	s_delay_alu instid0(VALU_DEP_2) | instskip(SKIP_1) | instid1(VALU_DEP_2)
	v_cndmask_b32_e64 v21, v6, 0x78, vcc_lo
	v_cndmask_b32_e32 v4, v8, v4, vcc_lo
	v_add_nc_u32_e32 v6, 20, v21
	v_add_nc_u32_e32 v8, 19, v21
	s_delay_alu instid0(VALU_DEP_2) | instskip(NEXT) | instid1(VALU_DEP_2)
	v_lshlrev_b64 v[6:7], v6, -1
	v_lshlrev_b64 v[8:9], v8, 1
	s_delay_alu instid0(VALU_DEP_2) | instskip(NEXT) | instid1(VALU_DEP_3)
	v_not_b32_e32 v7, v7
	v_not_b32_e32 v6, v6
	s_delay_alu instid0(VALU_DEP_2) | instskip(NEXT) | instid1(VALU_DEP_2)
	v_and_b32_e32 v23, 0, v7
	v_and_b32_e32 v22, v4, v6
	v_lshrrev_b64 v[6:7], v21, v[4:5]
	s_delay_alu instid0(VALU_DEP_2) | instskip(NEXT) | instid1(VALU_DEP_2)
	v_cmp_eq_u64_e64 s0, v[22:23], v[8:9]
	v_dual_mov_b32 v9, v7 :: v_dual_mov_b32 v8, v6
	s_delay_alu instid0(VALU_DEP_2)
	s_and_saveexec_b32 s36, s0
; %bb.14:                               ;   in Loop: Header=BB67_10 Depth=1
	v_bfe_u32 v4, v6, 20, 1
	s_delay_alu instid0(VALU_DEP_1) | instskip(NEXT) | instid1(VALU_DEP_1)
	v_add_co_u32 v4, s0, v6, v4
	v_add_co_u32 v8, s0, v4, -1
; %bb.15:                               ;   in Loop: Header=BB67_10 Depth=1
	s_or_b32 exec_lo, exec_lo, s36
	v_add_nc_u32_e32 v4, 0xffffff81, v20
	v_lshrrev_b32_e32 v9, 23, v6
	s_mov_b32 s0, exec_lo
	s_delay_alu instid0(VALU_DEP_2) | instskip(NEXT) | instid1(VALU_DEP_1)
	v_cndmask_b32_e64 v4, v4, 0xffffff82, vcc_lo
	v_add3_u32 v9, v21, v4, v9
	v_and_b32_e32 v4, 0xfffff, v8
	s_delay_alu instid0(VALU_DEP_2) | instskip(NEXT) | instid1(VALU_DEP_2)
	v_add_nc_u32_e32 v8, 6, v9
	v_add_co_u32 v6, vcc_lo, v4, v6
	v_add_co_ci_u32_e32 v7, vcc_lo, 0, v7, vcc_lo
                                        ; implicit-def: $vgpr4
	s_delay_alu instid0(VALU_DEP_3)
	v_cmpx_ne_u32_e32 0, v8
	s_xor_b32 s0, exec_lo, s0
; %bb.16:                               ;   in Loop: Header=BB67_10 Depth=1
	s_delay_alu instid0(VALU_DEP_2) | instskip(SKIP_1) | instid1(VALU_DEP_1)
	v_cmp_lt_u64_e32 vcc_lo, 0xffffff, v[6:7]
	v_add_nc_u32_e32 v4, 7, v9
	v_cndmask_b32_e32 v4, v8, v4, vcc_lo
	v_cndmask_b32_e64 v8, 0, 1, vcc_lo
	s_delay_alu instid0(VALU_DEP_1)
	v_lshrrev_b64 v[6:7], v8, v[6:7]
; %bb.17:                               ;   in Loop: Header=BB67_10 Depth=1
	s_and_not1_saveexec_b32 s0, s0
; %bb.18:                               ;   in Loop: Header=BB67_10 Depth=1
	s_delay_alu instid0(VALU_DEP_1)
	v_bfe_u32 v4, v6, 23, 1
; %bb.19:                               ;   in Loop: Header=BB67_10 Depth=1
	s_or_b32 exec_lo, exec_lo, s0
	s_delay_alu instid0(VALU_DEP_2) | instskip(NEXT) | instid1(VALU_DEP_2)
	v_lshrrev_b64 v[6:7], 20, v[6:7]
	v_cmp_gt_i32_e32 vcc_lo, 16, v4
	v_cmp_ne_u32_e64 s0, 0, v4
	s_delay_alu instid0(VALU_DEP_3) | instskip(NEXT) | instid1(VALU_DEP_1)
	v_dual_cndmask_b32 v7, 0, v7 :: v_dual_cndmask_b32 v6, 7, v6
	v_cmp_ne_u64_e32 vcc_lo, 0, v[6:7]
                                        ; implicit-def: $vgpr7
	s_delay_alu instid0(VALU_DEP_3) | instskip(NEXT) | instid1(SALU_CYCLE_1)
	s_or_b32 s0, s0, vcc_lo
	s_and_saveexec_b32 s36, s0
	s_delay_alu instid0(SALU_CYCLE_1)
	s_xor_b32 s0, exec_lo, s36
; %bb.20:                               ;   in Loop: Header=BB67_10 Depth=1
	v_min_i32_e32 v4, 15, v4
	s_delay_alu instid0(VALU_DEP_1) | instskip(NEXT) | instid1(VALU_DEP_1)
	v_lshl_or_b32 v4, v4, 3, v19
                                        ; implicit-def: $vgpr19
	v_and_or_b32 v7, v6, 7, v4
; %bb.21:                               ;   in Loop: Header=BB67_10 Depth=1
	s_and_not1_saveexec_b32 s0, s0
; %bb.22:                               ;   in Loop: Header=BB67_10 Depth=1
	v_mov_b32_e32 v7, v19
; %bb.23:                               ;   in Loop: Header=BB67_10 Depth=1
	s_or_b32 exec_lo, exec_lo, s0
.LBB67_24:                              ;   in Loop: Header=BB67_10 Depth=1
	s_delay_alu instid0(SALU_CYCLE_1)
	s_or_b32 exec_lo, exec_lo, s31
.LBB67_25:                              ;   in Loop: Header=BB67_10 Depth=1
	s_and_not1_saveexec_b32 s0, s27
	s_delay_alu instid0(SALU_CYCLE_1)
	s_or_b32 exec_lo, exec_lo, s0
                                        ; implicit-def: $vgpr8
.LBB67_26:                              ;   in Loop: Header=BB67_10 Depth=1
	s_and_not1_saveexec_b32 s0, s21
; %bb.27:                               ;   in Loop: Header=BB67_10 Depth=1
	v_cmp_eq_u64_e32 vcc_lo, 0, v[4:5]
	v_or_b32_e32 v6, 0x7f, v8
	s_delay_alu instid0(VALU_DEP_1)
	v_cndmask_b32_e32 v7, v6, v7, vcc_lo
; %bb.28:                               ;   in Loop: Header=BB67_10 Depth=1
	s_or_b32 exec_lo, exec_lo, s0
	s_waitcnt lgkmcnt(0)
	v_div_scale_f32 v4, null, s1, s1, v18
	global_store_b8 v[2:3], v7, off offset:-1
	s_mov_b32 s0, exec_lo
	v_mov_b32_e32 v20, v5
	v_rcp_f32_e32 v6, v4
	s_waitcnt_depctr 0xfff
	v_fma_f32 v8, -v4, v6, 1.0
	s_delay_alu instid0(VALU_DEP_1) | instskip(SKIP_1) | instid1(VALU_DEP_1)
	v_fmac_f32_e32 v6, v8, v6
	v_div_scale_f32 v8, vcc_lo, v18, s1, v18
	v_mul_f32_e32 v9, v8, v6
	s_delay_alu instid0(VALU_DEP_1) | instskip(NEXT) | instid1(VALU_DEP_1)
	v_fma_f32 v19, -v4, v9, v8
	v_fmac_f32_e32 v9, v19, v6
	s_delay_alu instid0(VALU_DEP_1) | instskip(NEXT) | instid1(VALU_DEP_1)
	v_fma_f32 v4, -v4, v9, v8
	v_div_fmas_f32 v4, v4, v6, v9
	s_delay_alu instid0(VALU_DEP_1) | instskip(NEXT) | instid1(VALU_DEP_1)
	v_div_fixup_f32 v6, v4, s1, v18
	v_lshrrev_b32_e32 v9, 24, v6
	v_and_b32_e32 v19, 0x7f800000, v6
	v_and_b32_e32 v4, 0x7fffff, v6
	s_delay_alu instid0(VALU_DEP_3) | instskip(NEXT) | instid1(VALU_DEP_1)
	v_and_b32_e32 v18, 0x80, v9
	v_or_b32_e32 v8, 0x7e, v18
	s_delay_alu instid0(VALU_DEP_4)
	v_cmpx_ne_u64_e32 0x7f800000, v[19:20]
	s_xor_b32 s21, exec_lo, s0
	s_cbranch_execz .LBB67_44
; %bb.29:                               ;   in Loop: Header=BB67_10 Depth=1
	v_dual_mov_b32 v20, v5 :: v_dual_and_b32 v19, 0x7fffffff, v6
	s_mov_b32 s0, exec_lo
	s_delay_alu instid0(VALU_DEP_1)
	v_cmpx_gt_u64_e32 0x43e00001, v[19:20]
	s_xor_b32 s27, exec_lo, s0
	s_cbranch_execz .LBB67_43
; %bb.30:                               ;   in Loop: Header=BB67_10 Depth=1
	v_mov_b32_e32 v8, 0
	s_mov_b32 s31, exec_lo
	v_cmpx_ne_u32_e32 0, v6
	s_cbranch_execz .LBB67_42
; %bb.31:                               ;   in Loop: Header=BB67_10 Depth=1
	v_bfe_u32 v19, v6, 23, 8
	v_or_b32_e32 v8, 0x800000, v4
	s_delay_alu instid0(VALU_DEP_2) | instskip(SKIP_1) | instid1(VALU_DEP_2)
	v_sub_nc_u32_e32 v6, 0x79, v19
	v_cmp_gt_u32_e32 vcc_lo, 0x7a, v19
	v_cndmask_b32_e32 v6, 0, v6, vcc_lo
	v_cmp_eq_u32_e32 vcc_lo, 0, v19
	s_delay_alu instid0(VALU_DEP_2) | instskip(SKIP_1) | instid1(VALU_DEP_2)
	v_cndmask_b32_e64 v20, v6, 0x78, vcc_lo
	v_cndmask_b32_e32 v4, v8, v4, vcc_lo
	v_add_nc_u32_e32 v6, 20, v20
	v_add_nc_u32_e32 v8, 19, v20
	s_delay_alu instid0(VALU_DEP_2) | instskip(NEXT) | instid1(VALU_DEP_2)
	v_lshlrev_b64 v[6:7], v6, -1
	v_lshlrev_b64 v[8:9], v8, 1
	s_delay_alu instid0(VALU_DEP_2) | instskip(NEXT) | instid1(VALU_DEP_3)
	v_not_b32_e32 v7, v7
	v_not_b32_e32 v6, v6
	s_delay_alu instid0(VALU_DEP_2) | instskip(NEXT) | instid1(VALU_DEP_2)
	v_and_b32_e32 v22, 0, v7
	v_and_b32_e32 v21, v4, v6
	v_lshrrev_b64 v[6:7], v20, v[4:5]
	s_delay_alu instid0(VALU_DEP_2) | instskip(NEXT) | instid1(VALU_DEP_2)
	v_cmp_eq_u64_e64 s0, v[21:22], v[8:9]
	v_dual_mov_b32 v9, v7 :: v_dual_mov_b32 v8, v6
	s_delay_alu instid0(VALU_DEP_2)
	s_and_saveexec_b32 s36, s0
; %bb.32:                               ;   in Loop: Header=BB67_10 Depth=1
	v_bfe_u32 v4, v6, 20, 1
	s_delay_alu instid0(VALU_DEP_1) | instskip(NEXT) | instid1(VALU_DEP_1)
	v_add_co_u32 v4, s0, v6, v4
	v_add_co_u32 v8, s0, v4, -1
; %bb.33:                               ;   in Loop: Header=BB67_10 Depth=1
	s_or_b32 exec_lo, exec_lo, s36
	v_add_nc_u32_e32 v4, 0xffffff81, v19
	v_lshrrev_b32_e32 v9, 23, v6
	s_mov_b32 s0, exec_lo
	s_delay_alu instid0(VALU_DEP_2) | instskip(NEXT) | instid1(VALU_DEP_1)
	v_cndmask_b32_e64 v4, v4, 0xffffff82, vcc_lo
	v_add3_u32 v9, v20, v4, v9
	v_and_b32_e32 v4, 0xfffff, v8
	s_delay_alu instid0(VALU_DEP_2) | instskip(NEXT) | instid1(VALU_DEP_2)
	v_add_nc_u32_e32 v8, 6, v9
	v_add_co_u32 v6, vcc_lo, v4, v6
	v_add_co_ci_u32_e32 v7, vcc_lo, 0, v7, vcc_lo
                                        ; implicit-def: $vgpr4
	s_delay_alu instid0(VALU_DEP_3)
	v_cmpx_ne_u32_e32 0, v8
	s_xor_b32 s0, exec_lo, s0
; %bb.34:                               ;   in Loop: Header=BB67_10 Depth=1
	s_delay_alu instid0(VALU_DEP_2) | instskip(SKIP_1) | instid1(VALU_DEP_1)
	v_cmp_lt_u64_e32 vcc_lo, 0xffffff, v[6:7]
	v_add_nc_u32_e32 v4, 7, v9
	v_cndmask_b32_e32 v4, v8, v4, vcc_lo
	v_cndmask_b32_e64 v8, 0, 1, vcc_lo
	s_delay_alu instid0(VALU_DEP_1)
	v_lshrrev_b64 v[6:7], v8, v[6:7]
; %bb.35:                               ;   in Loop: Header=BB67_10 Depth=1
	s_and_not1_saveexec_b32 s0, s0
; %bb.36:                               ;   in Loop: Header=BB67_10 Depth=1
	s_delay_alu instid0(VALU_DEP_1)
	v_bfe_u32 v4, v6, 23, 1
; %bb.37:                               ;   in Loop: Header=BB67_10 Depth=1
	s_or_b32 exec_lo, exec_lo, s0
	s_delay_alu instid0(VALU_DEP_2) | instskip(NEXT) | instid1(VALU_DEP_2)
	v_lshrrev_b64 v[6:7], 20, v[6:7]
	v_cmp_gt_i32_e32 vcc_lo, 16, v4
	v_cmp_ne_u32_e64 s0, 0, v4
                                        ; implicit-def: $vgpr8
	s_delay_alu instid0(VALU_DEP_3) | instskip(NEXT) | instid1(VALU_DEP_1)
	v_dual_cndmask_b32 v7, 0, v7 :: v_dual_cndmask_b32 v6, 7, v6
	v_cmp_ne_u64_e32 vcc_lo, 0, v[6:7]
	s_delay_alu instid0(VALU_DEP_3) | instskip(NEXT) | instid1(SALU_CYCLE_1)
	s_or_b32 s0, s0, vcc_lo
	s_and_saveexec_b32 s36, s0
	s_delay_alu instid0(SALU_CYCLE_1)
	s_xor_b32 s0, exec_lo, s36
; %bb.38:                               ;   in Loop: Header=BB67_10 Depth=1
	v_min_i32_e32 v4, 15, v4
	s_delay_alu instid0(VALU_DEP_1) | instskip(NEXT) | instid1(VALU_DEP_1)
	v_lshl_or_b32 v4, v4, 3, v18
                                        ; implicit-def: $vgpr18
	v_and_or_b32 v8, v6, 7, v4
; %bb.39:                               ;   in Loop: Header=BB67_10 Depth=1
	s_and_not1_saveexec_b32 s0, s0
; %bb.40:                               ;   in Loop: Header=BB67_10 Depth=1
	v_mov_b32_e32 v8, v18
; %bb.41:                               ;   in Loop: Header=BB67_10 Depth=1
	s_or_b32 exec_lo, exec_lo, s0
.LBB67_42:                              ;   in Loop: Header=BB67_10 Depth=1
	s_delay_alu instid0(SALU_CYCLE_1)
	s_or_b32 exec_lo, exec_lo, s31
.LBB67_43:                              ;   in Loop: Header=BB67_10 Depth=1
	s_and_not1_saveexec_b32 s0, s27
	s_delay_alu instid0(SALU_CYCLE_1)
	s_or_b32 exec_lo, exec_lo, s0
                                        ; implicit-def: $vgpr9
.LBB67_44:                              ;   in Loop: Header=BB67_10 Depth=1
	s_and_not1_saveexec_b32 s0, s21
	s_cbranch_execz .LBB67_9
; %bb.45:                               ;   in Loop: Header=BB67_10 Depth=1
	v_cmp_eq_u64_e32 vcc_lo, 0, v[4:5]
	v_or_b32_e32 v6, 0x7f, v9
	s_delay_alu instid0(VALU_DEP_1)
	v_cndmask_b32_e32 v8, v6, v8, vcc_lo
	s_branch .LBB67_9
.LBB67_46:
	s_or_b32 exec_lo, exec_lo, s35
	s_delay_alu instid0(SALU_CYCLE_1)
	s_mov_b32 s0, exec_lo
	v_cmpx_gt_i32_e64 s6, v1
	s_cbranch_execz .LBB67_67
; %bb.47:
	s_mul_i32 s1, s16, s11
	s_mul_hi_u32 s8, s16, s10
	s_mul_i32 s0, s16, s10
	s_add_i32 s1, s8, s1
	v_mov_b32_e32 v4, 0
	s_lshl_b64 s[8:9], s[0:1], 1
	s_load_b32 s0, s[2:3], 0x8c
	s_waitcnt lgkmcnt(0)
	s_load_b32 s3, s[24:25], 0x0
	s_add_u32 s1, s14, s8
	s_addc_u32 s2, s15, s9
	s_ashr_i32 s4, s4, 31
	s_delay_alu instid0(SALU_CYCLE_1) | instskip(NEXT) | instid1(SALU_CYCLE_1)
	s_mul_i32 s4, s22, s4
	s_add_i32 s4, s29, s4
	s_delay_alu instid0(SALU_CYCLE_1) | instskip(SKIP_3) | instid1(SALU_CYCLE_1)
	s_add_i32 s4, s4, s33
	s_add_u32 s8, s18, s34
	s_addc_u32 s9, s19, s4
	s_ashr_i32 s4, s5, 31
	s_mul_i32 s7, s7, s4
	s_delay_alu instid0(SALU_CYCLE_1) | instskip(NEXT) | instid1(SALU_CYCLE_1)
	s_add_i32 s4, s28, s7
	s_add_i32 s5, s4, s17
	s_add_u32 s4, s8, s23
	s_addc_u32 s5, s9, s5
	s_and_b32 s7, s0, 0xffff
	s_mov_b32 s8, 0
	s_branch .LBB67_49
.LBB67_48:                              ;   in Loop: Header=BB67_49 Depth=1
	s_or_b32 exec_lo, exec_lo, s0
	v_add_co_u32 v7, vcc_lo, s4, v1
	v_add_nc_u32_e32 v1, s7, v1
	v_add_co_ci_u32_e32 v8, vcc_lo, s5, v2, vcc_lo
	s_delay_alu instid0(VALU_DEP_2) | instskip(SKIP_2) | instid1(SALU_CYCLE_1)
	v_cmp_le_i32_e32 vcc_lo, s6, v1
	global_store_b8 v[7:8], v6, off
	s_or_b32 s8, vcc_lo, s8
	s_and_not1_b32 exec_lo, exec_lo, s8
	s_cbranch_execz .LBB67_67
.LBB67_49:                              ; =>This Inner Loop Header: Depth=1
	v_ashrrev_i32_e32 v2, 31, v1
	s_mov_b32 s0, exec_lo
	v_mov_b32_e32 v9, v4
	s_delay_alu instid0(VALU_DEP_2) | instskip(NEXT) | instid1(VALU_DEP_1)
	v_lshlrev_b64 v[5:6], 1, v[1:2]
	v_add_co_u32 v5, vcc_lo, s1, v5
	s_delay_alu instid0(VALU_DEP_2) | instskip(SKIP_3) | instid1(VALU_DEP_1)
	v_add_co_ci_u32_e32 v6, vcc_lo, s2, v6, vcc_lo
	global_load_b32 v0, v[5:6], off
	s_waitcnt vmcnt(0) lgkmcnt(0)
	v_div_scale_f32 v3, null, s3, s3, v0
	v_rcp_f32_e32 v5, v3
	s_waitcnt_depctr 0xfff
	v_fma_f32 v6, -v3, v5, 1.0
	s_delay_alu instid0(VALU_DEP_1) | instskip(SKIP_1) | instid1(VALU_DEP_1)
	v_fmac_f32_e32 v5, v6, v5
	v_div_scale_f32 v6, vcc_lo, v0, s3, v0
	v_mul_f32_e32 v7, v6, v5
	s_delay_alu instid0(VALU_DEP_1) | instskip(NEXT) | instid1(VALU_DEP_1)
	v_fma_f32 v8, -v3, v7, v6
	v_fmac_f32_e32 v7, v8, v5
	s_delay_alu instid0(VALU_DEP_1) | instskip(NEXT) | instid1(VALU_DEP_1)
	v_fma_f32 v3, -v3, v7, v6
	v_div_fmas_f32 v3, v3, v5, v7
	s_delay_alu instid0(VALU_DEP_1) | instskip(NEXT) | instid1(VALU_DEP_1)
	v_div_fixup_f32 v5, v3, s3, v0
	v_lshrrev_b32_e32 v7, 24, v5
	v_and_b32_e32 v8, 0x7f800000, v5
	v_and_b32_e32 v3, 0x7fffff, v5
	s_delay_alu instid0(VALU_DEP_3) | instskip(NEXT) | instid1(VALU_DEP_1)
	v_and_b32_e32 v0, 0x80, v7
	v_or_b32_e32 v6, 0x7e, v0
	s_delay_alu instid0(VALU_DEP_4)
	v_cmpx_ne_u64_e32 0x7f800000, v[8:9]
	s_xor_b32 s9, exec_lo, s0
	s_cbranch_execz .LBB67_65
; %bb.50:                               ;   in Loop: Header=BB67_49 Depth=1
	v_dual_mov_b32 v8, v4 :: v_dual_and_b32 v7, 0x7fffffff, v5
	s_mov_b32 s0, exec_lo
	s_delay_alu instid0(VALU_DEP_1)
	v_cmpx_gt_u64_e32 0x43e00001, v[7:8]
	s_xor_b32 s10, exec_lo, s0
	s_cbranch_execz .LBB67_64
; %bb.51:                               ;   in Loop: Header=BB67_49 Depth=1
	v_mov_b32_e32 v6, 0
	s_mov_b32 s11, exec_lo
	v_cmpx_ne_u32_e32 0, v5
	s_cbranch_execz .LBB67_63
; %bb.52:                               ;   in Loop: Header=BB67_49 Depth=1
	v_bfe_u32 v9, v5, 23, 8
	v_or_b32_e32 v7, 0x800000, v3
	s_delay_alu instid0(VALU_DEP_2) | instskip(SKIP_1) | instid1(VALU_DEP_2)
	v_sub_nc_u32_e32 v5, 0x79, v9
	v_cmp_gt_u32_e32 vcc_lo, 0x7a, v9
	v_cndmask_b32_e32 v5, 0, v5, vcc_lo
	v_cmp_eq_u32_e32 vcc_lo, 0, v9
	s_delay_alu instid0(VALU_DEP_2) | instskip(SKIP_1) | instid1(VALU_DEP_2)
	v_cndmask_b32_e64 v10, v5, 0x78, vcc_lo
	v_cndmask_b32_e32 v3, v7, v3, vcc_lo
	v_add_nc_u32_e32 v5, 20, v10
	v_add_nc_u32_e32 v7, 19, v10
	s_delay_alu instid0(VALU_DEP_2) | instskip(NEXT) | instid1(VALU_DEP_2)
	v_lshlrev_b64 v[5:6], v5, -1
	v_lshlrev_b64 v[7:8], v7, 1
	s_delay_alu instid0(VALU_DEP_2) | instskip(NEXT) | instid1(VALU_DEP_3)
	v_not_b32_e32 v6, v6
	v_not_b32_e32 v5, v5
	s_delay_alu instid0(VALU_DEP_2) | instskip(NEXT) | instid1(VALU_DEP_2)
	v_and_b32_e32 v12, 0, v6
	v_and_b32_e32 v11, v3, v5
	v_lshrrev_b64 v[5:6], v10, v[3:4]
	s_delay_alu instid0(VALU_DEP_2) | instskip(NEXT) | instid1(VALU_DEP_2)
	v_cmp_eq_u64_e64 s0, v[11:12], v[7:8]
	v_dual_mov_b32 v8, v6 :: v_dual_mov_b32 v7, v5
	s_delay_alu instid0(VALU_DEP_2)
	s_and_saveexec_b32 s12, s0
; %bb.53:                               ;   in Loop: Header=BB67_49 Depth=1
	v_bfe_u32 v3, v5, 20, 1
	s_delay_alu instid0(VALU_DEP_1) | instskip(NEXT) | instid1(VALU_DEP_1)
	v_add_co_u32 v3, s0, v5, v3
	v_add_co_u32 v7, s0, v3, -1
; %bb.54:                               ;   in Loop: Header=BB67_49 Depth=1
	s_or_b32 exec_lo, exec_lo, s12
	v_add_nc_u32_e32 v3, 0xffffff81, v9
	v_lshrrev_b32_e32 v8, 23, v5
	s_mov_b32 s0, exec_lo
	s_delay_alu instid0(VALU_DEP_2) | instskip(NEXT) | instid1(VALU_DEP_1)
	v_cndmask_b32_e64 v3, v3, 0xffffff82, vcc_lo
	v_add3_u32 v8, v10, v3, v8
	v_and_b32_e32 v3, 0xfffff, v7
	s_delay_alu instid0(VALU_DEP_2) | instskip(NEXT) | instid1(VALU_DEP_2)
	v_add_nc_u32_e32 v7, 6, v8
	v_add_co_u32 v5, vcc_lo, v3, v5
	v_add_co_ci_u32_e32 v6, vcc_lo, 0, v6, vcc_lo
                                        ; implicit-def: $vgpr3
	s_delay_alu instid0(VALU_DEP_3)
	v_cmpx_ne_u32_e32 0, v7
	s_xor_b32 s0, exec_lo, s0
; %bb.55:                               ;   in Loop: Header=BB67_49 Depth=1
	s_delay_alu instid0(VALU_DEP_2) | instskip(SKIP_1) | instid1(VALU_DEP_1)
	v_cmp_lt_u64_e32 vcc_lo, 0xffffff, v[5:6]
	v_add_nc_u32_e32 v3, 7, v8
	v_cndmask_b32_e32 v3, v7, v3, vcc_lo
	v_cndmask_b32_e64 v7, 0, 1, vcc_lo
	s_delay_alu instid0(VALU_DEP_1)
	v_lshrrev_b64 v[5:6], v7, v[5:6]
; %bb.56:                               ;   in Loop: Header=BB67_49 Depth=1
	s_and_not1_saveexec_b32 s0, s0
; %bb.57:                               ;   in Loop: Header=BB67_49 Depth=1
	s_delay_alu instid0(VALU_DEP_1)
	v_bfe_u32 v3, v5, 23, 1
; %bb.58:                               ;   in Loop: Header=BB67_49 Depth=1
	s_or_b32 exec_lo, exec_lo, s0
	s_delay_alu instid0(VALU_DEP_2) | instskip(NEXT) | instid1(VALU_DEP_2)
	v_lshrrev_b64 v[5:6], 20, v[5:6]
	v_cmp_gt_i32_e32 vcc_lo, 16, v3
	v_cmp_ne_u32_e64 s0, 0, v3
	s_delay_alu instid0(VALU_DEP_3) | instskip(NEXT) | instid1(VALU_DEP_1)
	v_dual_cndmask_b32 v6, 0, v6 :: v_dual_cndmask_b32 v5, 7, v5
	v_cmp_ne_u64_e32 vcc_lo, 0, v[5:6]
                                        ; implicit-def: $vgpr6
	s_delay_alu instid0(VALU_DEP_3) | instskip(NEXT) | instid1(SALU_CYCLE_1)
	s_or_b32 s0, s0, vcc_lo
	s_and_saveexec_b32 s12, s0
	s_delay_alu instid0(SALU_CYCLE_1)
	s_xor_b32 s0, exec_lo, s12
; %bb.59:                               ;   in Loop: Header=BB67_49 Depth=1
	v_min_i32_e32 v3, 15, v3
	s_delay_alu instid0(VALU_DEP_1) | instskip(NEXT) | instid1(VALU_DEP_1)
	v_lshl_or_b32 v0, v3, 3, v0
	v_and_or_b32 v6, v5, 7, v0
                                        ; implicit-def: $vgpr0
; %bb.60:                               ;   in Loop: Header=BB67_49 Depth=1
	s_and_not1_saveexec_b32 s0, s0
; %bb.61:                               ;   in Loop: Header=BB67_49 Depth=1
	v_mov_b32_e32 v6, v0
; %bb.62:                               ;   in Loop: Header=BB67_49 Depth=1
	s_or_b32 exec_lo, exec_lo, s0
.LBB67_63:                              ;   in Loop: Header=BB67_49 Depth=1
	s_delay_alu instid0(SALU_CYCLE_1)
	s_or_b32 exec_lo, exec_lo, s11
.LBB67_64:                              ;   in Loop: Header=BB67_49 Depth=1
	s_and_not1_saveexec_b32 s0, s10
	s_delay_alu instid0(SALU_CYCLE_1)
	s_or_b32 exec_lo, exec_lo, s0
                                        ; implicit-def: $vgpr7
.LBB67_65:                              ;   in Loop: Header=BB67_49 Depth=1
	s_and_not1_saveexec_b32 s0, s9
	s_cbranch_execz .LBB67_48
; %bb.66:                               ;   in Loop: Header=BB67_49 Depth=1
	v_cmp_eq_u64_e32 vcc_lo, 0, v[3:4]
	v_or_b32_e32 v0, 0x7f, v7
	s_delay_alu instid0(VALU_DEP_1)
	v_cndmask_b32_e32 v6, v0, v6, vcc_lo
	s_branch .LBB67_48
.LBB67_67:
	s_nop 0
	s_sendmsg sendmsg(MSG_DEALLOC_VGPRS)
	s_endpgm
.LBB67_68:
                                        ; implicit-def: $sgpr22_sgpr23
	s_branch .LBB67_6
	.section	.rodata,"a",@progbits
	.p2align	6, 0x0
	.amdhsa_kernel _ZN4vllm38concat_and_cache_mla_rope_fused_kernelIN3c108BFloat16EfLb0EfhLNS_18Fp8KVCacheDataTypeE1EEEvPKlPT_S7_PKS6_PKT0_illlliPT3_S5_iiiiPKf
		.amdhsa_group_segment_fixed_size 4096
		.amdhsa_private_segment_fixed_size 0
		.amdhsa_kernarg_size 384
		.amdhsa_user_sgpr_count 15
		.amdhsa_user_sgpr_dispatch_ptr 1
		.amdhsa_user_sgpr_queue_ptr 0
		.amdhsa_user_sgpr_kernarg_segment_ptr 1
		.amdhsa_user_sgpr_dispatch_id 0
		.amdhsa_user_sgpr_private_segment_size 0
		.amdhsa_wavefront_size32 1
		.amdhsa_uses_dynamic_stack 0
		.amdhsa_enable_private_segment 0
		.amdhsa_system_sgpr_workgroup_id_x 1
		.amdhsa_system_sgpr_workgroup_id_y 0
		.amdhsa_system_sgpr_workgroup_id_z 0
		.amdhsa_system_sgpr_workgroup_info 0
		.amdhsa_system_vgpr_workitem_id 2
		.amdhsa_next_free_vgpr 24
		.amdhsa_next_free_sgpr 45
		.amdhsa_reserve_vcc 1
		.amdhsa_float_round_mode_32 0
		.amdhsa_float_round_mode_16_64 0
		.amdhsa_float_denorm_mode_32 3
		.amdhsa_float_denorm_mode_16_64 3
		.amdhsa_dx10_clamp 1
		.amdhsa_ieee_mode 1
		.amdhsa_fp16_overflow 0
		.amdhsa_workgroup_processor_mode 1
		.amdhsa_memory_ordered 1
		.amdhsa_forward_progress 0
		.amdhsa_shared_vgpr_count 0
		.amdhsa_exception_fp_ieee_invalid_op 0
		.amdhsa_exception_fp_denorm_src 0
		.amdhsa_exception_fp_ieee_div_zero 0
		.amdhsa_exception_fp_ieee_overflow 0
		.amdhsa_exception_fp_ieee_underflow 0
		.amdhsa_exception_fp_ieee_inexact 0
		.amdhsa_exception_int_div_zero 0
	.end_amdhsa_kernel
	.section	.text._ZN4vllm38concat_and_cache_mla_rope_fused_kernelIN3c108BFloat16EfLb0EfhLNS_18Fp8KVCacheDataTypeE1EEEvPKlPT_S7_PKS6_PKT0_illlliPT3_S5_iiiiPKf,"axG",@progbits,_ZN4vllm38concat_and_cache_mla_rope_fused_kernelIN3c108BFloat16EfLb0EfhLNS_18Fp8KVCacheDataTypeE1EEEvPKlPT_S7_PKS6_PKT0_illlliPT3_S5_iiiiPKf,comdat
.Lfunc_end67:
	.size	_ZN4vllm38concat_and_cache_mla_rope_fused_kernelIN3c108BFloat16EfLb0EfhLNS_18Fp8KVCacheDataTypeE1EEEvPKlPT_S7_PKS6_PKT0_illlliPT3_S5_iiiiPKf, .Lfunc_end67-_ZN4vllm38concat_and_cache_mla_rope_fused_kernelIN3c108BFloat16EfLb0EfhLNS_18Fp8KVCacheDataTypeE1EEEvPKlPT_S7_PKS6_PKT0_illlliPT3_S5_iiiiPKf
                                        ; -- End function
	.section	.AMDGPU.csdata,"",@progbits
; Kernel info:
; codeLenInByte = 5252
; NumSgprs: 47
; NumVgprs: 24
; ScratchSize: 0
; MemoryBound: 0
; FloatMode: 240
; IeeeMode: 1
; LDSByteSize: 4096 bytes/workgroup (compile time only)
; SGPRBlocks: 5
; VGPRBlocks: 2
; NumSGPRsForWavesPerEU: 47
; NumVGPRsForWavesPerEU: 24
; Occupancy: 16
; WaveLimiterHint : 1
; COMPUTE_PGM_RSRC2:SCRATCH_EN: 0
; COMPUTE_PGM_RSRC2:USER_SGPR: 15
; COMPUTE_PGM_RSRC2:TRAP_HANDLER: 0
; COMPUTE_PGM_RSRC2:TGID_X_EN: 1
; COMPUTE_PGM_RSRC2:TGID_Y_EN: 0
; COMPUTE_PGM_RSRC2:TGID_Z_EN: 0
; COMPUTE_PGM_RSRC2:TIDIG_COMP_CNT: 2
	.section	.text._ZN4vllm38concat_and_cache_mla_rope_fused_kernelIN3c108BFloat16ENS1_4HalfELb1EfhLNS_18Fp8KVCacheDataTypeE1EEEvPKlPT_S8_PKS7_PKT0_illlliPT3_S6_iiiiPKf,"axG",@progbits,_ZN4vllm38concat_and_cache_mla_rope_fused_kernelIN3c108BFloat16ENS1_4HalfELb1EfhLNS_18Fp8KVCacheDataTypeE1EEEvPKlPT_S8_PKS7_PKT0_illlliPT3_S6_iiiiPKf,comdat
	.protected	_ZN4vllm38concat_and_cache_mla_rope_fused_kernelIN3c108BFloat16ENS1_4HalfELb1EfhLNS_18Fp8KVCacheDataTypeE1EEEvPKlPT_S8_PKS7_PKT0_illlliPT3_S6_iiiiPKf ; -- Begin function _ZN4vllm38concat_and_cache_mla_rope_fused_kernelIN3c108BFloat16ENS1_4HalfELb1EfhLNS_18Fp8KVCacheDataTypeE1EEEvPKlPT_S8_PKS7_PKT0_illlliPT3_S6_iiiiPKf
	.globl	_ZN4vllm38concat_and_cache_mla_rope_fused_kernelIN3c108BFloat16ENS1_4HalfELb1EfhLNS_18Fp8KVCacheDataTypeE1EEEvPKlPT_S8_PKS7_PKT0_illlliPT3_S6_iiiiPKf
	.p2align	8
	.type	_ZN4vllm38concat_and_cache_mla_rope_fused_kernelIN3c108BFloat16ENS1_4HalfELb1EfhLNS_18Fp8KVCacheDataTypeE1EEEvPKlPT_S8_PKS7_PKT0_illlliPT3_S6_iiiiPKf,@function
_ZN4vllm38concat_and_cache_mla_rope_fused_kernelIN3c108BFloat16ENS1_4HalfELb1EfhLNS_18Fp8KVCacheDataTypeE1EEEvPKlPT_S8_PKS7_PKT0_illlliPT3_S6_iiiiPKf: ; @_ZN4vllm38concat_and_cache_mla_rope_fused_kernelIN3c108BFloat16ENS1_4HalfELb1EfhLNS_18Fp8KVCacheDataTypeE1EEEvPKlPT_S8_PKS7_PKT0_illlliPT3_S6_iiiiPKf
; %bb.0:
	s_load_b64 s[6:7], s[2:3], 0x60
	s_mov_b32 s16, s15
	s_mov_b32 s17, 0
	s_delay_alu instid0(SALU_CYCLE_1)
	s_lshl_b64 s[4:5], s[16:17], 3
	s_waitcnt lgkmcnt(0)
	s_add_u32 s6, s6, s4
	s_addc_u32 s7, s7, s5
	s_load_b64 s[30:31], s[6:7], 0x0
	s_waitcnt lgkmcnt(0)
	v_cmp_lt_i64_e64 s6, s[30:31], 0
	s_delay_alu instid0(VALU_DEP_1)
	s_and_b32 vcc_lo, exec_lo, s6
	s_cbranch_vccnz .LBB68_67
; %bb.1:
	s_clause 0x2
	s_load_b32 s22, s[2:3], 0x28
	s_load_b64 s[6:7], s[2:3], 0x0
	s_load_b128 s[12:15], s[2:3], 0x10
	v_and_b32_e32 v1, 0x3ff, v0
	s_mov_b32 s25, exec_lo
	s_waitcnt lgkmcnt(0)
	s_ashr_i32 s17, s22, 31
	s_add_u32 s4, s6, s4
	s_addc_u32 s5, s7, s5
	s_load_b64 s[20:21], s[4:5], 0x0
	s_clause 0x3
	s_load_b64 s[26:27], s[2:3], 0x20
	s_load_b32 s23, s[2:3], 0x50
	s_load_b64 s[18:19], s[2:3], 0x58
	s_load_b256 s[4:11], s[2:3], 0x30
	s_waitcnt lgkmcnt(0)
	s_mul_i32 s17, s20, s17
	s_mul_hi_u32 s24, s20, s22
	s_mul_i32 s21, s21, s22
	s_add_i32 s17, s24, s17
	s_mul_i32 s20, s20, s22
	s_add_i32 s21, s17, s21
	s_delay_alu instid0(SALU_CYCLE_1) | instskip(NEXT) | instid1(SALU_CYCLE_1)
	s_lshl_b64 s[28:29], s[20:21], 1
	s_add_u32 s17, s26, s28
	s_addc_u32 s33, s27, s29
	s_lshr_b32 s20, s22, 31
	s_delay_alu instid0(SALU_CYCLE_1) | instskip(NEXT) | instid1(SALU_CYCLE_1)
	s_add_i32 s22, s22, s20
	s_ashr_i32 s20, s22, 1
	s_delay_alu instid0(SALU_CYCLE_1) | instskip(NEXT) | instid1(SALU_CYCLE_1)
	s_mul_i32 s24, s20, s23
	v_cmpx_gt_i32_e64 s24, v1
	s_cbranch_execz .LBB68_4
; %bb.2:
	s_clause 0x1
	s_load_b64 s[22:23], s[2:3], 0x8
	s_load_b32 s37, s[2:3], 0x8c
	s_mul_i32 s5, s16, s5
	s_mul_hi_u32 s21, s16, s4
	s_mul_i32 s4, s16, s4
	s_add_i32 s5, s21, s5
	s_ashr_i32 s21, s20, 31
	s_lshl_b64 s[4:5], s[4:5], 1
	s_mov_b32 s38, 0
	s_waitcnt lgkmcnt(0)
	s_add_u32 s34, s22, s4
	s_addc_u32 s35, s23, s5
	s_abs_i32 s36, s20
	s_and_b32 s37, s37, 0xffff
	v_cvt_f32_u32_e32 v2, s36
	s_sub_i32 s4, 0, s36
	s_sub_i32 s39, 0, s20
	s_lshl_b64 s[22:23], s[20:21], 1
	s_delay_alu instid0(VALU_DEP_1) | instskip(SKIP_2) | instid1(VALU_DEP_1)
	v_rcp_iflag_f32_e32 v2, v2
	s_waitcnt_depctr 0xfff
	v_mul_f32_e32 v2, 0x4f7ffffe, v2
	v_cvt_u32_f32_e32 v2, v2
	s_delay_alu instid0(VALU_DEP_1) | instskip(NEXT) | instid1(VALU_DEP_1)
	v_mul_lo_u32 v3, s4, v2
	v_mul_hi_u32 v3, v2, v3
	s_delay_alu instid0(VALU_DEP_1)
	v_dual_mov_b32 v2, v1 :: v_dual_add_nc_u32 v3, v2, v3
.LBB68_3:                               ; =>This Inner Loop Header: Depth=1
	s_delay_alu instid0(VALU_DEP_1) | instskip(SKIP_1) | instid1(VALU_DEP_2)
	v_sub_nc_u32_e32 v4, 0, v2
	v_ashrrev_i32_e32 v5, 31, v2
	v_max_i32_e32 v4, v2, v4
	s_delay_alu instid0(VALU_DEP_2) | instskip(NEXT) | instid1(VALU_DEP_2)
	v_xor_b32_e32 v5, s21, v5
	v_mul_hi_u32 v6, v4, v3
	s_delay_alu instid0(VALU_DEP_1) | instskip(SKIP_1) | instid1(VALU_DEP_2)
	v_mul_lo_u32 v7, v6, s36
	v_add_nc_u32_e32 v8, 1, v6
	v_sub_nc_u32_e32 v4, v4, v7
	s_delay_alu instid0(VALU_DEP_1) | instskip(SKIP_1) | instid1(VALU_DEP_4)
	v_subrev_nc_u32_e32 v7, s36, v4
	v_cmp_le_u32_e32 vcc_lo, s36, v4
	v_cndmask_b32_e32 v6, v6, v8, vcc_lo
	s_delay_alu instid0(VALU_DEP_1) | instskip(NEXT) | instid1(VALU_DEP_1)
	v_dual_cndmask_b32 v4, v4, v7 :: v_dual_add_nc_u32 v7, 1, v6
	v_cmp_le_u32_e32 vcc_lo, s36, v4
	s_delay_alu instid0(VALU_DEP_2) | instskip(NEXT) | instid1(VALU_DEP_1)
	v_cndmask_b32_e32 v4, v6, v7, vcc_lo
	v_xor_b32_e32 v4, v4, v5
	s_delay_alu instid0(VALU_DEP_1) | instskip(NEXT) | instid1(VALU_DEP_1)
	v_sub_nc_u32_e32 v8, v4, v5
	v_mad_u64_u32 v[4:5], null, s39, v8, v[2:3]
	v_ashrrev_i32_e32 v9, 31, v8
	v_mul_lo_u32 v10, v8, s7
	v_mad_u64_u32 v[6:7], null, v8, s6, 0
	v_add_nc_u32_e32 v2, s37, v2
	s_delay_alu instid0(VALU_DEP_4) | instskip(SKIP_1) | instid1(VALU_DEP_1)
	v_mul_lo_u32 v8, v9, s6
	v_ashrrev_i32_e32 v5, 31, v4
	v_lshlrev_b64 v[4:5], 1, v[4:5]
	s_delay_alu instid0(VALU_DEP_3) | instskip(NEXT) | instid1(VALU_DEP_2)
	v_add3_u32 v7, v7, v10, v8
	v_add_co_u32 v8, vcc_lo, s17, v4
	s_delay_alu instid0(VALU_DEP_3) | instskip(NEXT) | instid1(VALU_DEP_3)
	v_add_co_ci_u32_e32 v9, vcc_lo, s33, v5, vcc_lo
	v_lshlrev_b64 v[6:7], 1, v[6:7]
	global_load_u16 v10, v[8:9], off
	v_add_co_u32 v8, vcc_lo, v8, s22
	v_add_co_ci_u32_e32 v9, vcc_lo, s23, v9, vcc_lo
	v_add_co_u32 v6, vcc_lo, s34, v6
	v_add_co_ci_u32_e32 v7, vcc_lo, s35, v7, vcc_lo
	global_load_u16 v8, v[8:9], off
	v_add_co_u32 v4, vcc_lo, v6, v4
	v_add_co_ci_u32_e32 v5, vcc_lo, v7, v5, vcc_lo
	s_delay_alu instid0(VALU_DEP_2) | instskip(NEXT) | instid1(VALU_DEP_2)
	v_add_co_u32 v6, vcc_lo, v4, s22
	v_add_co_ci_u32_e32 v7, vcc_lo, s23, v5, vcc_lo
	s_clause 0x1
	global_load_u16 v9, v[4:5], off
	global_load_u16 v11, v[6:7], off
	s_waitcnt vmcnt(3)
	v_cvt_f32_f16_e32 v12, v10
	v_cmp_o_f16_e32 vcc_lo, v10, v10
	s_delay_alu instid0(VALU_DEP_2) | instskip(SKIP_2) | instid1(VALU_DEP_2)
	v_bfe_u32 v14, v12, 16, 1
	s_waitcnt vmcnt(2)
	v_cvt_f32_f16_e32 v13, v8
	v_add3_u32 v12, v12, v14, 0x7fff
	s_delay_alu instid0(VALU_DEP_2) | instskip(NEXT) | instid1(VALU_DEP_2)
	v_bfe_u32 v14, v13, 16, 1
	v_and_b32_e32 v12, 0xffff0000, v12
	s_delay_alu instid0(VALU_DEP_2)
	v_add3_u32 v13, v13, v14, 0x7fff
	s_waitcnt vmcnt(1)
	v_lshlrev_b32_e32 v9, 16, v9
	s_waitcnt vmcnt(0)
	v_dual_cndmask_b32 v10, 0x7fc00000, v12 :: v_dual_lshlrev_b32 v11, 16, v11
	v_cmp_o_f16_e32 vcc_lo, v8, v8
	v_and_b32_e32 v12, 0xffff0000, v13
	s_delay_alu instid0(VALU_DEP_3) | instskip(NEXT) | instid1(VALU_DEP_2)
	v_mul_f32_e32 v8, v10, v9
	v_cndmask_b32_e32 v12, 0x7fc00000, v12, vcc_lo
	s_delay_alu instid0(VALU_DEP_2) | instskip(SKIP_1) | instid1(VALU_DEP_3)
	v_bfe_u32 v13, v8, 16, 1
	v_cmp_o_f32_e64 s4, v8, v8
	v_mul_f32_e32 v9, v12, v9
	s_delay_alu instid0(VALU_DEP_3) | instskip(SKIP_2) | instid1(VALU_DEP_4)
	v_add3_u32 v13, v8, v13, 0x7fff
	v_mul_f32_e32 v10, v10, v11
	v_mul_f32_e32 v11, v12, v11
	v_bfe_u32 v15, v9, 16, 1
	s_delay_alu instid0(VALU_DEP_4) | instskip(NEXT) | instid1(VALU_DEP_4)
	v_and_b32_e32 v13, 0xffff0000, v13
	v_bfe_u32 v12, v10, 16, 1
	s_delay_alu instid0(VALU_DEP_4) | instskip(NEXT) | instid1(VALU_DEP_4)
	v_bfe_u32 v14, v11, 16, 1
	v_add3_u32 v15, v9, v15, 0x7fff
	v_cmp_o_f32_e32 vcc_lo, v10, v10
	s_delay_alu instid0(VALU_DEP_4) | instskip(NEXT) | instid1(VALU_DEP_4)
	v_add3_u32 v12, v10, v12, 0x7fff
	v_add3_u32 v14, v11, v14, 0x7fff
	v_cndmask_b32_e64 v10, 0x7fc00000, v13, s4
	v_and_b32_e32 v13, 0xffff0000, v15
	v_cmp_o_f32_e64 s4, v11, v11
	v_and_b32_e32 v12, 0xffff0000, v12
	s_delay_alu instid0(VALU_DEP_1) | instskip(SKIP_4) | instid1(VALU_DEP_3)
	v_cndmask_b32_e32 v12, 0x7fc00000, v12, vcc_lo
	v_cmp_o_f32_e32 vcc_lo, v9, v9
	v_cndmask_b32_e32 v9, 0x7fc00000, v13, vcc_lo
	v_and_b32_e32 v8, 0xffff0000, v14
	v_cmp_le_i32_e32 vcc_lo, s24, v2
	v_add_f32_e32 v9, v12, v9
	s_delay_alu instid0(VALU_DEP_3) | instskip(SKIP_1) | instid1(VALU_DEP_2)
	v_cndmask_b32_e64 v8, 0x7fc00000, v8, s4
	s_or_b32 s38, vcc_lo, s38
	v_bfe_u32 v11, v9, 16, 1
	s_delay_alu instid0(VALU_DEP_2) | instskip(SKIP_1) | instid1(VALU_DEP_3)
	v_sub_f32_e32 v8, v10, v8
	v_cmp_o_f32_e64 s4, v9, v9
	v_add3_u32 v11, v9, v11, 0x7fff
	s_delay_alu instid0(VALU_DEP_3) | instskip(SKIP_1) | instid1(VALU_DEP_3)
	v_bfe_u32 v10, v8, 16, 1
	v_cmp_o_f32_e64 s5, v8, v8
	v_lshrrev_b32_e32 v11, 16, v11
	s_delay_alu instid0(VALU_DEP_3) | instskip(NEXT) | instid1(VALU_DEP_2)
	v_add3_u32 v10, v8, v10, 0x7fff
	v_cndmask_b32_e64 v9, 0x7fc0, v11, s4
	s_delay_alu instid0(VALU_DEP_2) | instskip(NEXT) | instid1(VALU_DEP_1)
	v_lshrrev_b32_e32 v10, 16, v10
	v_cndmask_b32_e64 v8, 0x7fc0, v10, s5
	s_clause 0x1
	global_store_b16 v[4:5], v8, off
	global_store_b16 v[6:7], v9, off
	s_and_not1_b32 exec_lo, exec_lo, s38
	s_cbranch_execnz .LBB68_3
.LBB68_4:
	s_or_b32 exec_lo, exec_lo, s25
	s_load_b128 s[4:7], s[2:3], 0x68
	s_waitcnt lgkmcnt(0)
	s_ashr_i32 s35, s7, 31
	s_mov_b32 s34, s7
	s_delay_alu instid0(SALU_CYCLE_1) | instskip(SKIP_1) | instid1(SALU_CYCLE_1)
	s_or_b64 s[24:25], s[30:31], s[34:35]
	s_mov_b32 s24, 0
	s_cmp_lg_u64 s[24:25], 0
	s_cbranch_scc0 .LBB68_68
; %bb.5:
	s_add_u32 s36, s34, s35
	s_mov_b32 s22, s35
	s_mov_b32 s23, s35
	s_addc_u32 s37, s35, s35
	s_delay_alu instid0(SALU_CYCLE_1) | instskip(NEXT) | instid1(SALU_CYCLE_1)
	s_xor_b64 s[36:37], s[36:37], s[22:23]
	v_cvt_f32_u32_e32 v2, s36
	v_cvt_f32_u32_e32 v3, s37
	s_sub_u32 s25, 0, s36
	s_subb_u32 s38, 0, s37
	s_delay_alu instid0(VALU_DEP_1) | instskip(NEXT) | instid1(VALU_DEP_1)
	v_fmamk_f32 v2, v3, 0x4f800000, v2
	v_rcp_f32_e32 v2, v2
	s_waitcnt_depctr 0xfff
	v_mul_f32_e32 v2, 0x5f7ffffc, v2
	s_delay_alu instid0(VALU_DEP_1) | instskip(NEXT) | instid1(VALU_DEP_1)
	v_mul_f32_e32 v3, 0x2f800000, v2
	v_trunc_f32_e32 v3, v3
	s_delay_alu instid0(VALU_DEP_1) | instskip(SKIP_1) | instid1(VALU_DEP_2)
	v_fmamk_f32 v2, v3, 0xcf800000, v2
	v_cvt_u32_f32_e32 v3, v3
	v_cvt_u32_f32_e32 v2, v2
	s_delay_alu instid0(VALU_DEP_2) | instskip(NEXT) | instid1(VALU_DEP_2)
	v_readfirstlane_b32 s7, v3
	v_readfirstlane_b32 s21, v2
	s_delay_alu instid0(VALU_DEP_2) | instskip(NEXT) | instid1(VALU_DEP_1)
	s_mul_i32 s39, s25, s7
	s_mul_hi_u32 s41, s25, s21
	s_mul_i32 s40, s38, s21
	s_add_i32 s39, s41, s39
	s_mul_i32 s42, s25, s21
	s_add_i32 s39, s39, s40
	s_mul_hi_u32 s41, s21, s42
	s_mul_hi_u32 s43, s7, s42
	s_mul_i32 s40, s7, s42
	s_mul_hi_u32 s42, s21, s39
	s_mul_i32 s21, s21, s39
	s_mul_hi_u32 s44, s7, s39
	s_add_u32 s21, s41, s21
	s_addc_u32 s41, 0, s42
	s_add_u32 s21, s21, s40
	s_mul_i32 s39, s7, s39
	s_addc_u32 s21, s41, s43
	s_addc_u32 s40, s44, 0
	s_add_u32 s21, s21, s39
	s_addc_u32 s39, 0, s40
	v_add_co_u32 v2, s21, v2, s21
	s_delay_alu instid0(VALU_DEP_1) | instskip(SKIP_1) | instid1(VALU_DEP_1)
	s_cmp_lg_u32 s21, 0
	s_addc_u32 s7, s7, s39
	v_readfirstlane_b32 s21, v2
	s_mul_i32 s39, s25, s7
	s_delay_alu instid0(VALU_DEP_1)
	s_mul_hi_u32 s40, s25, s21
	s_mul_i32 s38, s38, s21
	s_add_i32 s39, s40, s39
	s_mul_i32 s25, s25, s21
	s_add_i32 s39, s39, s38
	s_mul_hi_u32 s40, s7, s25
	s_mul_i32 s41, s7, s25
	s_mul_hi_u32 s25, s21, s25
	s_mul_hi_u32 s42, s21, s39
	s_mul_i32 s21, s21, s39
	s_mul_hi_u32 s38, s7, s39
	s_add_u32 s21, s25, s21
	s_addc_u32 s25, 0, s42
	s_add_u32 s21, s21, s41
	s_mul_i32 s39, s7, s39
	s_addc_u32 s21, s25, s40
	s_addc_u32 s25, s38, 0
	s_add_u32 s21, s21, s39
	s_addc_u32 s25, 0, s25
	v_add_co_u32 v2, s21, v2, s21
	s_delay_alu instid0(VALU_DEP_1) | instskip(SKIP_2) | instid1(VALU_DEP_1)
	s_cmp_lg_u32 s21, 0
	s_addc_u32 s7, s7, s25
	s_ashr_i32 s38, s31, 31
	v_readfirstlane_b32 s21, v2
	s_add_u32 s40, s30, s38
	s_mov_b32 s39, s38
	s_addc_u32 s41, s31, s38
	s_delay_alu instid0(SALU_CYCLE_1) | instskip(NEXT) | instid1(SALU_CYCLE_1)
	s_xor_b64 s[40:41], s[40:41], s[38:39]
	s_mul_i32 s42, s40, s7
	s_mul_hi_u32 s43, s40, s21
	s_mul_hi_u32 s25, s40, s7
	s_mul_hi_u32 s45, s41, s21
	s_mul_i32 s21, s41, s21
	s_add_u32 s42, s43, s42
	s_addc_u32 s25, 0, s25
	s_mul_hi_u32 s44, s41, s7
	s_add_u32 s21, s42, s21
	s_mul_i32 s7, s41, s7
	s_addc_u32 s21, s25, s45
	s_addc_u32 s25, s44, 0
	s_add_u32 s7, s21, s7
	s_addc_u32 s21, 0, s25
	s_mul_i32 s44, s36, s7
	s_mul_hi_u32 s25, s36, s7
	s_mul_i32 s43, s36, s21
	v_sub_co_u32 v2, s40, s40, s44
	s_mul_i32 s42, s37, s7
	s_add_i32 s25, s25, s43
	s_delay_alu instid0(SALU_CYCLE_1) | instskip(NEXT) | instid1(VALU_DEP_1)
	s_add_i32 s25, s25, s42
	v_sub_co_u32 v3, s43, v2, s36
	s_sub_i32 s42, s41, s25
	s_cmp_lg_u32 s40, 0
	s_subb_u32 s42, s42, s37
	s_cmp_lg_u32 s43, 0
	v_readfirstlane_b32 s43, v3
	s_subb_u32 s42, s42, 0
	s_delay_alu instid0(SALU_CYCLE_1) | instskip(SKIP_1) | instid1(VALU_DEP_1)
	s_cmp_ge_u32 s42, s37
	s_cselect_b32 s44, -1, 0
	s_cmp_ge_u32 s43, s36
	s_cselect_b32 s43, -1, 0
	s_cmp_eq_u32 s42, s37
	s_cselect_b32 s42, s43, s44
	s_add_u32 s43, s7, 1
	s_addc_u32 s44, s21, 0
	s_add_u32 s45, s7, 2
	s_addc_u32 s46, s21, 0
	s_cmp_lg_u32 s42, 0
	s_cselect_b32 s42, s45, s43
	s_cselect_b32 s43, s46, s44
	s_cmp_lg_u32 s40, 0
	v_readfirstlane_b32 s40, v2
	s_subb_u32 s25, s41, s25
	s_delay_alu instid0(SALU_CYCLE_1) | instskip(SKIP_1) | instid1(VALU_DEP_1)
	s_cmp_ge_u32 s25, s37
	s_cselect_b32 s41, -1, 0
	s_cmp_ge_u32 s40, s36
	s_cselect_b32 s36, -1, 0
	s_cmp_eq_u32 s25, s37
	s_cselect_b32 s25, s36, s41
	s_delay_alu instid0(SALU_CYCLE_1) | instskip(SKIP_3) | instid1(SALU_CYCLE_1)
	s_cmp_lg_u32 s25, 0
	s_cselect_b32 s37, s43, s21
	s_cselect_b32 s36, s42, s7
	s_xor_b64 s[22:23], s[38:39], s[22:23]
	s_xor_b64 s[36:37], s[36:37], s[22:23]
	s_delay_alu instid0(SALU_CYCLE_1)
	s_sub_u32 s22, s36, s22
	s_subb_u32 s23, s37, s23
	s_and_not1_b32 vcc_lo, exec_lo, s24
	s_cbranch_vccnz .LBB68_7
.LBB68_6:
	v_cvt_f32_u32_e32 v2, s34
	s_sub_i32 s21, 0, s34
	s_delay_alu instid0(VALU_DEP_1) | instskip(SKIP_2) | instid1(VALU_DEP_1)
	v_rcp_iflag_f32_e32 v2, v2
	s_waitcnt_depctr 0xfff
	v_mul_f32_e32 v2, 0x4f7ffffe, v2
	v_cvt_u32_f32_e32 v2, v2
	s_delay_alu instid0(VALU_DEP_1) | instskip(NEXT) | instid1(VALU_DEP_1)
	v_readfirstlane_b32 s7, v2
	s_mul_i32 s21, s21, s7
	s_delay_alu instid0(SALU_CYCLE_1) | instskip(NEXT) | instid1(SALU_CYCLE_1)
	s_mul_hi_u32 s21, s7, s21
	s_add_i32 s7, s7, s21
	s_delay_alu instid0(SALU_CYCLE_1) | instskip(NEXT) | instid1(SALU_CYCLE_1)
	s_mul_hi_u32 s7, s30, s7
	s_mul_i32 s21, s7, s34
	s_add_i32 s22, s7, 1
	s_sub_i32 s21, s30, s21
	s_delay_alu instid0(SALU_CYCLE_1)
	s_sub_i32 s23, s21, s34
	s_cmp_ge_u32 s21, s34
	s_cselect_b32 s7, s22, s7
	s_cselect_b32 s21, s23, s21
	s_add_i32 s22, s7, 1
	s_cmp_ge_u32 s21, s34
	s_mov_b32 s23, 0
	s_cselect_b32 s22, s22, s7
.LBB68_7:
	s_load_b64 s[24:25], s[2:3], 0x78
	s_mul_i32 s7, s22, s35
	s_mul_hi_u32 s21, s22, s34
	s_mul_i32 s35, s23, s4
	s_add_i32 s7, s21, s7
	s_mul_i32 s21, s23, s34
	s_mul_i32 s34, s22, s34
	s_add_i32 s21, s7, s21
	s_sub_u32 s7, s30, s34
	s_subb_u32 s21, s31, s21
	s_mul_hi_u32 s34, s22, s4
	s_mul_i32 s36, s22, s4
	s_mul_hi_u32 s31, s7, s5
	s_mul_i32 s23, s21, s5
	s_mul_i32 s30, s7, s5
	s_mov_b32 s37, exec_lo
	v_cmpx_gt_i32_e64 s20, v1
	s_cbranch_execz .LBB68_46
; %bb.8:
	s_load_b64 s[40:41], s[0:1], 0x4
	s_load_b32 s0, s[2:3], 0x8c
	s_mul_i32 s9, s16, s9
	s_mul_hi_u32 s38, s16, s8
	s_mul_i32 s8, s16, s8
	s_add_i32 s9, s38, s9
	s_ashr_i32 s21, s20, 31
	s_lshl_b64 s[42:43], s[8:9], 1
	v_bfe_u32 v2, v0, 10, 10
	s_waitcnt lgkmcnt(0)
	s_load_b32 s1, s[24:25], 0x0
	v_bfe_u32 v4, v0, 20, 10
	v_dual_mov_b32 v3, 0 :: v_dual_lshlrev_b32 v0, 1, v1
	v_mov_b32_e32 v12, v1
	s_lshr_b32 s9, s40, 16
	s_add_u32 s8, s12, s42
	s_mul_i32 s39, s9, s41
	s_addc_u32 s9, s13, s43
	s_ashr_i32 s40, s4, 31
	s_ashr_i32 s46, s5, 31
	s_and_b32 s38, s0, 0xffff
	s_mul_i32 s0, s22, s40
	s_mul_i32 s40, s7, s46
	s_add_i32 s0, s34, s0
	s_add_i32 s40, s31, s40
	s_lshl_b64 s[44:45], s[20:21], 1
	v_mul_lo_u32 v5, s39, v1
	s_ashr_i32 s47, s6, 31
	s_lshl_b32 s39, s38, 1
	s_add_i32 s0, s0, s35
	s_add_i32 s40, s40, s23
	s_add_u32 s28, s28, s44
	s_addc_u32 s29, s29, s45
	s_add_u32 s26, s26, s28
	s_addc_u32 s27, s27, s29
	;; [unrolled: 2-line block ×3, first 2 shown]
	v_mad_u32_u24 v2, v2, s41, v5
	s_add_u32 s12, s12, s28
	s_addc_u32 s13, s13, s29
	s_add_u32 s28, s36, s30
	s_addc_u32 s0, s0, s40
	s_add_u32 s28, s28, s6
	v_add_lshl_u32 v10, v2, v4, 1
	s_addc_u32 s0, s0, s47
	s_add_u32 s28, s18, s28
	s_addc_u32 s0, s19, s0
	v_add_co_u32 v4, s28, s28, v1
	v_add_nc_u32_e32 v11, 0x800, v10
	v_add_co_ci_u32_e64 v5, null, s0, 0, s28
	s_mov_b32 s28, 0
	s_branch .LBB68_10
.LBB68_9:                               ;   in Loop: Header=BB68_10 Depth=1
	s_or_b32 exec_lo, exec_lo, s0
	v_add_nc_u32_e32 v12, s38, v12
	v_add_co_u32 v8, vcc_lo, v4, s20
	s_add_u32 s17, s17, s39
	s_addc_u32 s33, s33, 0
	v_add_co_ci_u32_e32 v9, vcc_lo, s21, v5, vcc_lo
	s_add_u32 s26, s26, s39
	s_addc_u32 s27, s27, 0
	v_cmp_le_i32_e32 vcc_lo, s20, v12
	v_add_co_u32 v4, s0, v4, s38
	s_add_u32 s12, s12, s39
	s_addc_u32 s13, s13, 0
	v_add_co_ci_u32_e64 v5, s0, 0, v5, s0
	s_add_u32 s8, s8, s39
	s_addc_u32 s9, s9, 0
	s_or_b32 s28, vcc_lo, s28
	global_store_b8 v[8:9], v7, off
	s_and_not1_b32 exec_lo, exec_lo, s28
	s_cbranch_execz .LBB68_46
.LBB68_10:                              ; =>This Inner Loop Header: Depth=1
	v_add_co_u32 v6, s0, s17, v0
	s_delay_alu instid0(VALU_DEP_1) | instskip(SKIP_1) | instid1(VALU_DEP_1)
	v_add_co_ci_u32_e64 v7, null, s33, 0, s0
	v_add_co_u32 v8, s0, s26, v0
	v_add_co_ci_u32_e64 v9, null, s27, 0, s0
	global_load_u16 v2, v[6:7], off
	global_load_u16 v6, v[8:9], off
	v_add_co_u32 v15, s0, s12, v0
	s_delay_alu instid0(VALU_DEP_1) | instskip(SKIP_1) | instid1(VALU_DEP_1)
	v_add_co_ci_u32_e64 v16, null, s13, 0, s0
	v_add_co_u32 v17, s0, s8, v0
	v_add_co_ci_u32_e64 v18, null, s9, 0, s0
	global_load_u16 v7, v[15:16], off
	global_load_u16 v8, v[17:18], off
	s_waitcnt vmcnt(3)
	v_cvt_f32_f16_e32 v9, v2
	s_waitcnt vmcnt(2)
	v_cvt_f32_f16_e32 v13, v6
	v_cmp_o_f16_e32 vcc_lo, v2, v2
	s_delay_alu instid0(VALU_DEP_3) | instskip(NEXT) | instid1(VALU_DEP_3)
	v_bfe_u32 v14, v9, 16, 1
	v_bfe_u32 v19, v13, 16, 1
	s_delay_alu instid0(VALU_DEP_2) | instskip(NEXT) | instid1(VALU_DEP_2)
	v_add3_u32 v9, v9, v14, 0x7fff
	v_add3_u32 v13, v13, v19, 0x7fff
	s_waitcnt vmcnt(0)
	v_lshlrev_b32_e32 v8, 16, v8
	s_delay_alu instid0(VALU_DEP_3) | instskip(NEXT) | instid1(VALU_DEP_1)
	v_and_b32_e32 v9, 0xffff0000, v9
	v_dual_cndmask_b32 v2, 0x7fc00000, v9 :: v_dual_lshlrev_b32 v7, 16, v7
	v_and_b32_e32 v13, 0xffff0000, v13
	v_cmp_o_f16_e32 vcc_lo, v6, v6
	s_delay_alu instid0(VALU_DEP_3) | instskip(NEXT) | instid1(VALU_DEP_4)
	v_mul_f32_e32 v9, v2, v8
	v_mul_f32_e32 v2, v2, v7
	s_delay_alu instid0(VALU_DEP_4) | instskip(NEXT) | instid1(VALU_DEP_3)
	v_cndmask_b32_e32 v6, 0x7fc00000, v13, vcc_lo
	v_bfe_u32 v14, v9, 16, 1
	s_delay_alu instid0(VALU_DEP_2) | instskip(SKIP_1) | instid1(VALU_DEP_3)
	v_mul_f32_e32 v13, v6, v7
	v_mul_f32_e32 v6, v6, v8
	v_add3_u32 v14, v9, v14, 0x7fff
	s_delay_alu instid0(VALU_DEP_3) | instskip(NEXT) | instid1(VALU_DEP_3)
	v_bfe_u32 v19, v13, 16, 1
	v_bfe_u32 v8, v6, 16, 1
	s_delay_alu instid0(VALU_DEP_3) | instskip(SKIP_1) | instid1(VALU_DEP_4)
	v_and_b32_e32 v14, 0xffff0000, v14
	v_cmp_o_f32_e32 vcc_lo, v9, v9
	v_add3_u32 v19, v13, v19, 0x7fff
	s_delay_alu instid0(VALU_DEP_4) | instskip(NEXT) | instid1(VALU_DEP_4)
	v_add3_u32 v8, v6, v8, 0x7fff
	v_cndmask_b32_e32 v9, 0x7fc00000, v14, vcc_lo
	s_delay_alu instid0(VALU_DEP_3) | instskip(SKIP_1) | instid1(VALU_DEP_4)
	v_and_b32_e32 v19, 0xffff0000, v19
	v_cmp_o_f32_e32 vcc_lo, v13, v13
	v_and_b32_e32 v8, 0xffff0000, v8
	s_delay_alu instid0(VALU_DEP_3) | instskip(NEXT) | instid1(VALU_DEP_1)
	v_cndmask_b32_e32 v13, 0x7fc00000, v19, vcc_lo
	v_sub_f32_e32 v9, v9, v13
	s_delay_alu instid0(VALU_DEP_1) | instskip(SKIP_1) | instid1(VALU_DEP_2)
	v_bfe_u32 v13, v9, 16, 1
	v_cmp_o_f32_e32 vcc_lo, v9, v9
	v_add3_u32 v13, v9, v13, 0x7fff
	s_delay_alu instid0(VALU_DEP_1) | instskip(NEXT) | instid1(VALU_DEP_1)
	v_lshrrev_b32_e32 v13, 16, v13
	v_cndmask_b32_e32 v19, 0x7fc0, v13, vcc_lo
	v_bfe_u32 v13, v2, 16, 1
	v_cmp_o_f32_e32 vcc_lo, v6, v6
	ds_store_b16 v11, v19
	ds_load_b32 v9, v11
	v_add3_u32 v13, v2, v13, 0x7fff
	v_cndmask_b32_e32 v6, 0x7fc00000, v8, vcc_lo
	v_cmp_o_f32_e32 vcc_lo, v2, v2
	s_waitcnt lgkmcnt(0)
	v_div_scale_f32 v7, null, s1, s1, v9
	s_delay_alu instid0(VALU_DEP_1) | instskip(SKIP_2) | instid1(VALU_DEP_1)
	v_rcp_f32_e32 v14, v7
	s_waitcnt_depctr 0xfff
	v_fma_f32 v20, -v7, v14, 1.0
	v_dual_fmac_f32 v14, v20, v14 :: v_dual_and_b32 v13, 0xffff0000, v13
	s_delay_alu instid0(VALU_DEP_1) | instskip(SKIP_1) | instid1(VALU_DEP_2)
	v_cndmask_b32_e32 v2, 0x7fc00000, v13, vcc_lo
	v_div_scale_f32 v8, vcc_lo, v9, s1, v9
	v_add_f32_e32 v2, v2, v6
	s_delay_alu instid0(VALU_DEP_2) | instskip(NEXT) | instid1(VALU_DEP_2)
	v_mul_f32_e32 v6, v8, v14
	v_bfe_u32 v13, v2, 16, 1
	s_delay_alu instid0(VALU_DEP_2) | instskip(SKIP_1) | instid1(VALU_DEP_3)
	v_fma_f32 v20, -v7, v6, v8
	v_cmp_o_f32_e64 s0, v2, v2
	v_add3_u32 v13, v2, v13, 0x7fff
	s_delay_alu instid0(VALU_DEP_3) | instskip(NEXT) | instid1(VALU_DEP_2)
	v_fmac_f32_e32 v6, v20, v14
	v_lshrrev_b32_e32 v13, 16, v13
	s_delay_alu instid0(VALU_DEP_2) | instskip(NEXT) | instid1(VALU_DEP_2)
	v_fma_f32 v7, -v7, v6, v8
	v_cndmask_b32_e64 v20, 0x7fc0, v13, s0
	s_delay_alu instid0(VALU_DEP_2)
	v_div_fmas_f32 v2, v7, v14, v6
	ds_store_b16 v10, v20
	ds_load_b32 v13, v10
	v_div_fixup_f32 v6, v2, s1, v9
	v_mov_b32_e32 v9, v3
	global_store_b16 v[17:18], v19, off
	global_store_b16 v[15:16], v20, off
	v_lshrrev_b32_e32 v7, 24, v6
	v_and_b32_e32 v8, 0x7f800000, v6
	v_and_b32_e32 v2, 0x7fffff, v6
	s_delay_alu instid0(VALU_DEP_3) | instskip(NEXT) | instid1(VALU_DEP_3)
	v_and_b32_e32 v14, 0x80, v7
	v_cmp_ne_u64_e32 vcc_lo, 0x7f800000, v[8:9]
	s_delay_alu instid0(VALU_DEP_2) | instskip(SKIP_1) | instid1(SALU_CYCLE_1)
	v_or_b32_e32 v8, 0x7e, v14
	s_and_saveexec_b32 s0, vcc_lo
	s_xor_b32 s29, exec_lo, s0
	s_cbranch_execz .LBB68_26
; %bb.11:                               ;   in Loop: Header=BB68_10 Depth=1
	v_dual_mov_b32 v16, v3 :: v_dual_and_b32 v15, 0x7fffffff, v6
	s_mov_b32 s0, exec_lo
	s_delay_alu instid0(VALU_DEP_1)
	v_cmpx_gt_u64_e32 0x43e00001, v[15:16]
	s_xor_b32 s40, exec_lo, s0
	s_cbranch_execz .LBB68_25
; %bb.12:                               ;   in Loop: Header=BB68_10 Depth=1
	v_mov_b32_e32 v8, 0
	s_mov_b32 s41, exec_lo
	v_cmpx_ne_u32_e32 0, v6
	s_cbranch_execz .LBB68_24
; %bb.13:                               ;   in Loop: Header=BB68_10 Depth=1
	v_bfe_u32 v15, v6, 23, 8
	v_or_b32_e32 v8, 0x800000, v2
	s_delay_alu instid0(VALU_DEP_2) | instskip(SKIP_1) | instid1(VALU_DEP_2)
	v_sub_nc_u32_e32 v6, 0x79, v15
	v_cmp_gt_u32_e32 vcc_lo, 0x7a, v15
	v_cndmask_b32_e32 v6, 0, v6, vcc_lo
	v_cmp_eq_u32_e32 vcc_lo, 0, v15
	s_delay_alu instid0(VALU_DEP_2) | instskip(SKIP_1) | instid1(VALU_DEP_2)
	v_cndmask_b32_e64 v16, v6, 0x78, vcc_lo
	v_cndmask_b32_e32 v2, v8, v2, vcc_lo
	v_add_nc_u32_e32 v6, 20, v16
	v_add_nc_u32_e32 v8, 19, v16
	s_delay_alu instid0(VALU_DEP_2) | instskip(NEXT) | instid1(VALU_DEP_2)
	v_lshlrev_b64 v[6:7], v6, -1
	v_lshlrev_b64 v[8:9], v8, 1
	s_delay_alu instid0(VALU_DEP_2) | instskip(NEXT) | instid1(VALU_DEP_3)
	v_not_b32_e32 v7, v7
	v_not_b32_e32 v6, v6
	s_delay_alu instid0(VALU_DEP_2) | instskip(NEXT) | instid1(VALU_DEP_2)
	v_and_b32_e32 v18, 0, v7
	v_and_b32_e32 v17, v2, v6
	v_lshrrev_b64 v[6:7], v16, v[2:3]
	s_delay_alu instid0(VALU_DEP_2) | instskip(NEXT) | instid1(VALU_DEP_2)
	v_cmp_eq_u64_e64 s0, v[17:18], v[8:9]
	v_dual_mov_b32 v9, v7 :: v_dual_mov_b32 v8, v6
	s_delay_alu instid0(VALU_DEP_2)
	s_and_saveexec_b32 s42, s0
; %bb.14:                               ;   in Loop: Header=BB68_10 Depth=1
	v_bfe_u32 v2, v6, 20, 1
	s_delay_alu instid0(VALU_DEP_1) | instskip(NEXT) | instid1(VALU_DEP_1)
	v_add_co_u32 v2, s0, v6, v2
	v_add_co_u32 v8, s0, v2, -1
; %bb.15:                               ;   in Loop: Header=BB68_10 Depth=1
	s_or_b32 exec_lo, exec_lo, s42
	v_add_nc_u32_e32 v2, 0xffffff81, v15
	v_lshrrev_b32_e32 v9, 23, v6
	s_mov_b32 s0, exec_lo
	s_delay_alu instid0(VALU_DEP_2) | instskip(NEXT) | instid1(VALU_DEP_1)
	v_cndmask_b32_e64 v2, v2, 0xffffff82, vcc_lo
	v_add3_u32 v9, v16, v2, v9
	v_and_b32_e32 v2, 0xfffff, v8
	s_delay_alu instid0(VALU_DEP_2) | instskip(NEXT) | instid1(VALU_DEP_2)
	v_add_nc_u32_e32 v8, 6, v9
	v_add_co_u32 v6, vcc_lo, v2, v6
	v_add_co_ci_u32_e32 v7, vcc_lo, 0, v7, vcc_lo
                                        ; implicit-def: $vgpr2
	s_delay_alu instid0(VALU_DEP_3)
	v_cmpx_ne_u32_e32 0, v8
	s_xor_b32 s0, exec_lo, s0
; %bb.16:                               ;   in Loop: Header=BB68_10 Depth=1
	s_delay_alu instid0(VALU_DEP_2) | instskip(SKIP_1) | instid1(VALU_DEP_1)
	v_cmp_lt_u64_e32 vcc_lo, 0xffffff, v[6:7]
	v_add_nc_u32_e32 v2, 7, v9
	v_cndmask_b32_e32 v2, v8, v2, vcc_lo
	v_cndmask_b32_e64 v8, 0, 1, vcc_lo
	s_delay_alu instid0(VALU_DEP_1)
	v_lshrrev_b64 v[6:7], v8, v[6:7]
; %bb.17:                               ;   in Loop: Header=BB68_10 Depth=1
	s_and_not1_saveexec_b32 s0, s0
; %bb.18:                               ;   in Loop: Header=BB68_10 Depth=1
	s_delay_alu instid0(VALU_DEP_1)
	v_bfe_u32 v2, v6, 23, 1
; %bb.19:                               ;   in Loop: Header=BB68_10 Depth=1
	s_or_b32 exec_lo, exec_lo, s0
	s_delay_alu instid0(VALU_DEP_2) | instskip(NEXT) | instid1(VALU_DEP_2)
	v_lshrrev_b64 v[6:7], 20, v[6:7]
	v_cmp_gt_i32_e32 vcc_lo, 16, v2
	v_cmp_ne_u32_e64 s0, 0, v2
                                        ; implicit-def: $vgpr8
	s_delay_alu instid0(VALU_DEP_3) | instskip(NEXT) | instid1(VALU_DEP_1)
	v_dual_cndmask_b32 v7, 0, v7 :: v_dual_cndmask_b32 v6, 7, v6
	v_cmp_ne_u64_e32 vcc_lo, 0, v[6:7]
	s_delay_alu instid0(VALU_DEP_3) | instskip(NEXT) | instid1(SALU_CYCLE_1)
	s_or_b32 s0, s0, vcc_lo
	s_and_saveexec_b32 s42, s0
	s_delay_alu instid0(SALU_CYCLE_1)
	s_xor_b32 s0, exec_lo, s42
; %bb.20:                               ;   in Loop: Header=BB68_10 Depth=1
	v_min_i32_e32 v2, 15, v2
	s_delay_alu instid0(VALU_DEP_1) | instskip(NEXT) | instid1(VALU_DEP_1)
	v_lshl_or_b32 v2, v2, 3, v14
                                        ; implicit-def: $vgpr14
	v_and_or_b32 v8, v6, 7, v2
; %bb.21:                               ;   in Loop: Header=BB68_10 Depth=1
	s_and_not1_saveexec_b32 s0, s0
; %bb.22:                               ;   in Loop: Header=BB68_10 Depth=1
	v_mov_b32_e32 v8, v14
; %bb.23:                               ;   in Loop: Header=BB68_10 Depth=1
	s_or_b32 exec_lo, exec_lo, s0
.LBB68_24:                              ;   in Loop: Header=BB68_10 Depth=1
	s_delay_alu instid0(SALU_CYCLE_1)
	s_or_b32 exec_lo, exec_lo, s41
.LBB68_25:                              ;   in Loop: Header=BB68_10 Depth=1
	s_and_not1_saveexec_b32 s0, s40
	s_delay_alu instid0(SALU_CYCLE_1)
	s_or_b32 exec_lo, exec_lo, s0
                                        ; implicit-def: $vgpr7
.LBB68_26:                              ;   in Loop: Header=BB68_10 Depth=1
	s_and_not1_saveexec_b32 s0, s29
; %bb.27:                               ;   in Loop: Header=BB68_10 Depth=1
	v_cmp_eq_u64_e32 vcc_lo, 0, v[2:3]
	v_or_b32_e32 v6, 0x7f, v7
	s_delay_alu instid0(VALU_DEP_1)
	v_cndmask_b32_e32 v8, v6, v8, vcc_lo
; %bb.28:                               ;   in Loop: Header=BB68_10 Depth=1
	s_or_b32 exec_lo, exec_lo, s0
	s_waitcnt lgkmcnt(0)
	v_div_scale_f32 v2, null, s1, s1, v13
	global_store_b8 v[4:5], v8, off
	s_mov_b32 s0, exec_lo
	v_mov_b32_e32 v15, v3
	v_rcp_f32_e32 v6, v2
	s_waitcnt_depctr 0xfff
	v_fma_f32 v7, -v2, v6, 1.0
	s_delay_alu instid0(VALU_DEP_1) | instskip(SKIP_1) | instid1(VALU_DEP_1)
	v_fmac_f32_e32 v6, v7, v6
	v_div_scale_f32 v7, vcc_lo, v13, s1, v13
	v_mul_f32_e32 v9, v7, v6
	s_delay_alu instid0(VALU_DEP_1) | instskip(NEXT) | instid1(VALU_DEP_1)
	v_fma_f32 v14, -v2, v9, v7
	v_fmac_f32_e32 v9, v14, v6
	s_delay_alu instid0(VALU_DEP_1) | instskip(NEXT) | instid1(VALU_DEP_1)
	v_fma_f32 v2, -v2, v9, v7
	v_div_fmas_f32 v2, v2, v6, v9
	s_delay_alu instid0(VALU_DEP_1) | instskip(NEXT) | instid1(VALU_DEP_1)
	v_div_fixup_f32 v6, v2, s1, v13
	v_lshrrev_b32_e32 v9, 24, v6
	v_and_b32_e32 v14, 0x7f800000, v6
	v_and_b32_e32 v2, 0x7fffff, v6
	s_delay_alu instid0(VALU_DEP_3) | instskip(NEXT) | instid1(VALU_DEP_1)
	v_and_b32_e32 v13, 0x80, v9
	v_or_b32_e32 v7, 0x7e, v13
	s_delay_alu instid0(VALU_DEP_4)
	v_cmpx_ne_u64_e32 0x7f800000, v[14:15]
	s_xor_b32 s29, exec_lo, s0
	s_cbranch_execz .LBB68_44
; %bb.29:                               ;   in Loop: Header=BB68_10 Depth=1
	v_dual_mov_b32 v9, v3 :: v_dual_and_b32 v8, 0x7fffffff, v6
	s_mov_b32 s0, exec_lo
	s_delay_alu instid0(VALU_DEP_1)
	v_cmpx_gt_u64_e32 0x43e00001, v[8:9]
	s_xor_b32 s40, exec_lo, s0
	s_cbranch_execz .LBB68_43
; %bb.30:                               ;   in Loop: Header=BB68_10 Depth=1
	v_mov_b32_e32 v7, 0
	s_mov_b32 s41, exec_lo
	v_cmpx_ne_u32_e32 0, v6
	s_cbranch_execz .LBB68_42
; %bb.31:                               ;   in Loop: Header=BB68_10 Depth=1
	v_bfe_u32 v14, v6, 23, 8
	v_or_b32_e32 v8, 0x800000, v2
	s_delay_alu instid0(VALU_DEP_2) | instskip(SKIP_1) | instid1(VALU_DEP_2)
	v_sub_nc_u32_e32 v6, 0x79, v14
	v_cmp_gt_u32_e32 vcc_lo, 0x7a, v14
	v_cndmask_b32_e32 v6, 0, v6, vcc_lo
	v_cmp_eq_u32_e32 vcc_lo, 0, v14
	s_delay_alu instid0(VALU_DEP_2) | instskip(SKIP_1) | instid1(VALU_DEP_2)
	v_cndmask_b32_e64 v15, v6, 0x78, vcc_lo
	v_cndmask_b32_e32 v2, v8, v2, vcc_lo
	v_add_nc_u32_e32 v6, 20, v15
	v_add_nc_u32_e32 v8, 19, v15
	s_delay_alu instid0(VALU_DEP_2) | instskip(NEXT) | instid1(VALU_DEP_2)
	v_lshlrev_b64 v[6:7], v6, -1
	v_lshlrev_b64 v[8:9], v8, 1
	s_delay_alu instid0(VALU_DEP_2) | instskip(NEXT) | instid1(VALU_DEP_3)
	v_not_b32_e32 v7, v7
	v_not_b32_e32 v6, v6
	s_delay_alu instid0(VALU_DEP_2) | instskip(NEXT) | instid1(VALU_DEP_2)
	v_and_b32_e32 v17, 0, v7
	v_and_b32_e32 v16, v2, v6
	v_lshrrev_b64 v[6:7], v15, v[2:3]
	s_delay_alu instid0(VALU_DEP_2) | instskip(NEXT) | instid1(VALU_DEP_2)
	v_cmp_eq_u64_e64 s0, v[16:17], v[8:9]
	v_dual_mov_b32 v9, v7 :: v_dual_mov_b32 v8, v6
	s_delay_alu instid0(VALU_DEP_2)
	s_and_saveexec_b32 s42, s0
; %bb.32:                               ;   in Loop: Header=BB68_10 Depth=1
	v_bfe_u32 v2, v6, 20, 1
	s_delay_alu instid0(VALU_DEP_1) | instskip(NEXT) | instid1(VALU_DEP_1)
	v_add_co_u32 v2, s0, v6, v2
	v_add_co_u32 v8, s0, v2, -1
; %bb.33:                               ;   in Loop: Header=BB68_10 Depth=1
	s_or_b32 exec_lo, exec_lo, s42
	v_add_nc_u32_e32 v2, 0xffffff81, v14
	v_lshrrev_b32_e32 v9, 23, v6
	s_mov_b32 s0, exec_lo
	s_delay_alu instid0(VALU_DEP_2) | instskip(NEXT) | instid1(VALU_DEP_1)
	v_cndmask_b32_e64 v2, v2, 0xffffff82, vcc_lo
	v_add3_u32 v9, v15, v2, v9
	v_and_b32_e32 v2, 0xfffff, v8
	s_delay_alu instid0(VALU_DEP_2) | instskip(NEXT) | instid1(VALU_DEP_2)
	v_add_nc_u32_e32 v8, 6, v9
	v_add_co_u32 v6, vcc_lo, v2, v6
	v_add_co_ci_u32_e32 v7, vcc_lo, 0, v7, vcc_lo
                                        ; implicit-def: $vgpr2
	s_delay_alu instid0(VALU_DEP_3)
	v_cmpx_ne_u32_e32 0, v8
	s_xor_b32 s0, exec_lo, s0
; %bb.34:                               ;   in Loop: Header=BB68_10 Depth=1
	s_delay_alu instid0(VALU_DEP_2) | instskip(SKIP_1) | instid1(VALU_DEP_1)
	v_cmp_lt_u64_e32 vcc_lo, 0xffffff, v[6:7]
	v_add_nc_u32_e32 v2, 7, v9
	v_cndmask_b32_e32 v2, v8, v2, vcc_lo
	v_cndmask_b32_e64 v8, 0, 1, vcc_lo
	s_delay_alu instid0(VALU_DEP_1)
	v_lshrrev_b64 v[6:7], v8, v[6:7]
; %bb.35:                               ;   in Loop: Header=BB68_10 Depth=1
	s_and_not1_saveexec_b32 s0, s0
; %bb.36:                               ;   in Loop: Header=BB68_10 Depth=1
	s_delay_alu instid0(VALU_DEP_1)
	v_bfe_u32 v2, v6, 23, 1
; %bb.37:                               ;   in Loop: Header=BB68_10 Depth=1
	s_or_b32 exec_lo, exec_lo, s0
	s_delay_alu instid0(VALU_DEP_2) | instskip(NEXT) | instid1(VALU_DEP_2)
	v_lshrrev_b64 v[6:7], 20, v[6:7]
	v_cmp_gt_i32_e32 vcc_lo, 16, v2
	v_cmp_ne_u32_e64 s0, 0, v2
	s_delay_alu instid0(VALU_DEP_3) | instskip(NEXT) | instid1(VALU_DEP_1)
	v_dual_cndmask_b32 v7, 0, v7 :: v_dual_cndmask_b32 v6, 7, v6
	v_cmp_ne_u64_e32 vcc_lo, 0, v[6:7]
                                        ; implicit-def: $vgpr7
	s_delay_alu instid0(VALU_DEP_3) | instskip(NEXT) | instid1(SALU_CYCLE_1)
	s_or_b32 s0, s0, vcc_lo
	s_and_saveexec_b32 s42, s0
	s_delay_alu instid0(SALU_CYCLE_1)
	s_xor_b32 s0, exec_lo, s42
; %bb.38:                               ;   in Loop: Header=BB68_10 Depth=1
	v_min_i32_e32 v2, 15, v2
	s_delay_alu instid0(VALU_DEP_1) | instskip(NEXT) | instid1(VALU_DEP_1)
	v_lshl_or_b32 v2, v2, 3, v13
                                        ; implicit-def: $vgpr13
	v_and_or_b32 v7, v6, 7, v2
; %bb.39:                               ;   in Loop: Header=BB68_10 Depth=1
	s_and_not1_saveexec_b32 s0, s0
; %bb.40:                               ;   in Loop: Header=BB68_10 Depth=1
	v_mov_b32_e32 v7, v13
; %bb.41:                               ;   in Loop: Header=BB68_10 Depth=1
	s_or_b32 exec_lo, exec_lo, s0
.LBB68_42:                              ;   in Loop: Header=BB68_10 Depth=1
	s_delay_alu instid0(SALU_CYCLE_1)
	s_or_b32 exec_lo, exec_lo, s41
.LBB68_43:                              ;   in Loop: Header=BB68_10 Depth=1
	s_and_not1_saveexec_b32 s0, s40
	s_delay_alu instid0(SALU_CYCLE_1)
	s_or_b32 exec_lo, exec_lo, s0
                                        ; implicit-def: $vgpr9
.LBB68_44:                              ;   in Loop: Header=BB68_10 Depth=1
	s_and_not1_saveexec_b32 s0, s29
	s_cbranch_execz .LBB68_9
; %bb.45:                               ;   in Loop: Header=BB68_10 Depth=1
	v_cmp_eq_u64_e32 vcc_lo, 0, v[2:3]
	v_or_b32_e32 v6, 0x7f, v9
	s_delay_alu instid0(VALU_DEP_1)
	v_cndmask_b32_e32 v7, v6, v7, vcc_lo
	s_branch .LBB68_9
.LBB68_46:
	s_or_b32 exec_lo, exec_lo, s37
	s_delay_alu instid0(SALU_CYCLE_1)
	s_mov_b32 s0, exec_lo
	v_cmpx_gt_i32_e64 s6, v1
	s_cbranch_execz .LBB68_67
; %bb.47:
	s_mul_i32 s1, s16, s11
	s_mul_hi_u32 s8, s16, s10
	s_mul_i32 s0, s16, s10
	s_add_i32 s1, s8, s1
	v_mov_b32_e32 v4, 0
	s_lshl_b64 s[8:9], s[0:1], 1
	s_load_b32 s0, s[2:3], 0x8c
	s_waitcnt lgkmcnt(0)
	s_load_b32 s3, s[24:25], 0x0
	s_add_u32 s1, s14, s8
	s_addc_u32 s2, s15, s9
	s_ashr_i32 s4, s4, 31
	s_delay_alu instid0(SALU_CYCLE_1) | instskip(NEXT) | instid1(SALU_CYCLE_1)
	s_mul_i32 s4, s22, s4
	s_add_i32 s4, s34, s4
	s_delay_alu instid0(SALU_CYCLE_1) | instskip(SKIP_3) | instid1(SALU_CYCLE_1)
	s_add_i32 s4, s4, s35
	s_add_u32 s8, s18, s36
	s_addc_u32 s9, s19, s4
	s_ashr_i32 s4, s5, 31
	s_mul_i32 s7, s7, s4
	s_delay_alu instid0(SALU_CYCLE_1) | instskip(NEXT) | instid1(SALU_CYCLE_1)
	s_add_i32 s4, s31, s7
	s_add_i32 s5, s4, s23
	s_add_u32 s4, s8, s30
	s_addc_u32 s5, s9, s5
	s_and_b32 s7, s0, 0xffff
	s_mov_b32 s8, 0
	s_branch .LBB68_49
.LBB68_48:                              ;   in Loop: Header=BB68_49 Depth=1
	s_or_b32 exec_lo, exec_lo, s0
	v_add_co_u32 v7, vcc_lo, s4, v1
	v_add_nc_u32_e32 v1, s7, v1
	v_add_co_ci_u32_e32 v8, vcc_lo, s5, v2, vcc_lo
	s_delay_alu instid0(VALU_DEP_2) | instskip(SKIP_2) | instid1(SALU_CYCLE_1)
	v_cmp_le_i32_e32 vcc_lo, s6, v1
	global_store_b8 v[7:8], v6, off
	s_or_b32 s8, vcc_lo, s8
	s_and_not1_b32 exec_lo, exec_lo, s8
	s_cbranch_execz .LBB68_67
.LBB68_49:                              ; =>This Inner Loop Header: Depth=1
	v_ashrrev_i32_e32 v2, 31, v1
	s_mov_b32 s0, exec_lo
	v_mov_b32_e32 v9, v4
	s_delay_alu instid0(VALU_DEP_2) | instskip(NEXT) | instid1(VALU_DEP_1)
	v_lshlrev_b64 v[5:6], 1, v[1:2]
	v_add_co_u32 v5, vcc_lo, s1, v5
	s_delay_alu instid0(VALU_DEP_2) | instskip(SKIP_3) | instid1(VALU_DEP_1)
	v_add_co_ci_u32_e32 v6, vcc_lo, s2, v6, vcc_lo
	global_load_b32 v0, v[5:6], off
	s_waitcnt vmcnt(0) lgkmcnt(0)
	v_div_scale_f32 v3, null, s3, s3, v0
	v_rcp_f32_e32 v5, v3
	s_waitcnt_depctr 0xfff
	v_fma_f32 v6, -v3, v5, 1.0
	s_delay_alu instid0(VALU_DEP_1) | instskip(SKIP_1) | instid1(VALU_DEP_1)
	v_fmac_f32_e32 v5, v6, v5
	v_div_scale_f32 v6, vcc_lo, v0, s3, v0
	v_mul_f32_e32 v7, v6, v5
	s_delay_alu instid0(VALU_DEP_1) | instskip(NEXT) | instid1(VALU_DEP_1)
	v_fma_f32 v8, -v3, v7, v6
	v_fmac_f32_e32 v7, v8, v5
	s_delay_alu instid0(VALU_DEP_1) | instskip(NEXT) | instid1(VALU_DEP_1)
	v_fma_f32 v3, -v3, v7, v6
	v_div_fmas_f32 v3, v3, v5, v7
	s_delay_alu instid0(VALU_DEP_1) | instskip(NEXT) | instid1(VALU_DEP_1)
	v_div_fixup_f32 v5, v3, s3, v0
	v_lshrrev_b32_e32 v7, 24, v5
	v_and_b32_e32 v8, 0x7f800000, v5
	v_and_b32_e32 v3, 0x7fffff, v5
	s_delay_alu instid0(VALU_DEP_3) | instskip(NEXT) | instid1(VALU_DEP_1)
	v_and_b32_e32 v0, 0x80, v7
	v_or_b32_e32 v6, 0x7e, v0
	s_delay_alu instid0(VALU_DEP_4)
	v_cmpx_ne_u64_e32 0x7f800000, v[8:9]
	s_xor_b32 s9, exec_lo, s0
	s_cbranch_execz .LBB68_65
; %bb.50:                               ;   in Loop: Header=BB68_49 Depth=1
	v_dual_mov_b32 v8, v4 :: v_dual_and_b32 v7, 0x7fffffff, v5
	s_mov_b32 s0, exec_lo
	s_delay_alu instid0(VALU_DEP_1)
	v_cmpx_gt_u64_e32 0x43e00001, v[7:8]
	s_xor_b32 s10, exec_lo, s0
	s_cbranch_execz .LBB68_64
; %bb.51:                               ;   in Loop: Header=BB68_49 Depth=1
	v_mov_b32_e32 v6, 0
	s_mov_b32 s11, exec_lo
	v_cmpx_ne_u32_e32 0, v5
	s_cbranch_execz .LBB68_63
; %bb.52:                               ;   in Loop: Header=BB68_49 Depth=1
	v_bfe_u32 v9, v5, 23, 8
	v_or_b32_e32 v7, 0x800000, v3
	s_delay_alu instid0(VALU_DEP_2) | instskip(SKIP_1) | instid1(VALU_DEP_2)
	v_sub_nc_u32_e32 v5, 0x79, v9
	v_cmp_gt_u32_e32 vcc_lo, 0x7a, v9
	v_cndmask_b32_e32 v5, 0, v5, vcc_lo
	v_cmp_eq_u32_e32 vcc_lo, 0, v9
	s_delay_alu instid0(VALU_DEP_2) | instskip(SKIP_1) | instid1(VALU_DEP_2)
	v_cndmask_b32_e64 v10, v5, 0x78, vcc_lo
	v_cndmask_b32_e32 v3, v7, v3, vcc_lo
	v_add_nc_u32_e32 v5, 20, v10
	v_add_nc_u32_e32 v7, 19, v10
	s_delay_alu instid0(VALU_DEP_2) | instskip(NEXT) | instid1(VALU_DEP_2)
	v_lshlrev_b64 v[5:6], v5, -1
	v_lshlrev_b64 v[7:8], v7, 1
	s_delay_alu instid0(VALU_DEP_2) | instskip(NEXT) | instid1(VALU_DEP_3)
	v_not_b32_e32 v6, v6
	v_not_b32_e32 v5, v5
	s_delay_alu instid0(VALU_DEP_2) | instskip(NEXT) | instid1(VALU_DEP_2)
	v_and_b32_e32 v12, 0, v6
	v_and_b32_e32 v11, v3, v5
	v_lshrrev_b64 v[5:6], v10, v[3:4]
	s_delay_alu instid0(VALU_DEP_2) | instskip(NEXT) | instid1(VALU_DEP_2)
	v_cmp_eq_u64_e64 s0, v[11:12], v[7:8]
	v_dual_mov_b32 v8, v6 :: v_dual_mov_b32 v7, v5
	s_delay_alu instid0(VALU_DEP_2)
	s_and_saveexec_b32 s12, s0
; %bb.53:                               ;   in Loop: Header=BB68_49 Depth=1
	v_bfe_u32 v3, v5, 20, 1
	s_delay_alu instid0(VALU_DEP_1) | instskip(NEXT) | instid1(VALU_DEP_1)
	v_add_co_u32 v3, s0, v5, v3
	v_add_co_u32 v7, s0, v3, -1
; %bb.54:                               ;   in Loop: Header=BB68_49 Depth=1
	s_or_b32 exec_lo, exec_lo, s12
	v_add_nc_u32_e32 v3, 0xffffff81, v9
	v_lshrrev_b32_e32 v8, 23, v5
	s_mov_b32 s0, exec_lo
	s_delay_alu instid0(VALU_DEP_2) | instskip(NEXT) | instid1(VALU_DEP_1)
	v_cndmask_b32_e64 v3, v3, 0xffffff82, vcc_lo
	v_add3_u32 v8, v10, v3, v8
	v_and_b32_e32 v3, 0xfffff, v7
	s_delay_alu instid0(VALU_DEP_2) | instskip(NEXT) | instid1(VALU_DEP_2)
	v_add_nc_u32_e32 v7, 6, v8
	v_add_co_u32 v5, vcc_lo, v3, v5
	v_add_co_ci_u32_e32 v6, vcc_lo, 0, v6, vcc_lo
                                        ; implicit-def: $vgpr3
	s_delay_alu instid0(VALU_DEP_3)
	v_cmpx_ne_u32_e32 0, v7
	s_xor_b32 s0, exec_lo, s0
; %bb.55:                               ;   in Loop: Header=BB68_49 Depth=1
	s_delay_alu instid0(VALU_DEP_2) | instskip(SKIP_1) | instid1(VALU_DEP_1)
	v_cmp_lt_u64_e32 vcc_lo, 0xffffff, v[5:6]
	v_add_nc_u32_e32 v3, 7, v8
	v_cndmask_b32_e32 v3, v7, v3, vcc_lo
	v_cndmask_b32_e64 v7, 0, 1, vcc_lo
	s_delay_alu instid0(VALU_DEP_1)
	v_lshrrev_b64 v[5:6], v7, v[5:6]
; %bb.56:                               ;   in Loop: Header=BB68_49 Depth=1
	s_and_not1_saveexec_b32 s0, s0
; %bb.57:                               ;   in Loop: Header=BB68_49 Depth=1
	s_delay_alu instid0(VALU_DEP_1)
	v_bfe_u32 v3, v5, 23, 1
; %bb.58:                               ;   in Loop: Header=BB68_49 Depth=1
	s_or_b32 exec_lo, exec_lo, s0
	s_delay_alu instid0(VALU_DEP_2) | instskip(NEXT) | instid1(VALU_DEP_2)
	v_lshrrev_b64 v[5:6], 20, v[5:6]
	v_cmp_gt_i32_e32 vcc_lo, 16, v3
	v_cmp_ne_u32_e64 s0, 0, v3
	s_delay_alu instid0(VALU_DEP_3) | instskip(NEXT) | instid1(VALU_DEP_1)
	v_dual_cndmask_b32 v6, 0, v6 :: v_dual_cndmask_b32 v5, 7, v5
	v_cmp_ne_u64_e32 vcc_lo, 0, v[5:6]
                                        ; implicit-def: $vgpr6
	s_delay_alu instid0(VALU_DEP_3) | instskip(NEXT) | instid1(SALU_CYCLE_1)
	s_or_b32 s0, s0, vcc_lo
	s_and_saveexec_b32 s12, s0
	s_delay_alu instid0(SALU_CYCLE_1)
	s_xor_b32 s0, exec_lo, s12
; %bb.59:                               ;   in Loop: Header=BB68_49 Depth=1
	v_min_i32_e32 v3, 15, v3
	s_delay_alu instid0(VALU_DEP_1) | instskip(NEXT) | instid1(VALU_DEP_1)
	v_lshl_or_b32 v0, v3, 3, v0
	v_and_or_b32 v6, v5, 7, v0
                                        ; implicit-def: $vgpr0
; %bb.60:                               ;   in Loop: Header=BB68_49 Depth=1
	s_and_not1_saveexec_b32 s0, s0
; %bb.61:                               ;   in Loop: Header=BB68_49 Depth=1
	v_mov_b32_e32 v6, v0
; %bb.62:                               ;   in Loop: Header=BB68_49 Depth=1
	s_or_b32 exec_lo, exec_lo, s0
.LBB68_63:                              ;   in Loop: Header=BB68_49 Depth=1
	s_delay_alu instid0(SALU_CYCLE_1)
	s_or_b32 exec_lo, exec_lo, s11
.LBB68_64:                              ;   in Loop: Header=BB68_49 Depth=1
	s_and_not1_saveexec_b32 s0, s10
	s_delay_alu instid0(SALU_CYCLE_1)
	s_or_b32 exec_lo, exec_lo, s0
                                        ; implicit-def: $vgpr7
.LBB68_65:                              ;   in Loop: Header=BB68_49 Depth=1
	s_and_not1_saveexec_b32 s0, s9
	s_cbranch_execz .LBB68_48
; %bb.66:                               ;   in Loop: Header=BB68_49 Depth=1
	v_cmp_eq_u64_e32 vcc_lo, 0, v[3:4]
	v_or_b32_e32 v0, 0x7f, v7
	s_delay_alu instid0(VALU_DEP_1)
	v_cndmask_b32_e32 v6, v0, v6, vcc_lo
	s_branch .LBB68_48
.LBB68_67:
	s_nop 0
	s_sendmsg sendmsg(MSG_DEALLOC_VGPRS)
	s_endpgm
.LBB68_68:
                                        ; implicit-def: $sgpr22_sgpr23
	s_branch .LBB68_6
	.section	.rodata,"a",@progbits
	.p2align	6, 0x0
	.amdhsa_kernel _ZN4vllm38concat_and_cache_mla_rope_fused_kernelIN3c108BFloat16ENS1_4HalfELb1EfhLNS_18Fp8KVCacheDataTypeE1EEEvPKlPT_S8_PKS7_PKT0_illlliPT3_S6_iiiiPKf
		.amdhsa_group_segment_fixed_size 4096
		.amdhsa_private_segment_fixed_size 0
		.amdhsa_kernarg_size 384
		.amdhsa_user_sgpr_count 15
		.amdhsa_user_sgpr_dispatch_ptr 1
		.amdhsa_user_sgpr_queue_ptr 0
		.amdhsa_user_sgpr_kernarg_segment_ptr 1
		.amdhsa_user_sgpr_dispatch_id 0
		.amdhsa_user_sgpr_private_segment_size 0
		.amdhsa_wavefront_size32 1
		.amdhsa_uses_dynamic_stack 0
		.amdhsa_enable_private_segment 0
		.amdhsa_system_sgpr_workgroup_id_x 1
		.amdhsa_system_sgpr_workgroup_id_y 0
		.amdhsa_system_sgpr_workgroup_id_z 0
		.amdhsa_system_sgpr_workgroup_info 0
		.amdhsa_system_vgpr_workitem_id 2
		.amdhsa_next_free_vgpr 21
		.amdhsa_next_free_sgpr 48
		.amdhsa_reserve_vcc 1
		.amdhsa_float_round_mode_32 0
		.amdhsa_float_round_mode_16_64 0
		.amdhsa_float_denorm_mode_32 3
		.amdhsa_float_denorm_mode_16_64 3
		.amdhsa_dx10_clamp 1
		.amdhsa_ieee_mode 1
		.amdhsa_fp16_overflow 0
		.amdhsa_workgroup_processor_mode 1
		.amdhsa_memory_ordered 1
		.amdhsa_forward_progress 0
		.amdhsa_shared_vgpr_count 0
		.amdhsa_exception_fp_ieee_invalid_op 0
		.amdhsa_exception_fp_denorm_src 0
		.amdhsa_exception_fp_ieee_div_zero 0
		.amdhsa_exception_fp_ieee_overflow 0
		.amdhsa_exception_fp_ieee_underflow 0
		.amdhsa_exception_fp_ieee_inexact 0
		.amdhsa_exception_int_div_zero 0
	.end_amdhsa_kernel
	.section	.text._ZN4vllm38concat_and_cache_mla_rope_fused_kernelIN3c108BFloat16ENS1_4HalfELb1EfhLNS_18Fp8KVCacheDataTypeE1EEEvPKlPT_S8_PKS7_PKT0_illlliPT3_S6_iiiiPKf,"axG",@progbits,_ZN4vllm38concat_and_cache_mla_rope_fused_kernelIN3c108BFloat16ENS1_4HalfELb1EfhLNS_18Fp8KVCacheDataTypeE1EEEvPKlPT_S8_PKS7_PKT0_illlliPT3_S6_iiiiPKf,comdat
.Lfunc_end68:
	.size	_ZN4vllm38concat_and_cache_mla_rope_fused_kernelIN3c108BFloat16ENS1_4HalfELb1EfhLNS_18Fp8KVCacheDataTypeE1EEEvPKlPT_S8_PKS7_PKT0_illlliPT3_S6_iiiiPKf, .Lfunc_end68-_ZN4vllm38concat_and_cache_mla_rope_fused_kernelIN3c108BFloat16ENS1_4HalfELb1EfhLNS_18Fp8KVCacheDataTypeE1EEEvPKlPT_S8_PKS7_PKT0_illlliPT3_S6_iiiiPKf
                                        ; -- End function
	.section	.AMDGPU.csdata,"",@progbits
; Kernel info:
; codeLenInByte = 5292
; NumSgprs: 50
; NumVgprs: 21
; ScratchSize: 0
; MemoryBound: 0
; FloatMode: 240
; IeeeMode: 1
; LDSByteSize: 4096 bytes/workgroup (compile time only)
; SGPRBlocks: 6
; VGPRBlocks: 2
; NumSGPRsForWavesPerEU: 50
; NumVGPRsForWavesPerEU: 21
; Occupancy: 16
; WaveLimiterHint : 1
; COMPUTE_PGM_RSRC2:SCRATCH_EN: 0
; COMPUTE_PGM_RSRC2:USER_SGPR: 15
; COMPUTE_PGM_RSRC2:TRAP_HANDLER: 0
; COMPUTE_PGM_RSRC2:TGID_X_EN: 1
; COMPUTE_PGM_RSRC2:TGID_Y_EN: 0
; COMPUTE_PGM_RSRC2:TGID_Z_EN: 0
; COMPUTE_PGM_RSRC2:TIDIG_COMP_CNT: 2
	.section	.text._ZN4vllm38concat_and_cache_mla_rope_fused_kernelIN3c108BFloat16ENS1_4HalfELb0EfhLNS_18Fp8KVCacheDataTypeE1EEEvPKlPT_S8_PKS7_PKT0_illlliPT3_S6_iiiiPKf,"axG",@progbits,_ZN4vllm38concat_and_cache_mla_rope_fused_kernelIN3c108BFloat16ENS1_4HalfELb0EfhLNS_18Fp8KVCacheDataTypeE1EEEvPKlPT_S8_PKS7_PKT0_illlliPT3_S6_iiiiPKf,comdat
	.protected	_ZN4vllm38concat_and_cache_mla_rope_fused_kernelIN3c108BFloat16ENS1_4HalfELb0EfhLNS_18Fp8KVCacheDataTypeE1EEEvPKlPT_S8_PKS7_PKT0_illlliPT3_S6_iiiiPKf ; -- Begin function _ZN4vllm38concat_and_cache_mla_rope_fused_kernelIN3c108BFloat16ENS1_4HalfELb0EfhLNS_18Fp8KVCacheDataTypeE1EEEvPKlPT_S8_PKS7_PKT0_illlliPT3_S6_iiiiPKf
	.globl	_ZN4vllm38concat_and_cache_mla_rope_fused_kernelIN3c108BFloat16ENS1_4HalfELb0EfhLNS_18Fp8KVCacheDataTypeE1EEEvPKlPT_S8_PKS7_PKT0_illlliPT3_S6_iiiiPKf
	.p2align	8
	.type	_ZN4vllm38concat_and_cache_mla_rope_fused_kernelIN3c108BFloat16ENS1_4HalfELb0EfhLNS_18Fp8KVCacheDataTypeE1EEEvPKlPT_S8_PKS7_PKT0_illlliPT3_S6_iiiiPKf,@function
_ZN4vllm38concat_and_cache_mla_rope_fused_kernelIN3c108BFloat16ENS1_4HalfELb0EfhLNS_18Fp8KVCacheDataTypeE1EEEvPKlPT_S8_PKS7_PKT0_illlliPT3_S6_iiiiPKf: ; @_ZN4vllm38concat_and_cache_mla_rope_fused_kernelIN3c108BFloat16ENS1_4HalfELb0EfhLNS_18Fp8KVCacheDataTypeE1EEEvPKlPT_S8_PKS7_PKT0_illlliPT3_S6_iiiiPKf
; %bb.0:
	s_load_b64 s[6:7], s[2:3], 0x60
	s_mov_b32 s16, s15
	s_mov_b32 s17, 0
	s_delay_alu instid0(SALU_CYCLE_1)
	s_lshl_b64 s[4:5], s[16:17], 3
	s_waitcnt lgkmcnt(0)
	s_add_u32 s6, s6, s4
	s_addc_u32 s7, s7, s5
	s_load_b64 s[28:29], s[6:7], 0x0
	s_waitcnt lgkmcnt(0)
	v_cmp_lt_i64_e64 s6, s[28:29], 0
	s_delay_alu instid0(VALU_DEP_1)
	s_and_b32 vcc_lo, exec_lo, s6
	s_cbranch_vccnz .LBB69_67
; %bb.1:
	s_clause 0x3
	s_load_b32 s21, s[2:3], 0x28
	s_load_b64 s[6:7], s[2:3], 0x0
	s_load_b128 s[12:15], s[2:3], 0x10
	s_load_b32 s17, s[2:3], 0x50
	v_and_b32_e32 v1, 0x3ff, v0
	s_delay_alu instid0(VALU_DEP_1)
	v_lshlrev_b32_e32 v4, 1, v1
	s_waitcnt lgkmcnt(0)
	s_ashr_i32 s24, s21, 31
	s_add_u32 s4, s6, s4
	s_addc_u32 s5, s7, s5
	s_lshr_b32 s20, s21, 31
	s_load_b64 s[22:23], s[4:5], 0x0
	s_clause 0x2
	s_load_b64 s[26:27], s[2:3], 0x20
	s_load_b64 s[18:19], s[2:3], 0x58
	s_load_b256 s[4:11], s[2:3], 0x30
	s_add_i32 s20, s21, s20
	s_delay_alu instid0(SALU_CYCLE_1) | instskip(NEXT) | instid1(SALU_CYCLE_1)
	s_ashr_i32 s20, s20, 1
	s_mul_i32 s17, s20, s17
	s_waitcnt lgkmcnt(0)
	s_mul_i32 s24, s22, s24
	s_mul_hi_u32 s25, s22, s21
	s_mul_i32 s23, s23, s21
	s_add_i32 s24, s25, s24
	s_mul_i32 s30, s22, s21
	s_add_i32 s31, s24, s23
	s_mov_b32 s24, exec_lo
	v_cmpx_gt_i32_e64 s17, v1
	s_cbranch_execz .LBB69_4
; %bb.2:
	s_load_b64 s[22:23], s[2:3], 0x8
	s_lshl_b64 s[34:35], s[30:31], 1
	s_mul_i32 s21, s16, s5
	s_mul_hi_u32 s33, s16, s4
	s_add_u32 s5, s26, s34
	s_mul_i32 s36, s16, s4
	s_load_b32 s4, s[2:3], 0x8c
	s_addc_u32 s25, s27, s35
	s_add_i32 s37, s33, s21
	s_ashr_i32 s21, s20, 31
	s_lshl_b64 s[34:35], s[36:37], 1
	s_mov_b32 s36, 0
	s_waitcnt lgkmcnt(0)
	s_add_u32 s33, s22, s34
	s_addc_u32 s34, s23, s35
	s_abs_i32 s35, s20
	s_sub_i32 s38, 0, s20
	v_cvt_f32_u32_e32 v2, s35
	s_sub_i32 s22, 0, s35
	s_and_b32 s37, s4, 0xffff
	s_lshl_b32 s4, s20, 1
	s_lshl_b32 s40, s37, 1
	v_rcp_iflag_f32_e32 v2, v2
	s_sub_i32 s39, 0, s4
	s_waitcnt_depctr 0xfff
	v_mul_f32_e32 v2, 0x4f7ffffe, v2
	s_delay_alu instid0(VALU_DEP_1) | instskip(NEXT) | instid1(VALU_DEP_1)
	v_cvt_u32_f32_e32 v3, v2
	v_mul_lo_u32 v2, s22, v3
	s_lshl_b64 s[22:23], s[20:21], 1
	s_delay_alu instid0(VALU_DEP_1) | instskip(NEXT) | instid1(VALU_DEP_1)
	v_mul_hi_u32 v5, v3, v2
	v_dual_mov_b32 v2, v4 :: v_dual_add_nc_u32 v5, v3, v5
	v_mov_b32_e32 v3, v1
.LBB69_3:                               ; =>This Inner Loop Header: Depth=1
	s_delay_alu instid0(VALU_DEP_1) | instskip(SKIP_1) | instid1(VALU_DEP_2)
	v_sub_nc_u32_e32 v6, 0, v3
	v_ashrrev_i32_e32 v7, 31, v3
	v_max_i32_e32 v6, v3, v6
	s_delay_alu instid0(VALU_DEP_2) | instskip(NEXT) | instid1(VALU_DEP_2)
	v_xor_b32_e32 v7, s21, v7
	v_mul_hi_u32 v8, v6, v5
	s_delay_alu instid0(VALU_DEP_1) | instskip(SKIP_1) | instid1(VALU_DEP_2)
	v_mul_lo_u32 v9, v8, s35
	v_add_nc_u32_e32 v10, 1, v8
	v_sub_nc_u32_e32 v6, v6, v9
	s_delay_alu instid0(VALU_DEP_1) | instskip(SKIP_1) | instid1(VALU_DEP_4)
	v_subrev_nc_u32_e32 v9, s35, v6
	v_cmp_le_u32_e32 vcc_lo, s35, v6
	v_cndmask_b32_e32 v8, v8, v10, vcc_lo
	s_delay_alu instid0(VALU_DEP_1) | instskip(NEXT) | instid1(VALU_DEP_1)
	v_dual_cndmask_b32 v6, v6, v9 :: v_dual_add_nc_u32 v9, 1, v8
	v_cmp_le_u32_e32 vcc_lo, s35, v6
	s_delay_alu instid0(VALU_DEP_2) | instskip(NEXT) | instid1(VALU_DEP_1)
	v_cndmask_b32_e32 v6, v8, v9, vcc_lo
	v_xor_b32_e32 v6, v6, v7
	s_delay_alu instid0(VALU_DEP_1) | instskip(NEXT) | instid1(VALU_DEP_1)
	v_sub_nc_u32_e32 v12, v6, v7
	v_mad_u64_u32 v[6:7], null, s38, v12, v[3:4]
	v_ashrrev_i32_e32 v7, 31, v12
	v_mul_lo_u32 v13, v12, s7
	v_mad_u64_u32 v[8:9], null, v12, s6, 0
	v_mad_u64_u32 v[10:11], null, s39, v12, v[2:3]
	s_delay_alu instid0(VALU_DEP_4) | instskip(SKIP_3) | instid1(VALU_DEP_3)
	v_mul_lo_u32 v12, v7, s6
	v_ashrrev_i32_e32 v7, 31, v6
	v_add_nc_u32_e32 v3, s37, v3
	v_add_nc_u32_e32 v2, s40, v2
	v_lshlrev_b64 v[6:7], 1, v[6:7]
	v_ashrrev_i32_e32 v11, 31, v10
	v_add3_u32 v9, v9, v13, v12
	s_delay_alu instid0(VALU_DEP_3) | instskip(NEXT) | instid1(VALU_DEP_4)
	v_add_co_u32 v6, vcc_lo, s5, v6
	v_add_co_ci_u32_e32 v7, vcc_lo, s25, v7, vcc_lo
	s_delay_alu instid0(VALU_DEP_3)
	v_lshlrev_b64 v[8:9], 1, v[8:9]
	v_lshlrev_b64 v[10:11], 1, v[10:11]
	global_load_u16 v12, v[6:7], off
	v_add_co_u32 v6, vcc_lo, v6, s22
	v_add_co_ci_u32_e32 v7, vcc_lo, s23, v7, vcc_lo
	v_add_co_u32 v8, vcc_lo, s33, v8
	v_add_co_ci_u32_e32 v9, vcc_lo, s34, v9, vcc_lo
	global_load_u16 v13, v[6:7], off
	v_add_co_u32 v6, vcc_lo, v8, v10
	v_add_co_ci_u32_e32 v7, vcc_lo, v9, v11, vcc_lo
	global_load_b32 v8, v[6:7], off
	s_waitcnt vmcnt(2)
	v_cvt_f32_f16_e32 v9, v12
	v_cmp_o_f16_e32 vcc_lo, v12, v12
	s_delay_alu instid0(VALU_DEP_2) | instskip(SKIP_2) | instid1(VALU_DEP_2)
	v_bfe_u32 v11, v9, 16, 1
	s_waitcnt vmcnt(1)
	v_cvt_f32_f16_e32 v10, v13
	v_add3_u32 v9, v9, v11, 0x7fff
	s_delay_alu instid0(VALU_DEP_2) | instskip(NEXT) | instid1(VALU_DEP_2)
	v_bfe_u32 v11, v10, 16, 1
	v_and_b32_e32 v9, 0xffff0000, v9
	s_waitcnt vmcnt(0)
	v_lshlrev_b32_e32 v14, 16, v8
	v_and_b32_e32 v8, 0xffff0000, v8
	v_add3_u32 v10, v10, v11, 0x7fff
	v_cndmask_b32_e32 v9, 0x7fc00000, v9, vcc_lo
	v_cmp_o_f16_e32 vcc_lo, v13, v13
	s_delay_alu instid0(VALU_DEP_3) | instskip(NEXT) | instid1(VALU_DEP_3)
	v_and_b32_e32 v10, 0xffff0000, v10
	v_mul_f32_e32 v11, v9, v14
	s_delay_alu instid0(VALU_DEP_2) | instskip(NEXT) | instid1(VALU_DEP_2)
	v_dual_mul_f32 v9, v9, v8 :: v_dual_cndmask_b32 v10, 0x7fc00000, v10
	v_bfe_u32 v12, v11, 16, 1
	s_delay_alu instid0(VALU_DEP_2) | instskip(SKIP_2) | instid1(VALU_DEP_4)
	v_bfe_u32 v13, v9, 16, 1
	v_cmp_o_f32_e32 vcc_lo, v11, v11
	v_cmp_o_f32_e64 s4, v9, v9
	v_add3_u32 v12, v11, v12, 0x7fff
	s_delay_alu instid0(VALU_DEP_4) | instskip(SKIP_2) | instid1(VALU_DEP_4)
	v_add3_u32 v13, v9, v13, 0x7fff
	v_mul_f32_e32 v8, v10, v8
	v_mul_f32_e32 v10, v10, v14
	v_and_b32_e32 v12, 0xffff0000, v12
	s_delay_alu instid0(VALU_DEP_4) | instskip(NEXT) | instid1(VALU_DEP_4)
	v_and_b32_e32 v13, 0xffff0000, v13
	v_bfe_u32 v14, v8, 16, 1
	s_delay_alu instid0(VALU_DEP_4) | instskip(NEXT) | instid1(VALU_DEP_4)
	v_bfe_u32 v15, v10, 16, 1
	v_cndmask_b32_e32 v12, 0x7fc00000, v12, vcc_lo
	s_delay_alu instid0(VALU_DEP_4) | instskip(NEXT) | instid1(VALU_DEP_4)
	v_cndmask_b32_e64 v13, 0x7fc00000, v13, s4
	v_add3_u32 v14, v8, v14, 0x7fff
	s_delay_alu instid0(VALU_DEP_4) | instskip(SKIP_1) | instid1(VALU_DEP_3)
	v_add3_u32 v15, v10, v15, 0x7fff
	v_cmp_o_f32_e64 s4, v8, v8
	v_and_b32_e32 v9, 0xffff0000, v14
	s_delay_alu instid0(VALU_DEP_3) | instskip(SKIP_1) | instid1(VALU_DEP_3)
	v_and_b32_e32 v11, 0xffff0000, v15
	v_cmp_o_f32_e32 vcc_lo, v10, v10
	v_cndmask_b32_e64 v8, 0x7fc00000, v9, s4
	s_delay_alu instid0(VALU_DEP_1) | instskip(NEXT) | instid1(VALU_DEP_1)
	v_dual_cndmask_b32 v9, 0x7fc00000, v11 :: v_dual_sub_f32 v8, v12, v8
	v_add_f32_e32 v9, v13, v9
	s_delay_alu instid0(VALU_DEP_2) | instskip(SKIP_1) | instid1(VALU_DEP_3)
	v_bfe_u32 v10, v8, 16, 1
	v_cmp_o_f32_e64 s4, v8, v8
	v_bfe_u32 v11, v9, 16, 1
	v_cmp_o_f32_e32 vcc_lo, v9, v9
	s_delay_alu instid0(VALU_DEP_4) | instskip(NEXT) | instid1(VALU_DEP_3)
	v_add3_u32 v10, v8, v10, 0x7fff
	v_add3_u32 v11, v9, v11, 0x7fff
	s_delay_alu instid0(VALU_DEP_2) | instskip(NEXT) | instid1(VALU_DEP_2)
	v_lshrrev_b32_e32 v10, 16, v10
	v_lshrrev_b32_e32 v11, 16, v11
	s_delay_alu instid0(VALU_DEP_2) | instskip(NEXT) | instid1(VALU_DEP_2)
	v_cndmask_b32_e64 v8, 0x7fc0, v10, s4
	v_cndmask_b32_e32 v9, 0x7fc0, v11, vcc_lo
	v_cmp_le_i32_e32 vcc_lo, s17, v3
	s_delay_alu instid0(VALU_DEP_2)
	v_perm_b32 v8, v9, v8, 0x5040100
	s_or_b32 s36, vcc_lo, s36
	global_store_b32 v[6:7], v8, off
	s_and_not1_b32 exec_lo, exec_lo, s36
	s_cbranch_execnz .LBB69_3
.LBB69_4:
	s_or_b32 exec_lo, exec_lo, s24
	s_load_b128 s[4:7], s[2:3], 0x68
	s_waitcnt lgkmcnt(0)
	s_ashr_i32 s35, s7, 31
	s_mov_b32 s34, s7
	s_delay_alu instid0(SALU_CYCLE_1) | instskip(SKIP_1) | instid1(SALU_CYCLE_1)
	s_or_b64 s[24:25], s[28:29], s[34:35]
	s_mov_b32 s24, 0
	s_cmp_lg_u64 s[24:25], 0
	s_cbranch_scc0 .LBB69_68
; %bb.5:
	s_add_u32 s36, s34, s35
	s_mov_b32 s22, s35
	s_mov_b32 s23, s35
	s_addc_u32 s37, s35, s35
	s_delay_alu instid0(SALU_CYCLE_1) | instskip(NEXT) | instid1(SALU_CYCLE_1)
	s_xor_b64 s[36:37], s[36:37], s[22:23]
	v_cvt_f32_u32_e32 v2, s36
	v_cvt_f32_u32_e32 v3, s37
	s_sub_u32 s21, 0, s36
	s_subb_u32 s25, 0, s37
	s_delay_alu instid0(VALU_DEP_1) | instskip(NEXT) | instid1(VALU_DEP_1)
	v_fmamk_f32 v2, v3, 0x4f800000, v2
	v_rcp_f32_e32 v2, v2
	s_waitcnt_depctr 0xfff
	v_mul_f32_e32 v2, 0x5f7ffffc, v2
	s_delay_alu instid0(VALU_DEP_1) | instskip(NEXT) | instid1(VALU_DEP_1)
	v_mul_f32_e32 v3, 0x2f800000, v2
	v_trunc_f32_e32 v3, v3
	s_delay_alu instid0(VALU_DEP_1) | instskip(SKIP_1) | instid1(VALU_DEP_2)
	v_fmamk_f32 v2, v3, 0xcf800000, v2
	v_cvt_u32_f32_e32 v3, v3
	v_cvt_u32_f32_e32 v2, v2
	s_delay_alu instid0(VALU_DEP_2) | instskip(NEXT) | instid1(VALU_DEP_2)
	v_readfirstlane_b32 s7, v3
	v_readfirstlane_b32 s17, v2
	s_delay_alu instid0(VALU_DEP_2) | instskip(NEXT) | instid1(VALU_DEP_1)
	s_mul_i32 s33, s21, s7
	s_mul_hi_u32 s39, s21, s17
	s_mul_i32 s38, s25, s17
	s_add_i32 s33, s39, s33
	s_mul_i32 s40, s21, s17
	s_add_i32 s33, s33, s38
	s_mul_hi_u32 s39, s17, s40
	s_mul_hi_u32 s41, s7, s40
	s_mul_i32 s38, s7, s40
	s_mul_hi_u32 s40, s17, s33
	s_mul_i32 s17, s17, s33
	s_mul_hi_u32 s42, s7, s33
	s_add_u32 s17, s39, s17
	s_addc_u32 s39, 0, s40
	s_add_u32 s17, s17, s38
	s_mul_i32 s33, s7, s33
	s_addc_u32 s17, s39, s41
	s_addc_u32 s38, s42, 0
	s_add_u32 s17, s17, s33
	s_addc_u32 s33, 0, s38
	v_add_co_u32 v2, s17, v2, s17
	s_delay_alu instid0(VALU_DEP_1) | instskip(SKIP_1) | instid1(VALU_DEP_1)
	s_cmp_lg_u32 s17, 0
	s_addc_u32 s7, s7, s33
	v_readfirstlane_b32 s17, v2
	s_mul_i32 s33, s21, s7
	s_delay_alu instid0(VALU_DEP_1)
	s_mul_hi_u32 s38, s21, s17
	s_mul_i32 s25, s25, s17
	s_add_i32 s33, s38, s33
	s_mul_i32 s21, s21, s17
	s_add_i32 s33, s33, s25
	s_mul_hi_u32 s38, s7, s21
	s_mul_i32 s39, s7, s21
	s_mul_hi_u32 s21, s17, s21
	s_mul_hi_u32 s40, s17, s33
	s_mul_i32 s17, s17, s33
	s_mul_hi_u32 s25, s7, s33
	s_add_u32 s17, s21, s17
	s_addc_u32 s21, 0, s40
	s_add_u32 s17, s17, s39
	s_mul_i32 s33, s7, s33
	s_addc_u32 s17, s21, s38
	s_addc_u32 s21, s25, 0
	s_add_u32 s17, s17, s33
	s_addc_u32 s21, 0, s21
	v_add_co_u32 v2, s17, v2, s17
	s_delay_alu instid0(VALU_DEP_1) | instskip(SKIP_2) | instid1(VALU_DEP_1)
	s_cmp_lg_u32 s17, 0
	s_addc_u32 s7, s7, s21
	s_ashr_i32 s38, s29, 31
	v_readfirstlane_b32 s17, v2
	s_add_u32 s40, s28, s38
	s_mov_b32 s39, s38
	s_addc_u32 s41, s29, s38
	s_delay_alu instid0(SALU_CYCLE_1) | instskip(NEXT) | instid1(SALU_CYCLE_1)
	s_xor_b64 s[40:41], s[40:41], s[38:39]
	s_mul_i32 s25, s40, s7
	s_mul_hi_u32 s33, s40, s17
	s_mul_hi_u32 s21, s40, s7
	;; [unrolled: 1-line block ×3, first 2 shown]
	s_mul_i32 s17, s41, s17
	s_add_u32 s25, s33, s25
	s_addc_u32 s21, 0, s21
	s_mul_hi_u32 s42, s41, s7
	s_add_u32 s17, s25, s17
	s_mul_i32 s7, s41, s7
	s_addc_u32 s17, s21, s43
	s_addc_u32 s21, s42, 0
	s_add_u32 s7, s17, s7
	s_addc_u32 s17, 0, s21
	s_mul_hi_u32 s21, s36, s7
	s_mul_i32 s33, s36, s17
	s_mul_i32 s42, s36, s7
	s_add_i32 s21, s21, s33
	v_sub_co_u32 v2, s33, s40, s42
	s_mul_i32 s25, s37, s7
	s_delay_alu instid0(SALU_CYCLE_1) | instskip(NEXT) | instid1(VALU_DEP_1)
	s_add_i32 s21, s21, s25
	v_sub_co_u32 v3, s40, v2, s36
	s_sub_i32 s25, s41, s21
	s_cmp_lg_u32 s33, 0
	s_subb_u32 s25, s25, s37
	s_cmp_lg_u32 s40, 0
	v_readfirstlane_b32 s40, v3
	s_subb_u32 s25, s25, 0
	s_delay_alu instid0(SALU_CYCLE_1) | instskip(SKIP_1) | instid1(VALU_DEP_1)
	s_cmp_ge_u32 s25, s37
	s_cselect_b32 s42, -1, 0
	s_cmp_ge_u32 s40, s36
	s_cselect_b32 s40, -1, 0
	s_cmp_eq_u32 s25, s37
	s_cselect_b32 s25, s40, s42
	s_add_u32 s40, s7, 1
	s_addc_u32 s42, s17, 0
	s_add_u32 s43, s7, 2
	s_addc_u32 s44, s17, 0
	s_cmp_lg_u32 s25, 0
	s_cselect_b32 s25, s43, s40
	s_cselect_b32 s40, s44, s42
	s_cmp_lg_u32 s33, 0
	v_readfirstlane_b32 s33, v2
	s_subb_u32 s21, s41, s21
	s_delay_alu instid0(SALU_CYCLE_1) | instskip(SKIP_1) | instid1(VALU_DEP_1)
	s_cmp_ge_u32 s21, s37
	s_cselect_b32 s41, -1, 0
	s_cmp_ge_u32 s33, s36
	s_cselect_b32 s33, -1, 0
	s_cmp_eq_u32 s21, s37
	s_cselect_b32 s21, s33, s41
	s_delay_alu instid0(SALU_CYCLE_1) | instskip(SKIP_3) | instid1(SALU_CYCLE_1)
	s_cmp_lg_u32 s21, 0
	s_cselect_b32 s37, s40, s17
	s_cselect_b32 s36, s25, s7
	s_xor_b64 s[22:23], s[38:39], s[22:23]
	s_xor_b64 s[36:37], s[36:37], s[22:23]
	s_delay_alu instid0(SALU_CYCLE_1)
	s_sub_u32 s22, s36, s22
	s_subb_u32 s23, s37, s23
	s_and_not1_b32 vcc_lo, exec_lo, s24
	s_cbranch_vccnz .LBB69_7
.LBB69_6:
	v_cvt_f32_u32_e32 v2, s34
	s_sub_i32 s17, 0, s34
	s_mov_b32 s23, 0
	s_delay_alu instid0(VALU_DEP_1) | instskip(SKIP_2) | instid1(VALU_DEP_1)
	v_rcp_iflag_f32_e32 v2, v2
	s_waitcnt_depctr 0xfff
	v_mul_f32_e32 v2, 0x4f7ffffe, v2
	v_cvt_u32_f32_e32 v2, v2
	s_delay_alu instid0(VALU_DEP_1) | instskip(NEXT) | instid1(VALU_DEP_1)
	v_readfirstlane_b32 s7, v2
	s_mul_i32 s17, s17, s7
	s_delay_alu instid0(SALU_CYCLE_1) | instskip(NEXT) | instid1(SALU_CYCLE_1)
	s_mul_hi_u32 s17, s7, s17
	s_add_i32 s7, s7, s17
	s_delay_alu instid0(SALU_CYCLE_1) | instskip(NEXT) | instid1(SALU_CYCLE_1)
	s_mul_hi_u32 s7, s28, s7
	s_mul_i32 s17, s7, s34
	s_add_i32 s21, s7, 1
	s_sub_i32 s17, s28, s17
	s_delay_alu instid0(SALU_CYCLE_1)
	s_sub_i32 s22, s17, s34
	s_cmp_ge_u32 s17, s34
	s_cselect_b32 s7, s21, s7
	s_cselect_b32 s17, s22, s17
	s_add_i32 s21, s7, 1
	s_cmp_ge_u32 s17, s34
	s_cselect_b32 s22, s21, s7
.LBB69_7:
	s_load_b64 s[24:25], s[2:3], 0x78
	s_mul_i32 s7, s22, s35
	s_mul_hi_u32 s17, s22, s34
	s_mul_i32 s21, s22, s34
	s_add_i32 s7, s17, s7
	s_mul_i32 s17, s23, s34
	s_mul_i32 s33, s23, s4
	s_add_i32 s17, s7, s17
	s_sub_u32 s7, s28, s21
	s_subb_u32 s17, s29, s17
	s_mul_hi_u32 s29, s22, s4
	s_mul_i32 s34, s22, s4
	s_mul_hi_u32 s28, s7, s5
	s_mul_i32 s17, s17, s5
	s_mul_i32 s23, s7, s5
	s_mov_b32 s35, exec_lo
	v_cmpx_gt_i32_e64 s20, v1
	s_cbranch_execz .LBB69_46
; %bb.8:
	s_load_b64 s[36:37], s[0:1], 0x4
	s_load_b32 s0, s[2:3], 0x8c
	s_ashr_i32 s40, s4, 31
	s_ashr_i32 s41, s5, 31
	v_bfe_u32 v2, v0, 10, 10
	v_bfe_u32 v3, v0, 20, 10
	s_lshl_b64 s[38:39], s[30:31], 1
	s_mul_i32 s30, s22, s40
	s_mul_i32 s40, s7, s41
	s_add_i32 s30, s29, s30
	s_add_i32 s40, s28, s40
	s_ashr_i32 s21, s20, 31
	s_ashr_i32 s42, s6, 31
	s_mul_i32 s9, s9, s16
	s_mul_hi_u32 s31, s8, s16
	s_add_i32 s41, s30, s33
	s_add_i32 s40, s40, s17
	s_mul_i32 s8, s8, s16
	s_waitcnt lgkmcnt(0)
	s_load_b32 s1, s[24:25], 0x0
	v_lshlrev_b32_e32 v5, 2, v1
	s_lshr_b32 s36, s36, 16
	s_and_b32 s30, s0, 0xffff
	s_mul_i32 s36, s36, s37
	s_add_u32 s0, s26, s38
	v_mul_lo_u32 v0, s36, v1
	s_addc_u32 s27, s27, s39
	s_add_i32 s9, s31, s9
	s_lshl_b32 s26, s30, 1
	s_lshl_b64 s[8:9], s[8:9], 1
	s_lshl_b64 s[38:39], s[20:21], 1
	v_mov_b32_e32 v19, v1
	s_delay_alu instid0(VALU_DEP_2) | instskip(SKIP_1) | instid1(VALU_DEP_1)
	v_mad_u32_u24 v2, v2, s37, v0
	v_add_co_u32 v0, s0, s0, v4
	v_add_co_ci_u32_e64 v12, null, s27, 0, s0
	s_add_u32 s0, s12, s8
	s_addc_u32 s8, s13, s9
	v_add_lshl_u32 v13, v2, v3, 1
	v_add_co_u32 v2, s0, s0, v5
	s_lshl_b32 s12, s30, 2
	v_add_co_ci_u32_e64 v3, null, s8, 0, s0
	s_add_u32 s0, s34, s23
	s_addc_u32 s8, s41, s40
	s_add_u32 s9, s18, s6
	s_addc_u32 s13, s19, s42
	s_add_u32 s0, s9, s0
	v_add_co_u32 v14, vcc_lo, v0, s38
	s_addc_u32 s8, s13, s8
	v_add_co_u32 v17, s0, s0, v4
	v_add_co_ci_u32_e32 v15, vcc_lo, s39, v12, vcc_lo
	v_dual_mov_b32 v5, 0 :: v_dual_add_nc_u32 v16, 0x800, v13
	v_add_co_ci_u32_e64 v18, null, s8, 0, s0
	s_mov_b32 s13, 0
	s_mov_b64 s[8:9], 0
	s_branch .LBB69_10
.LBB69_9:                               ;   in Loop: Header=BB69_10 Depth=1
	s_or_b32 exec_lo, exec_lo, s0
	v_add_nc_u32_e32 v19, s30, v19
	v_add_co_u32 v2, s0, v2, s12
	s_delay_alu instid0(VALU_DEP_1) | instskip(NEXT) | instid1(VALU_DEP_3)
	v_add_co_ci_u32_e64 v3, s0, 0, v3, s0
	v_cmp_le_i32_e32 vcc_lo, s20, v19
	s_add_u32 s8, s8, s26
	s_addc_u32 s9, s9, 0
	global_store_b8 v[6:7], v9, off offset:1
	s_or_b32 s13, vcc_lo, s13
	s_delay_alu instid0(SALU_CYCLE_1)
	s_and_not1_b32 exec_lo, exec_lo, s13
	s_cbranch_execz .LBB69_46
.LBB69_10:                              ; =>This Inner Loop Header: Depth=1
	v_add_co_u32 v6, vcc_lo, v0, s8
	v_add_co_ci_u32_e32 v7, vcc_lo, s9, v12, vcc_lo
	v_add_co_u32 v8, vcc_lo, v14, s8
	v_add_co_ci_u32_e32 v9, vcc_lo, s9, v15, vcc_lo
	s_clause 0x1
	global_load_u16 v4, v[6:7], off
	global_load_u16 v6, v[8:9], off
	global_load_b32 v7, v[2:3], off
	s_waitcnt vmcnt(2)
	v_cvt_f32_f16_e32 v8, v4
	s_waitcnt vmcnt(1)
	v_cvt_f32_f16_e32 v9, v6
	v_cmp_o_f16_e32 vcc_lo, v4, v4
	s_delay_alu instid0(VALU_DEP_3) | instskip(NEXT) | instid1(VALU_DEP_3)
	v_bfe_u32 v10, v8, 16, 1
	v_bfe_u32 v11, v9, 16, 1
	s_delay_alu instid0(VALU_DEP_2) | instskip(NEXT) | instid1(VALU_DEP_2)
	v_add3_u32 v8, v8, v10, 0x7fff
	v_add3_u32 v9, v9, v11, 0x7fff
	s_waitcnt vmcnt(0)
	v_and_b32_e32 v10, 0xffff0000, v7
	s_delay_alu instid0(VALU_DEP_3) | instskip(NEXT) | instid1(VALU_DEP_1)
	v_and_b32_e32 v8, 0xffff0000, v8
	v_dual_cndmask_b32 v4, 0x7fc00000, v8 :: v_dual_lshlrev_b32 v7, 16, v7
	v_and_b32_e32 v9, 0xffff0000, v9
	v_cmp_o_f16_e32 vcc_lo, v6, v6
	s_delay_alu instid0(VALU_DEP_3) | instskip(SKIP_1) | instid1(VALU_DEP_4)
	v_mul_f32_e32 v8, v4, v7
	v_mul_f32_e32 v4, v4, v10
	v_cndmask_b32_e32 v6, 0x7fc00000, v9, vcc_lo
	s_delay_alu instid0(VALU_DEP_3) | instskip(SKIP_1) | instid1(VALU_DEP_3)
	v_bfe_u32 v11, v8, 16, 1
	v_cmp_o_f32_e32 vcc_lo, v8, v8
	v_mul_f32_e32 v9, v6, v10
	s_delay_alu instid0(VALU_DEP_3) | instskip(NEXT) | instid1(VALU_DEP_2)
	v_add3_u32 v11, v8, v11, 0x7fff
	v_bfe_u32 v20, v9, 16, 1
	s_delay_alu instid0(VALU_DEP_2) | instskip(NEXT) | instid1(VALU_DEP_2)
	v_and_b32_e32 v11, 0xffff0000, v11
	v_add3_u32 v20, v9, v20, 0x7fff
	s_delay_alu instid0(VALU_DEP_2) | instskip(SKIP_1) | instid1(VALU_DEP_3)
	v_cndmask_b32_e32 v8, 0x7fc00000, v11, vcc_lo
	v_cmp_o_f32_e32 vcc_lo, v9, v9
	v_and_b32_e32 v20, 0xffff0000, v20
	s_delay_alu instid0(VALU_DEP_1) | instskip(NEXT) | instid1(VALU_DEP_1)
	v_cndmask_b32_e32 v9, 0x7fc00000, v20, vcc_lo
	v_sub_f32_e32 v8, v8, v9
	s_delay_alu instid0(VALU_DEP_1) | instskip(SKIP_1) | instid1(VALU_DEP_2)
	v_bfe_u32 v9, v8, 16, 1
	v_cmp_o_f32_e32 vcc_lo, v8, v8
	v_add3_u32 v9, v8, v9, 0x7fff
	s_delay_alu instid0(VALU_DEP_1) | instskip(NEXT) | instid1(VALU_DEP_1)
	v_lshrrev_b32_e32 v9, 16, v9
	v_cndmask_b32_e32 v20, 0x7fc0, v9, vcc_lo
	v_bfe_u32 v9, v4, 16, 1
	v_cmp_o_f32_e32 vcc_lo, v4, v4
	ds_store_b16 v16, v20
	ds_load_b32 v8, v16
	v_add3_u32 v9, v4, v9, 0x7fff
	s_delay_alu instid0(VALU_DEP_1) | instskip(NEXT) | instid1(VALU_DEP_1)
	v_dual_mul_f32 v6, v6, v7 :: v_dual_and_b32 v9, 0xffff0000, v9
	v_bfe_u32 v10, v6, 16, 1
	s_delay_alu instid0(VALU_DEP_2) | instskip(NEXT) | instid1(VALU_DEP_2)
	v_cndmask_b32_e32 v4, 0x7fc00000, v9, vcc_lo
	v_add3_u32 v10, v6, v10, 0x7fff
	v_cmp_o_f32_e32 vcc_lo, v6, v6
	s_delay_alu instid0(VALU_DEP_2) | instskip(SKIP_2) | instid1(VALU_DEP_2)
	v_and_b32_e32 v10, 0xffff0000, v10
	s_waitcnt lgkmcnt(0)
	v_div_scale_f32 v7, null, s1, s1, v8
	v_cndmask_b32_e32 v6, 0x7fc00000, v10, vcc_lo
	v_div_scale_f32 v9, vcc_lo, v8, s1, v8
	s_delay_alu instid0(VALU_DEP_3) | instskip(NEXT) | instid1(VALU_DEP_2)
	v_rcp_f32_e32 v11, v7
	v_add_f32_e32 v4, v4, v6
	s_waitcnt_depctr 0xfff
	v_fma_f32 v21, -v7, v11, 1.0
	s_delay_alu instid0(VALU_DEP_1) | instskip(NEXT) | instid1(VALU_DEP_1)
	v_fmac_f32_e32 v11, v21, v11
	v_mul_f32_e32 v6, v9, v11
	s_delay_alu instid0(VALU_DEP_1) | instskip(NEXT) | instid1(VALU_DEP_1)
	v_fma_f32 v21, -v7, v6, v9
	v_fmac_f32_e32 v6, v21, v11
	s_delay_alu instid0(VALU_DEP_1) | instskip(SKIP_1) | instid1(VALU_DEP_2)
	v_fma_f32 v7, -v7, v6, v9
	v_mov_b32_e32 v9, v5
	v_div_fmas_f32 v6, v7, v11, v6
	s_delay_alu instid0(VALU_DEP_1) | instskip(NEXT) | instid1(VALU_DEP_1)
	v_div_fixup_f32 v6, v6, s1, v8
	v_lshrrev_b32_e32 v7, 24, v6
	v_and_b32_e32 v8, 0x7f800000, v6
	s_delay_alu instid0(VALU_DEP_2) | instskip(SKIP_2) | instid1(VALU_DEP_4)
	v_and_b32_e32 v11, 0x80, v7
	v_bfe_u32 v10, v4, 16, 1
	v_cmp_o_f32_e64 s0, v4, v4
	v_cmp_ne_u64_e32 vcc_lo, 0x7f800000, v[8:9]
	s_delay_alu instid0(VALU_DEP_4) | instskip(NEXT) | instid1(VALU_DEP_4)
	v_or_b32_e32 v8, 0x7e, v11
	v_add3_u32 v10, v4, v10, 0x7fff
	s_delay_alu instid0(VALU_DEP_1) | instskip(NEXT) | instid1(VALU_DEP_1)
	v_lshrrev_b32_e32 v10, 16, v10
	v_cndmask_b32_e64 v4, 0x7fc0, v10, s0
	ds_store_b16 v13, v4
	ds_load_b32 v10, v13
	v_perm_b32 v20, v4, v20, 0x5040100
	v_and_b32_e32 v4, 0x7fffff, v6
	global_store_b32 v[2:3], v20, off
	s_and_saveexec_b32 s0, vcc_lo
	s_delay_alu instid0(SALU_CYCLE_1)
	s_xor_b32 s21, exec_lo, s0
	s_cbranch_execz .LBB69_26
; %bb.11:                               ;   in Loop: Header=BB69_10 Depth=1
	v_dual_mov_b32 v21, v5 :: v_dual_and_b32 v20, 0x7fffffff, v6
	s_mov_b32 s0, exec_lo
	s_delay_alu instid0(VALU_DEP_1)
	v_cmpx_gt_u64_e32 0x43e00001, v[20:21]
	s_xor_b32 s27, exec_lo, s0
	s_cbranch_execz .LBB69_25
; %bb.12:                               ;   in Loop: Header=BB69_10 Depth=1
	v_mov_b32_e32 v8, 0
	s_mov_b32 s31, exec_lo
	v_cmpx_ne_u32_e32 0, v6
	s_cbranch_execz .LBB69_24
; %bb.13:                               ;   in Loop: Header=BB69_10 Depth=1
	v_bfe_u32 v20, v6, 23, 8
	v_or_b32_e32 v8, 0x800000, v4
	s_delay_alu instid0(VALU_DEP_2) | instskip(SKIP_1) | instid1(VALU_DEP_2)
	v_sub_nc_u32_e32 v6, 0x79, v20
	v_cmp_gt_u32_e32 vcc_lo, 0x7a, v20
	v_cndmask_b32_e32 v6, 0, v6, vcc_lo
	v_cmp_eq_u32_e32 vcc_lo, 0, v20
	s_delay_alu instid0(VALU_DEP_2) | instskip(SKIP_1) | instid1(VALU_DEP_2)
	v_cndmask_b32_e64 v21, v6, 0x78, vcc_lo
	v_cndmask_b32_e32 v4, v8, v4, vcc_lo
	v_add_nc_u32_e32 v6, 20, v21
	v_add_nc_u32_e32 v8, 19, v21
	s_delay_alu instid0(VALU_DEP_2) | instskip(NEXT) | instid1(VALU_DEP_2)
	v_lshlrev_b64 v[6:7], v6, -1
	v_lshlrev_b64 v[8:9], v8, 1
	s_delay_alu instid0(VALU_DEP_2) | instskip(NEXT) | instid1(VALU_DEP_3)
	v_not_b32_e32 v7, v7
	v_not_b32_e32 v6, v6
	s_delay_alu instid0(VALU_DEP_2) | instskip(NEXT) | instid1(VALU_DEP_2)
	v_and_b32_e32 v23, 0, v7
	v_and_b32_e32 v22, v4, v6
	v_lshrrev_b64 v[6:7], v21, v[4:5]
	s_delay_alu instid0(VALU_DEP_2) | instskip(NEXT) | instid1(VALU_DEP_2)
	v_cmp_eq_u64_e64 s0, v[22:23], v[8:9]
	v_dual_mov_b32 v9, v7 :: v_dual_mov_b32 v8, v6
	s_delay_alu instid0(VALU_DEP_2)
	s_and_saveexec_b32 s36, s0
; %bb.14:                               ;   in Loop: Header=BB69_10 Depth=1
	v_bfe_u32 v4, v6, 20, 1
	s_delay_alu instid0(VALU_DEP_1) | instskip(NEXT) | instid1(VALU_DEP_1)
	v_add_co_u32 v4, s0, v6, v4
	v_add_co_u32 v8, s0, v4, -1
; %bb.15:                               ;   in Loop: Header=BB69_10 Depth=1
	s_or_b32 exec_lo, exec_lo, s36
	v_add_nc_u32_e32 v4, 0xffffff81, v20
	v_lshrrev_b32_e32 v9, 23, v6
	s_mov_b32 s0, exec_lo
	s_delay_alu instid0(VALU_DEP_2) | instskip(NEXT) | instid1(VALU_DEP_1)
	v_cndmask_b32_e64 v4, v4, 0xffffff82, vcc_lo
	v_add3_u32 v9, v21, v4, v9
	v_and_b32_e32 v4, 0xfffff, v8
	s_delay_alu instid0(VALU_DEP_2) | instskip(NEXT) | instid1(VALU_DEP_2)
	v_add_nc_u32_e32 v8, 6, v9
	v_add_co_u32 v6, vcc_lo, v4, v6
	v_add_co_ci_u32_e32 v7, vcc_lo, 0, v7, vcc_lo
                                        ; implicit-def: $vgpr4
	s_delay_alu instid0(VALU_DEP_3)
	v_cmpx_ne_u32_e32 0, v8
	s_xor_b32 s0, exec_lo, s0
; %bb.16:                               ;   in Loop: Header=BB69_10 Depth=1
	s_delay_alu instid0(VALU_DEP_2) | instskip(SKIP_1) | instid1(VALU_DEP_1)
	v_cmp_lt_u64_e32 vcc_lo, 0xffffff, v[6:7]
	v_add_nc_u32_e32 v4, 7, v9
	v_cndmask_b32_e32 v4, v8, v4, vcc_lo
	v_cndmask_b32_e64 v8, 0, 1, vcc_lo
	s_delay_alu instid0(VALU_DEP_1)
	v_lshrrev_b64 v[6:7], v8, v[6:7]
; %bb.17:                               ;   in Loop: Header=BB69_10 Depth=1
	s_and_not1_saveexec_b32 s0, s0
; %bb.18:                               ;   in Loop: Header=BB69_10 Depth=1
	s_delay_alu instid0(VALU_DEP_1)
	v_bfe_u32 v4, v6, 23, 1
; %bb.19:                               ;   in Loop: Header=BB69_10 Depth=1
	s_or_b32 exec_lo, exec_lo, s0
	s_delay_alu instid0(VALU_DEP_2) | instskip(NEXT) | instid1(VALU_DEP_2)
	v_lshrrev_b64 v[6:7], 20, v[6:7]
	v_cmp_gt_i32_e32 vcc_lo, 16, v4
	v_cmp_ne_u32_e64 s0, 0, v4
                                        ; implicit-def: $vgpr8
	s_delay_alu instid0(VALU_DEP_3) | instskip(NEXT) | instid1(VALU_DEP_1)
	v_dual_cndmask_b32 v7, 0, v7 :: v_dual_cndmask_b32 v6, 7, v6
	v_cmp_ne_u64_e32 vcc_lo, 0, v[6:7]
	s_delay_alu instid0(VALU_DEP_3) | instskip(NEXT) | instid1(SALU_CYCLE_1)
	s_or_b32 s0, s0, vcc_lo
	s_and_saveexec_b32 s36, s0
	s_delay_alu instid0(SALU_CYCLE_1)
	s_xor_b32 s0, exec_lo, s36
; %bb.20:                               ;   in Loop: Header=BB69_10 Depth=1
	v_min_i32_e32 v4, 15, v4
	s_delay_alu instid0(VALU_DEP_1) | instskip(NEXT) | instid1(VALU_DEP_1)
	v_lshl_or_b32 v4, v4, 3, v11
                                        ; implicit-def: $vgpr11
	v_and_or_b32 v8, v6, 7, v4
; %bb.21:                               ;   in Loop: Header=BB69_10 Depth=1
	s_and_not1_saveexec_b32 s0, s0
; %bb.22:                               ;   in Loop: Header=BB69_10 Depth=1
	v_mov_b32_e32 v8, v11
; %bb.23:                               ;   in Loop: Header=BB69_10 Depth=1
	s_or_b32 exec_lo, exec_lo, s0
.LBB69_24:                              ;   in Loop: Header=BB69_10 Depth=1
	s_delay_alu instid0(SALU_CYCLE_1)
	s_or_b32 exec_lo, exec_lo, s31
.LBB69_25:                              ;   in Loop: Header=BB69_10 Depth=1
	s_and_not1_saveexec_b32 s0, s27
	s_delay_alu instid0(SALU_CYCLE_1)
	s_or_b32 exec_lo, exec_lo, s0
                                        ; implicit-def: $vgpr7
.LBB69_26:                              ;   in Loop: Header=BB69_10 Depth=1
	s_and_not1_saveexec_b32 s0, s21
; %bb.27:                               ;   in Loop: Header=BB69_10 Depth=1
	v_cmp_eq_u64_e32 vcc_lo, 0, v[4:5]
	v_or_b32_e32 v6, 0x7f, v7
	s_delay_alu instid0(VALU_DEP_1)
	v_cndmask_b32_e32 v8, v6, v8, vcc_lo
; %bb.28:                               ;   in Loop: Header=BB69_10 Depth=1
	s_or_b32 exec_lo, exec_lo, s0
	s_waitcnt lgkmcnt(0)
	v_div_scale_f32 v4, null, s1, s1, v10
	v_div_scale_f32 v9, vcc_lo, v10, s1, v10
	s_mov_b32 s0, exec_lo
	s_delay_alu instid0(VALU_DEP_2) | instskip(SKIP_3) | instid1(VALU_DEP_1)
	v_rcp_f32_e32 v6, v4
	v_mov_b32_e32 v22, v5
	s_waitcnt_depctr 0xfff
	v_fma_f32 v7, -v4, v6, 1.0
	v_fmac_f32_e32 v6, v7, v6
	s_delay_alu instid0(VALU_DEP_1) | instskip(NEXT) | instid1(VALU_DEP_1)
	v_mul_f32_e32 v7, v9, v6
	v_fma_f32 v11, -v4, v7, v9
	s_delay_alu instid0(VALU_DEP_1) | instskip(NEXT) | instid1(VALU_DEP_1)
	v_fmac_f32_e32 v7, v11, v6
	v_fma_f32 v4, -v4, v7, v9
	s_delay_alu instid0(VALU_DEP_1) | instskip(SKIP_2) | instid1(VALU_DEP_3)
	v_div_fmas_f32 v4, v4, v6, v7
	v_add_co_u32 v6, vcc_lo, v17, s8
	v_add_co_ci_u32_e32 v7, vcc_lo, s9, v18, vcc_lo
	v_div_fixup_f32 v10, v4, s1, v10
	global_store_b8 v[6:7], v8, off
	v_lshrrev_b32_e32 v11, 24, v10
	v_and_b32_e32 v21, 0x7f800000, v10
	v_and_b32_e32 v4, 0x7fffff, v10
	s_delay_alu instid0(VALU_DEP_3) | instskip(NEXT) | instid1(VALU_DEP_1)
	v_and_b32_e32 v20, 0x80, v11
	v_or_b32_e32 v9, 0x7e, v20
	s_delay_alu instid0(VALU_DEP_4)
	v_cmpx_ne_u64_e32 0x7f800000, v[21:22]
	s_xor_b32 s21, exec_lo, s0
	s_cbranch_execz .LBB69_44
; %bb.29:                               ;   in Loop: Header=BB69_10 Depth=1
	v_dual_mov_b32 v22, v5 :: v_dual_and_b32 v21, 0x7fffffff, v10
	s_mov_b32 s0, exec_lo
	s_delay_alu instid0(VALU_DEP_1)
	v_cmpx_gt_u64_e32 0x43e00001, v[21:22]
	s_xor_b32 s27, exec_lo, s0
	s_cbranch_execz .LBB69_43
; %bb.30:                               ;   in Loop: Header=BB69_10 Depth=1
	v_mov_b32_e32 v9, 0
	s_mov_b32 s31, exec_lo
	v_cmpx_ne_u32_e32 0, v10
	s_cbranch_execz .LBB69_42
; %bb.31:                               ;   in Loop: Header=BB69_10 Depth=1
	v_bfe_u32 v21, v10, 23, 8
	v_or_b32_e32 v10, 0x800000, v4
	s_delay_alu instid0(VALU_DEP_2) | instskip(SKIP_1) | instid1(VALU_DEP_2)
	v_sub_nc_u32_e32 v8, 0x79, v21
	v_cmp_gt_u32_e32 vcc_lo, 0x7a, v21
	v_cndmask_b32_e32 v8, 0, v8, vcc_lo
	v_cmp_eq_u32_e32 vcc_lo, 0, v21
	s_delay_alu instid0(VALU_DEP_2) | instskip(SKIP_1) | instid1(VALU_DEP_2)
	v_cndmask_b32_e64 v22, v8, 0x78, vcc_lo
	v_cndmask_b32_e32 v4, v10, v4, vcc_lo
	v_add_nc_u32_e32 v8, 20, v22
	v_add_nc_u32_e32 v10, 19, v22
	s_delay_alu instid0(VALU_DEP_2) | instskip(NEXT) | instid1(VALU_DEP_2)
	v_lshlrev_b64 v[8:9], v8, -1
	v_lshlrev_b64 v[10:11], v10, 1
	s_delay_alu instid0(VALU_DEP_2) | instskip(NEXT) | instid1(VALU_DEP_3)
	v_not_b32_e32 v9, v9
	v_not_b32_e32 v8, v8
	s_delay_alu instid0(VALU_DEP_2) | instskip(NEXT) | instid1(VALU_DEP_2)
	v_and_b32_e32 v24, 0, v9
	v_and_b32_e32 v23, v4, v8
	v_lshrrev_b64 v[8:9], v22, v[4:5]
	s_delay_alu instid0(VALU_DEP_2) | instskip(NEXT) | instid1(VALU_DEP_2)
	v_cmp_eq_u64_e64 s0, v[23:24], v[10:11]
	v_dual_mov_b32 v11, v9 :: v_dual_mov_b32 v10, v8
	s_delay_alu instid0(VALU_DEP_2)
	s_and_saveexec_b32 s36, s0
; %bb.32:                               ;   in Loop: Header=BB69_10 Depth=1
	v_bfe_u32 v4, v8, 20, 1
	s_delay_alu instid0(VALU_DEP_1) | instskip(NEXT) | instid1(VALU_DEP_1)
	v_add_co_u32 v4, s0, v8, v4
	v_add_co_u32 v10, s0, v4, -1
; %bb.33:                               ;   in Loop: Header=BB69_10 Depth=1
	s_or_b32 exec_lo, exec_lo, s36
	v_add_nc_u32_e32 v4, 0xffffff81, v21
	v_lshrrev_b32_e32 v11, 23, v8
	s_mov_b32 s0, exec_lo
	s_delay_alu instid0(VALU_DEP_2) | instskip(NEXT) | instid1(VALU_DEP_1)
	v_cndmask_b32_e64 v4, v4, 0xffffff82, vcc_lo
	v_add3_u32 v11, v22, v4, v11
	v_and_b32_e32 v4, 0xfffff, v10
	s_delay_alu instid0(VALU_DEP_2) | instskip(NEXT) | instid1(VALU_DEP_2)
	v_add_nc_u32_e32 v10, 6, v11
	v_add_co_u32 v8, vcc_lo, v4, v8
	v_add_co_ci_u32_e32 v9, vcc_lo, 0, v9, vcc_lo
                                        ; implicit-def: $vgpr4
	s_delay_alu instid0(VALU_DEP_3)
	v_cmpx_ne_u32_e32 0, v10
	s_xor_b32 s0, exec_lo, s0
; %bb.34:                               ;   in Loop: Header=BB69_10 Depth=1
	s_delay_alu instid0(VALU_DEP_2) | instskip(SKIP_1) | instid1(VALU_DEP_1)
	v_cmp_lt_u64_e32 vcc_lo, 0xffffff, v[8:9]
	v_add_nc_u32_e32 v4, 7, v11
	v_cndmask_b32_e32 v4, v10, v4, vcc_lo
	v_cndmask_b32_e64 v10, 0, 1, vcc_lo
	s_delay_alu instid0(VALU_DEP_1)
	v_lshrrev_b64 v[8:9], v10, v[8:9]
; %bb.35:                               ;   in Loop: Header=BB69_10 Depth=1
	s_and_not1_saveexec_b32 s0, s0
; %bb.36:                               ;   in Loop: Header=BB69_10 Depth=1
	s_delay_alu instid0(VALU_DEP_1)
	v_bfe_u32 v4, v8, 23, 1
; %bb.37:                               ;   in Loop: Header=BB69_10 Depth=1
	s_or_b32 exec_lo, exec_lo, s0
	s_delay_alu instid0(VALU_DEP_2) | instskip(NEXT) | instid1(VALU_DEP_2)
	v_lshrrev_b64 v[8:9], 20, v[8:9]
	v_cmp_gt_i32_e32 vcc_lo, 16, v4
	v_cmp_ne_u32_e64 s0, 0, v4
	s_delay_alu instid0(VALU_DEP_3) | instskip(NEXT) | instid1(VALU_DEP_1)
	v_dual_cndmask_b32 v9, 0, v9 :: v_dual_cndmask_b32 v8, 7, v8
	v_cmp_ne_u64_e32 vcc_lo, 0, v[8:9]
                                        ; implicit-def: $vgpr9
	s_delay_alu instid0(VALU_DEP_3) | instskip(NEXT) | instid1(SALU_CYCLE_1)
	s_or_b32 s0, s0, vcc_lo
	s_and_saveexec_b32 s36, s0
	s_delay_alu instid0(SALU_CYCLE_1)
	s_xor_b32 s0, exec_lo, s36
; %bb.38:                               ;   in Loop: Header=BB69_10 Depth=1
	v_min_i32_e32 v4, 15, v4
	s_delay_alu instid0(VALU_DEP_1) | instskip(NEXT) | instid1(VALU_DEP_1)
	v_lshl_or_b32 v4, v4, 3, v20
                                        ; implicit-def: $vgpr20
	v_and_or_b32 v9, v8, 7, v4
; %bb.39:                               ;   in Loop: Header=BB69_10 Depth=1
	s_and_not1_saveexec_b32 s0, s0
; %bb.40:                               ;   in Loop: Header=BB69_10 Depth=1
	v_mov_b32_e32 v9, v20
; %bb.41:                               ;   in Loop: Header=BB69_10 Depth=1
	s_or_b32 exec_lo, exec_lo, s0
.LBB69_42:                              ;   in Loop: Header=BB69_10 Depth=1
	s_delay_alu instid0(SALU_CYCLE_1)
	s_or_b32 exec_lo, exec_lo, s31
.LBB69_43:                              ;   in Loop: Header=BB69_10 Depth=1
	s_and_not1_saveexec_b32 s0, s27
	s_delay_alu instid0(SALU_CYCLE_1)
	s_or_b32 exec_lo, exec_lo, s0
                                        ; implicit-def: $vgpr11
.LBB69_44:                              ;   in Loop: Header=BB69_10 Depth=1
	s_and_not1_saveexec_b32 s0, s21
	s_cbranch_execz .LBB69_9
; %bb.45:                               ;   in Loop: Header=BB69_10 Depth=1
	v_cmp_eq_u64_e32 vcc_lo, 0, v[4:5]
	v_or_b32_e32 v8, 0x7f, v11
	s_delay_alu instid0(VALU_DEP_1)
	v_cndmask_b32_e32 v9, v8, v9, vcc_lo
	s_branch .LBB69_9
.LBB69_46:
	s_or_b32 exec_lo, exec_lo, s35
	s_delay_alu instid0(SALU_CYCLE_1)
	s_mov_b32 s0, exec_lo
	v_cmpx_gt_i32_e64 s6, v1
	s_cbranch_execz .LBB69_67
; %bb.47:
	s_mul_i32 s1, s16, s11
	s_mul_hi_u32 s8, s16, s10
	s_mul_i32 s0, s16, s10
	s_add_i32 s1, s8, s1
	v_mov_b32_e32 v4, 0
	s_lshl_b64 s[8:9], s[0:1], 1
	s_load_b32 s0, s[2:3], 0x8c
	s_waitcnt lgkmcnt(0)
	s_load_b32 s3, s[24:25], 0x0
	s_add_u32 s1, s14, s8
	s_addc_u32 s2, s15, s9
	s_ashr_i32 s4, s4, 31
	s_delay_alu instid0(SALU_CYCLE_1) | instskip(NEXT) | instid1(SALU_CYCLE_1)
	s_mul_i32 s4, s22, s4
	s_add_i32 s4, s29, s4
	s_delay_alu instid0(SALU_CYCLE_1) | instskip(SKIP_3) | instid1(SALU_CYCLE_1)
	s_add_i32 s4, s4, s33
	s_add_u32 s8, s18, s34
	s_addc_u32 s9, s19, s4
	s_ashr_i32 s4, s5, 31
	s_mul_i32 s7, s7, s4
	s_delay_alu instid0(SALU_CYCLE_1) | instskip(NEXT) | instid1(SALU_CYCLE_1)
	s_add_i32 s4, s28, s7
	s_add_i32 s5, s4, s17
	s_add_u32 s4, s8, s23
	s_addc_u32 s5, s9, s5
	s_and_b32 s7, s0, 0xffff
	s_mov_b32 s8, 0
	s_branch .LBB69_49
.LBB69_48:                              ;   in Loop: Header=BB69_49 Depth=1
	s_or_b32 exec_lo, exec_lo, s0
	v_add_co_u32 v7, vcc_lo, s4, v1
	v_add_nc_u32_e32 v1, s7, v1
	v_add_co_ci_u32_e32 v8, vcc_lo, s5, v2, vcc_lo
	s_delay_alu instid0(VALU_DEP_2) | instskip(SKIP_2) | instid1(SALU_CYCLE_1)
	v_cmp_le_i32_e32 vcc_lo, s6, v1
	global_store_b8 v[7:8], v6, off
	s_or_b32 s8, vcc_lo, s8
	s_and_not1_b32 exec_lo, exec_lo, s8
	s_cbranch_execz .LBB69_67
.LBB69_49:                              ; =>This Inner Loop Header: Depth=1
	v_ashrrev_i32_e32 v2, 31, v1
	s_mov_b32 s0, exec_lo
	v_mov_b32_e32 v9, v4
	s_delay_alu instid0(VALU_DEP_2) | instskip(NEXT) | instid1(VALU_DEP_1)
	v_lshlrev_b64 v[5:6], 1, v[1:2]
	v_add_co_u32 v5, vcc_lo, s1, v5
	s_delay_alu instid0(VALU_DEP_2) | instskip(SKIP_3) | instid1(VALU_DEP_1)
	v_add_co_ci_u32_e32 v6, vcc_lo, s2, v6, vcc_lo
	global_load_b32 v0, v[5:6], off
	s_waitcnt vmcnt(0) lgkmcnt(0)
	v_div_scale_f32 v3, null, s3, s3, v0
	v_rcp_f32_e32 v5, v3
	s_waitcnt_depctr 0xfff
	v_fma_f32 v6, -v3, v5, 1.0
	s_delay_alu instid0(VALU_DEP_1) | instskip(SKIP_1) | instid1(VALU_DEP_1)
	v_fmac_f32_e32 v5, v6, v5
	v_div_scale_f32 v6, vcc_lo, v0, s3, v0
	v_mul_f32_e32 v7, v6, v5
	s_delay_alu instid0(VALU_DEP_1) | instskip(NEXT) | instid1(VALU_DEP_1)
	v_fma_f32 v8, -v3, v7, v6
	v_fmac_f32_e32 v7, v8, v5
	s_delay_alu instid0(VALU_DEP_1) | instskip(NEXT) | instid1(VALU_DEP_1)
	v_fma_f32 v3, -v3, v7, v6
	v_div_fmas_f32 v3, v3, v5, v7
	s_delay_alu instid0(VALU_DEP_1) | instskip(NEXT) | instid1(VALU_DEP_1)
	v_div_fixup_f32 v5, v3, s3, v0
	v_lshrrev_b32_e32 v7, 24, v5
	v_and_b32_e32 v8, 0x7f800000, v5
	v_and_b32_e32 v3, 0x7fffff, v5
	s_delay_alu instid0(VALU_DEP_3) | instskip(NEXT) | instid1(VALU_DEP_1)
	v_and_b32_e32 v0, 0x80, v7
	v_or_b32_e32 v6, 0x7e, v0
	s_delay_alu instid0(VALU_DEP_4)
	v_cmpx_ne_u64_e32 0x7f800000, v[8:9]
	s_xor_b32 s9, exec_lo, s0
	s_cbranch_execz .LBB69_65
; %bb.50:                               ;   in Loop: Header=BB69_49 Depth=1
	v_dual_mov_b32 v8, v4 :: v_dual_and_b32 v7, 0x7fffffff, v5
	s_mov_b32 s0, exec_lo
	s_delay_alu instid0(VALU_DEP_1)
	v_cmpx_gt_u64_e32 0x43e00001, v[7:8]
	s_xor_b32 s10, exec_lo, s0
	s_cbranch_execz .LBB69_64
; %bb.51:                               ;   in Loop: Header=BB69_49 Depth=1
	v_mov_b32_e32 v6, 0
	s_mov_b32 s11, exec_lo
	v_cmpx_ne_u32_e32 0, v5
	s_cbranch_execz .LBB69_63
; %bb.52:                               ;   in Loop: Header=BB69_49 Depth=1
	v_bfe_u32 v9, v5, 23, 8
	v_or_b32_e32 v7, 0x800000, v3
	s_delay_alu instid0(VALU_DEP_2) | instskip(SKIP_1) | instid1(VALU_DEP_2)
	v_sub_nc_u32_e32 v5, 0x79, v9
	v_cmp_gt_u32_e32 vcc_lo, 0x7a, v9
	v_cndmask_b32_e32 v5, 0, v5, vcc_lo
	v_cmp_eq_u32_e32 vcc_lo, 0, v9
	s_delay_alu instid0(VALU_DEP_2) | instskip(SKIP_1) | instid1(VALU_DEP_2)
	v_cndmask_b32_e64 v10, v5, 0x78, vcc_lo
	v_cndmask_b32_e32 v3, v7, v3, vcc_lo
	v_add_nc_u32_e32 v5, 20, v10
	v_add_nc_u32_e32 v7, 19, v10
	s_delay_alu instid0(VALU_DEP_2) | instskip(NEXT) | instid1(VALU_DEP_2)
	v_lshlrev_b64 v[5:6], v5, -1
	v_lshlrev_b64 v[7:8], v7, 1
	s_delay_alu instid0(VALU_DEP_2) | instskip(NEXT) | instid1(VALU_DEP_3)
	v_not_b32_e32 v6, v6
	v_not_b32_e32 v5, v5
	s_delay_alu instid0(VALU_DEP_2) | instskip(NEXT) | instid1(VALU_DEP_2)
	v_and_b32_e32 v12, 0, v6
	v_and_b32_e32 v11, v3, v5
	v_lshrrev_b64 v[5:6], v10, v[3:4]
	s_delay_alu instid0(VALU_DEP_2) | instskip(NEXT) | instid1(VALU_DEP_2)
	v_cmp_eq_u64_e64 s0, v[11:12], v[7:8]
	v_dual_mov_b32 v8, v6 :: v_dual_mov_b32 v7, v5
	s_delay_alu instid0(VALU_DEP_2)
	s_and_saveexec_b32 s12, s0
; %bb.53:                               ;   in Loop: Header=BB69_49 Depth=1
	v_bfe_u32 v3, v5, 20, 1
	s_delay_alu instid0(VALU_DEP_1) | instskip(NEXT) | instid1(VALU_DEP_1)
	v_add_co_u32 v3, s0, v5, v3
	v_add_co_u32 v7, s0, v3, -1
; %bb.54:                               ;   in Loop: Header=BB69_49 Depth=1
	s_or_b32 exec_lo, exec_lo, s12
	v_add_nc_u32_e32 v3, 0xffffff81, v9
	v_lshrrev_b32_e32 v8, 23, v5
	s_mov_b32 s0, exec_lo
	s_delay_alu instid0(VALU_DEP_2) | instskip(NEXT) | instid1(VALU_DEP_1)
	v_cndmask_b32_e64 v3, v3, 0xffffff82, vcc_lo
	v_add3_u32 v8, v10, v3, v8
	v_and_b32_e32 v3, 0xfffff, v7
	s_delay_alu instid0(VALU_DEP_2) | instskip(NEXT) | instid1(VALU_DEP_2)
	v_add_nc_u32_e32 v7, 6, v8
	v_add_co_u32 v5, vcc_lo, v3, v5
	v_add_co_ci_u32_e32 v6, vcc_lo, 0, v6, vcc_lo
                                        ; implicit-def: $vgpr3
	s_delay_alu instid0(VALU_DEP_3)
	v_cmpx_ne_u32_e32 0, v7
	s_xor_b32 s0, exec_lo, s0
; %bb.55:                               ;   in Loop: Header=BB69_49 Depth=1
	s_delay_alu instid0(VALU_DEP_2) | instskip(SKIP_1) | instid1(VALU_DEP_1)
	v_cmp_lt_u64_e32 vcc_lo, 0xffffff, v[5:6]
	v_add_nc_u32_e32 v3, 7, v8
	v_cndmask_b32_e32 v3, v7, v3, vcc_lo
	v_cndmask_b32_e64 v7, 0, 1, vcc_lo
	s_delay_alu instid0(VALU_DEP_1)
	v_lshrrev_b64 v[5:6], v7, v[5:6]
; %bb.56:                               ;   in Loop: Header=BB69_49 Depth=1
	s_and_not1_saveexec_b32 s0, s0
; %bb.57:                               ;   in Loop: Header=BB69_49 Depth=1
	s_delay_alu instid0(VALU_DEP_1)
	v_bfe_u32 v3, v5, 23, 1
; %bb.58:                               ;   in Loop: Header=BB69_49 Depth=1
	s_or_b32 exec_lo, exec_lo, s0
	s_delay_alu instid0(VALU_DEP_2) | instskip(NEXT) | instid1(VALU_DEP_2)
	v_lshrrev_b64 v[5:6], 20, v[5:6]
	v_cmp_gt_i32_e32 vcc_lo, 16, v3
	v_cmp_ne_u32_e64 s0, 0, v3
	s_delay_alu instid0(VALU_DEP_3) | instskip(NEXT) | instid1(VALU_DEP_1)
	v_dual_cndmask_b32 v6, 0, v6 :: v_dual_cndmask_b32 v5, 7, v5
	v_cmp_ne_u64_e32 vcc_lo, 0, v[5:6]
                                        ; implicit-def: $vgpr6
	s_delay_alu instid0(VALU_DEP_3) | instskip(NEXT) | instid1(SALU_CYCLE_1)
	s_or_b32 s0, s0, vcc_lo
	s_and_saveexec_b32 s12, s0
	s_delay_alu instid0(SALU_CYCLE_1)
	s_xor_b32 s0, exec_lo, s12
; %bb.59:                               ;   in Loop: Header=BB69_49 Depth=1
	v_min_i32_e32 v3, 15, v3
	s_delay_alu instid0(VALU_DEP_1) | instskip(NEXT) | instid1(VALU_DEP_1)
	v_lshl_or_b32 v0, v3, 3, v0
	v_and_or_b32 v6, v5, 7, v0
                                        ; implicit-def: $vgpr0
; %bb.60:                               ;   in Loop: Header=BB69_49 Depth=1
	s_and_not1_saveexec_b32 s0, s0
; %bb.61:                               ;   in Loop: Header=BB69_49 Depth=1
	v_mov_b32_e32 v6, v0
; %bb.62:                               ;   in Loop: Header=BB69_49 Depth=1
	s_or_b32 exec_lo, exec_lo, s0
.LBB69_63:                              ;   in Loop: Header=BB69_49 Depth=1
	s_delay_alu instid0(SALU_CYCLE_1)
	s_or_b32 exec_lo, exec_lo, s11
.LBB69_64:                              ;   in Loop: Header=BB69_49 Depth=1
	s_and_not1_saveexec_b32 s0, s10
	s_delay_alu instid0(SALU_CYCLE_1)
	s_or_b32 exec_lo, exec_lo, s0
                                        ; implicit-def: $vgpr7
.LBB69_65:                              ;   in Loop: Header=BB69_49 Depth=1
	s_and_not1_saveexec_b32 s0, s9
	s_cbranch_execz .LBB69_48
; %bb.66:                               ;   in Loop: Header=BB69_49 Depth=1
	v_cmp_eq_u64_e32 vcc_lo, 0, v[3:4]
	v_or_b32_e32 v0, 0x7f, v7
	s_delay_alu instid0(VALU_DEP_1)
	v_cndmask_b32_e32 v6, v0, v6, vcc_lo
	s_branch .LBB69_48
.LBB69_67:
	s_nop 0
	s_sendmsg sendmsg(MSG_DEALLOC_VGPRS)
	s_endpgm
.LBB69_68:
                                        ; implicit-def: $sgpr22_sgpr23
	s_branch .LBB69_6
	.section	.rodata,"a",@progbits
	.p2align	6, 0x0
	.amdhsa_kernel _ZN4vllm38concat_and_cache_mla_rope_fused_kernelIN3c108BFloat16ENS1_4HalfELb0EfhLNS_18Fp8KVCacheDataTypeE1EEEvPKlPT_S8_PKS7_PKT0_illlliPT3_S6_iiiiPKf
		.amdhsa_group_segment_fixed_size 4096
		.amdhsa_private_segment_fixed_size 0
		.amdhsa_kernarg_size 384
		.amdhsa_user_sgpr_count 15
		.amdhsa_user_sgpr_dispatch_ptr 1
		.amdhsa_user_sgpr_queue_ptr 0
		.amdhsa_user_sgpr_kernarg_segment_ptr 1
		.amdhsa_user_sgpr_dispatch_id 0
		.amdhsa_user_sgpr_private_segment_size 0
		.amdhsa_wavefront_size32 1
		.amdhsa_uses_dynamic_stack 0
		.amdhsa_enable_private_segment 0
		.amdhsa_system_sgpr_workgroup_id_x 1
		.amdhsa_system_sgpr_workgroup_id_y 0
		.amdhsa_system_sgpr_workgroup_id_z 0
		.amdhsa_system_sgpr_workgroup_info 0
		.amdhsa_system_vgpr_workitem_id 2
		.amdhsa_next_free_vgpr 25
		.amdhsa_next_free_sgpr 45
		.amdhsa_reserve_vcc 1
		.amdhsa_float_round_mode_32 0
		.amdhsa_float_round_mode_16_64 0
		.amdhsa_float_denorm_mode_32 3
		.amdhsa_float_denorm_mode_16_64 3
		.amdhsa_dx10_clamp 1
		.amdhsa_ieee_mode 1
		.amdhsa_fp16_overflow 0
		.amdhsa_workgroup_processor_mode 1
		.amdhsa_memory_ordered 1
		.amdhsa_forward_progress 0
		.amdhsa_shared_vgpr_count 0
		.amdhsa_exception_fp_ieee_invalid_op 0
		.amdhsa_exception_fp_denorm_src 0
		.amdhsa_exception_fp_ieee_div_zero 0
		.amdhsa_exception_fp_ieee_overflow 0
		.amdhsa_exception_fp_ieee_underflow 0
		.amdhsa_exception_fp_ieee_inexact 0
		.amdhsa_exception_int_div_zero 0
	.end_amdhsa_kernel
	.section	.text._ZN4vllm38concat_and_cache_mla_rope_fused_kernelIN3c108BFloat16ENS1_4HalfELb0EfhLNS_18Fp8KVCacheDataTypeE1EEEvPKlPT_S8_PKS7_PKT0_illlliPT3_S6_iiiiPKf,"axG",@progbits,_ZN4vllm38concat_and_cache_mla_rope_fused_kernelIN3c108BFloat16ENS1_4HalfELb0EfhLNS_18Fp8KVCacheDataTypeE1EEEvPKlPT_S8_PKS7_PKT0_illlliPT3_S6_iiiiPKf,comdat
.Lfunc_end69:
	.size	_ZN4vllm38concat_and_cache_mla_rope_fused_kernelIN3c108BFloat16ENS1_4HalfELb0EfhLNS_18Fp8KVCacheDataTypeE1EEEvPKlPT_S8_PKS7_PKT0_illlliPT3_S6_iiiiPKf, .Lfunc_end69-_ZN4vllm38concat_and_cache_mla_rope_fused_kernelIN3c108BFloat16ENS1_4HalfELb0EfhLNS_18Fp8KVCacheDataTypeE1EEEvPKlPT_S8_PKS7_PKT0_illlliPT3_S6_iiiiPKf
                                        ; -- End function
	.section	.AMDGPU.csdata,"",@progbits
; Kernel info:
; codeLenInByte = 5276
; NumSgprs: 47
; NumVgprs: 25
; ScratchSize: 0
; MemoryBound: 0
; FloatMode: 240
; IeeeMode: 1
; LDSByteSize: 4096 bytes/workgroup (compile time only)
; SGPRBlocks: 5
; VGPRBlocks: 3
; NumSGPRsForWavesPerEU: 47
; NumVGPRsForWavesPerEU: 25
; Occupancy: 16
; WaveLimiterHint : 1
; COMPUTE_PGM_RSRC2:SCRATCH_EN: 0
; COMPUTE_PGM_RSRC2:USER_SGPR: 15
; COMPUTE_PGM_RSRC2:TRAP_HANDLER: 0
; COMPUTE_PGM_RSRC2:TGID_X_EN: 1
; COMPUTE_PGM_RSRC2:TGID_Y_EN: 0
; COMPUTE_PGM_RSRC2:TGID_Z_EN: 0
; COMPUTE_PGM_RSRC2:TIDIG_COMP_CNT: 2
	.section	.text._ZN4vllm38concat_and_cache_mla_rope_fused_kernelIN3c108BFloat16ES2_Lb1EfhLNS_18Fp8KVCacheDataTypeE1EEEvPKlPT_S7_PKS6_PKT0_illlliPT3_S5_iiiiPKf,"axG",@progbits,_ZN4vllm38concat_and_cache_mla_rope_fused_kernelIN3c108BFloat16ES2_Lb1EfhLNS_18Fp8KVCacheDataTypeE1EEEvPKlPT_S7_PKS6_PKT0_illlliPT3_S5_iiiiPKf,comdat
	.protected	_ZN4vllm38concat_and_cache_mla_rope_fused_kernelIN3c108BFloat16ES2_Lb1EfhLNS_18Fp8KVCacheDataTypeE1EEEvPKlPT_S7_PKS6_PKT0_illlliPT3_S5_iiiiPKf ; -- Begin function _ZN4vllm38concat_and_cache_mla_rope_fused_kernelIN3c108BFloat16ES2_Lb1EfhLNS_18Fp8KVCacheDataTypeE1EEEvPKlPT_S7_PKS6_PKT0_illlliPT3_S5_iiiiPKf
	.globl	_ZN4vllm38concat_and_cache_mla_rope_fused_kernelIN3c108BFloat16ES2_Lb1EfhLNS_18Fp8KVCacheDataTypeE1EEEvPKlPT_S7_PKS6_PKT0_illlliPT3_S5_iiiiPKf
	.p2align	8
	.type	_ZN4vllm38concat_and_cache_mla_rope_fused_kernelIN3c108BFloat16ES2_Lb1EfhLNS_18Fp8KVCacheDataTypeE1EEEvPKlPT_S7_PKS6_PKT0_illlliPT3_S5_iiiiPKf,@function
_ZN4vllm38concat_and_cache_mla_rope_fused_kernelIN3c108BFloat16ES2_Lb1EfhLNS_18Fp8KVCacheDataTypeE1EEEvPKlPT_S7_PKS6_PKT0_illlliPT3_S5_iiiiPKf: ; @_ZN4vllm38concat_and_cache_mla_rope_fused_kernelIN3c108BFloat16ES2_Lb1EfhLNS_18Fp8KVCacheDataTypeE1EEEvPKlPT_S7_PKS6_PKT0_illlliPT3_S5_iiiiPKf
; %bb.0:
	s_load_b64 s[6:7], s[2:3], 0x60
	s_mov_b32 s16, s15
	s_mov_b32 s17, 0
	s_delay_alu instid0(SALU_CYCLE_1)
	s_lshl_b64 s[4:5], s[16:17], 3
	s_waitcnt lgkmcnt(0)
	s_add_u32 s6, s6, s4
	s_addc_u32 s7, s7, s5
	s_load_b64 s[30:31], s[6:7], 0x0
	s_waitcnt lgkmcnt(0)
	v_cmp_lt_i64_e64 s6, s[30:31], 0
	s_delay_alu instid0(VALU_DEP_1)
	s_and_b32 vcc_lo, exec_lo, s6
	s_cbranch_vccnz .LBB70_67
; %bb.1:
	s_clause 0x2
	s_load_b32 s22, s[2:3], 0x28
	s_load_b64 s[6:7], s[2:3], 0x0
	s_load_b128 s[12:15], s[2:3], 0x10
	v_and_b32_e32 v1, 0x3ff, v0
	s_mov_b32 s25, exec_lo
	s_waitcnt lgkmcnt(0)
	s_ashr_i32 s17, s22, 31
	s_add_u32 s4, s6, s4
	s_addc_u32 s5, s7, s5
	s_load_b64 s[20:21], s[4:5], 0x0
	s_clause 0x3
	s_load_b64 s[26:27], s[2:3], 0x20
	s_load_b32 s23, s[2:3], 0x50
	s_load_b64 s[18:19], s[2:3], 0x58
	s_load_b256 s[4:11], s[2:3], 0x30
	s_waitcnt lgkmcnt(0)
	s_mul_i32 s17, s20, s17
	s_mul_hi_u32 s24, s20, s22
	s_mul_i32 s21, s21, s22
	s_add_i32 s17, s24, s17
	s_mul_i32 s20, s20, s22
	s_add_i32 s21, s17, s21
	s_delay_alu instid0(SALU_CYCLE_1) | instskip(NEXT) | instid1(SALU_CYCLE_1)
	s_lshl_b64 s[28:29], s[20:21], 1
	s_add_u32 s17, s26, s28
	s_addc_u32 s33, s27, s29
	s_lshr_b32 s20, s22, 31
	s_delay_alu instid0(SALU_CYCLE_1) | instskip(NEXT) | instid1(SALU_CYCLE_1)
	s_add_i32 s22, s22, s20
	s_ashr_i32 s20, s22, 1
	s_delay_alu instid0(SALU_CYCLE_1) | instskip(NEXT) | instid1(SALU_CYCLE_1)
	s_mul_i32 s24, s20, s23
	v_cmpx_gt_i32_e64 s24, v1
	s_cbranch_execz .LBB70_4
; %bb.2:
	s_clause 0x1
	s_load_b64 s[22:23], s[2:3], 0x8
	s_load_b32 s37, s[2:3], 0x8c
	s_mul_i32 s5, s16, s5
	s_mul_hi_u32 s21, s16, s4
	s_mul_i32 s4, s16, s4
	s_add_i32 s5, s21, s5
	s_ashr_i32 s21, s20, 31
	s_lshl_b64 s[4:5], s[4:5], 1
	s_mov_b32 s38, 0
	s_waitcnt lgkmcnt(0)
	s_add_u32 s34, s22, s4
	s_addc_u32 s35, s23, s5
	s_abs_i32 s36, s20
	s_and_b32 s37, s37, 0xffff
	v_cvt_f32_u32_e32 v2, s36
	s_sub_i32 s4, 0, s36
	s_sub_i32 s39, 0, s20
	s_lshl_b64 s[22:23], s[20:21], 1
	s_delay_alu instid0(VALU_DEP_1) | instskip(SKIP_2) | instid1(VALU_DEP_1)
	v_rcp_iflag_f32_e32 v2, v2
	s_waitcnt_depctr 0xfff
	v_mul_f32_e32 v2, 0x4f7ffffe, v2
	v_cvt_u32_f32_e32 v2, v2
	s_delay_alu instid0(VALU_DEP_1) | instskip(NEXT) | instid1(VALU_DEP_1)
	v_mul_lo_u32 v3, s4, v2
	v_mul_hi_u32 v3, v2, v3
	s_delay_alu instid0(VALU_DEP_1)
	v_dual_mov_b32 v2, v1 :: v_dual_add_nc_u32 v3, v2, v3
.LBB70_3:                               ; =>This Inner Loop Header: Depth=1
	s_delay_alu instid0(VALU_DEP_1) | instskip(SKIP_1) | instid1(VALU_DEP_2)
	v_sub_nc_u32_e32 v4, 0, v2
	v_ashrrev_i32_e32 v5, 31, v2
	v_max_i32_e32 v4, v2, v4
	s_delay_alu instid0(VALU_DEP_2) | instskip(NEXT) | instid1(VALU_DEP_2)
	v_xor_b32_e32 v5, s21, v5
	v_mul_hi_u32 v6, v4, v3
	s_delay_alu instid0(VALU_DEP_1) | instskip(SKIP_1) | instid1(VALU_DEP_2)
	v_mul_lo_u32 v7, v6, s36
	v_add_nc_u32_e32 v8, 1, v6
	v_sub_nc_u32_e32 v4, v4, v7
	s_delay_alu instid0(VALU_DEP_1) | instskip(SKIP_1) | instid1(VALU_DEP_4)
	v_subrev_nc_u32_e32 v7, s36, v4
	v_cmp_le_u32_e32 vcc_lo, s36, v4
	v_cndmask_b32_e32 v6, v6, v8, vcc_lo
	s_delay_alu instid0(VALU_DEP_1) | instskip(NEXT) | instid1(VALU_DEP_1)
	v_dual_cndmask_b32 v4, v4, v7 :: v_dual_add_nc_u32 v7, 1, v6
	v_cmp_le_u32_e32 vcc_lo, s36, v4
	s_delay_alu instid0(VALU_DEP_2) | instskip(NEXT) | instid1(VALU_DEP_1)
	v_cndmask_b32_e32 v4, v6, v7, vcc_lo
	v_xor_b32_e32 v4, v4, v5
	s_delay_alu instid0(VALU_DEP_1) | instskip(NEXT) | instid1(VALU_DEP_1)
	v_sub_nc_u32_e32 v8, v4, v5
	v_mad_u64_u32 v[4:5], null, s39, v8, v[2:3]
	v_ashrrev_i32_e32 v9, 31, v8
	v_mul_lo_u32 v10, v8, s7
	v_mad_u64_u32 v[6:7], null, v8, s6, 0
	v_add_nc_u32_e32 v2, s37, v2
	s_delay_alu instid0(VALU_DEP_4) | instskip(SKIP_1) | instid1(VALU_DEP_1)
	v_mul_lo_u32 v8, v9, s6
	v_ashrrev_i32_e32 v5, 31, v4
	v_lshlrev_b64 v[4:5], 1, v[4:5]
	s_delay_alu instid0(VALU_DEP_3) | instskip(NEXT) | instid1(VALU_DEP_2)
	v_add3_u32 v7, v7, v10, v8
	v_add_co_u32 v8, vcc_lo, s17, v4
	s_delay_alu instid0(VALU_DEP_2) | instskip(NEXT) | instid1(VALU_DEP_4)
	v_lshlrev_b64 v[6:7], 1, v[6:7]
	v_add_co_ci_u32_e32 v9, vcc_lo, s33, v5, vcc_lo
	s_delay_alu instid0(VALU_DEP_3) | instskip(NEXT) | instid1(VALU_DEP_2)
	v_add_co_u32 v10, vcc_lo, v8, s22
	v_add_co_ci_u32_e32 v11, vcc_lo, s23, v9, vcc_lo
	s_delay_alu instid0(VALU_DEP_4)
	v_add_co_u32 v6, vcc_lo, s34, v6
	v_add_co_ci_u32_e32 v7, vcc_lo, s35, v7, vcc_lo
	global_load_u16 v8, v[8:9], off
	v_add_co_u32 v4, vcc_lo, v6, v4
	v_add_co_ci_u32_e32 v5, vcc_lo, v7, v5, vcc_lo
	global_load_u16 v9, v[10:11], off
	v_add_co_u32 v6, vcc_lo, v4, s22
	v_add_co_ci_u32_e32 v7, vcc_lo, s23, v5, vcc_lo
	s_clause 0x1
	global_load_u16 v10, v[4:5], off
	global_load_u16 v11, v[6:7], off
	s_waitcnt vmcnt(3)
	v_lshlrev_b32_e32 v8, 16, v8
	s_waitcnt vmcnt(2)
	v_lshlrev_b32_e32 v9, 16, v9
	;; [unrolled: 2-line block ×3, first 2 shown]
	s_waitcnt vmcnt(0)
	s_delay_alu instid0(VALU_DEP_1) | instskip(SKIP_1) | instid1(VALU_DEP_2)
	v_dual_mul_f32 v12, v8, v10 :: v_dual_lshlrev_b32 v11, 16, v11
	v_mul_f32_e32 v10, v9, v10
	v_mul_f32_e32 v9, v9, v11
	;; [unrolled: 1-line block ×3, first 2 shown]
	s_delay_alu instid0(VALU_DEP_4) | instskip(NEXT) | instid1(VALU_DEP_4)
	v_bfe_u32 v13, v12, 16, 1
	v_bfe_u32 v11, v10, 16, 1
	s_delay_alu instid0(VALU_DEP_4) | instskip(NEXT) | instid1(VALU_DEP_4)
	v_bfe_u32 v14, v9, 16, 1
	v_bfe_u32 v15, v8, 16, 1
	v_cmp_o_f32_e64 s4, v12, v12
	v_add3_u32 v13, v12, v13, 0x7fff
	v_add3_u32 v11, v10, v11, 0x7fff
	;; [unrolled: 1-line block ×4, first 2 shown]
	s_delay_alu instid0(VALU_DEP_4) | instskip(NEXT) | instid1(VALU_DEP_4)
	v_and_b32_e32 v13, 0xffff0000, v13
	v_and_b32_e32 v11, 0xffff0000, v11
	v_cmp_o_f32_e32 vcc_lo, v10, v10
	v_and_b32_e32 v10, 0xffff0000, v14
	s_delay_alu instid0(VALU_DEP_4) | instskip(SKIP_3) | instid1(VALU_DEP_3)
	v_cndmask_b32_e64 v12, 0x7fc00000, v13, s4
	v_cmp_o_f32_e64 s4, v9, v9
	v_cndmask_b32_e32 v11, 0x7fc00000, v11, vcc_lo
	v_cmp_o_f32_e32 vcc_lo, v8, v8
	v_cndmask_b32_e64 v8, 0x7fc00000, v10, s4
	s_delay_alu instid0(VALU_DEP_1) | instskip(NEXT) | instid1(VALU_DEP_1)
	v_dual_sub_f32 v8, v12, v8 :: v_dual_and_b32 v13, 0xffff0000, v15
	v_cndmask_b32_e32 v9, 0x7fc00000, v13, vcc_lo
	v_cmp_le_i32_e32 vcc_lo, s24, v2
	s_delay_alu instid0(VALU_DEP_3) | instskip(NEXT) | instid1(VALU_DEP_3)
	v_bfe_u32 v10, v8, 16, 1
	v_add_f32_e32 v9, v11, v9
	v_cmp_o_f32_e64 s5, v8, v8
	s_or_b32 s38, vcc_lo, s38
	s_delay_alu instid0(VALU_DEP_3) | instskip(NEXT) | instid1(VALU_DEP_3)
	v_add3_u32 v10, v8, v10, 0x7fff
	v_bfe_u32 v11, v9, 16, 1
	v_cmp_o_f32_e64 s4, v9, v9
	s_delay_alu instid0(VALU_DEP_3) | instskip(NEXT) | instid1(VALU_DEP_3)
	v_lshrrev_b32_e32 v10, 16, v10
	v_add3_u32 v11, v9, v11, 0x7fff
	s_delay_alu instid0(VALU_DEP_2) | instskip(NEXT) | instid1(VALU_DEP_2)
	v_cndmask_b32_e64 v8, 0x7fc0, v10, s5
	v_lshrrev_b32_e32 v11, 16, v11
	s_delay_alu instid0(VALU_DEP_1)
	v_cndmask_b32_e64 v9, 0x7fc0, v11, s4
	s_clause 0x1
	global_store_b16 v[4:5], v8, off
	global_store_b16 v[6:7], v9, off
	s_and_not1_b32 exec_lo, exec_lo, s38
	s_cbranch_execnz .LBB70_3
.LBB70_4:
	s_or_b32 exec_lo, exec_lo, s25
	s_load_b128 s[4:7], s[2:3], 0x68
	s_waitcnt lgkmcnt(0)
	s_ashr_i32 s35, s7, 31
	s_mov_b32 s34, s7
	s_delay_alu instid0(SALU_CYCLE_1) | instskip(SKIP_1) | instid1(SALU_CYCLE_1)
	s_or_b64 s[24:25], s[30:31], s[34:35]
	s_mov_b32 s24, 0
	s_cmp_lg_u64 s[24:25], 0
	s_cbranch_scc0 .LBB70_68
; %bb.5:
	s_add_u32 s36, s34, s35
	s_mov_b32 s22, s35
	s_mov_b32 s23, s35
	s_addc_u32 s37, s35, s35
	s_delay_alu instid0(SALU_CYCLE_1) | instskip(NEXT) | instid1(SALU_CYCLE_1)
	s_xor_b64 s[36:37], s[36:37], s[22:23]
	v_cvt_f32_u32_e32 v2, s36
	v_cvt_f32_u32_e32 v3, s37
	s_sub_u32 s25, 0, s36
	s_subb_u32 s38, 0, s37
	s_delay_alu instid0(VALU_DEP_1) | instskip(NEXT) | instid1(VALU_DEP_1)
	v_fmamk_f32 v2, v3, 0x4f800000, v2
	v_rcp_f32_e32 v2, v2
	s_waitcnt_depctr 0xfff
	v_mul_f32_e32 v2, 0x5f7ffffc, v2
	s_delay_alu instid0(VALU_DEP_1) | instskip(NEXT) | instid1(VALU_DEP_1)
	v_mul_f32_e32 v3, 0x2f800000, v2
	v_trunc_f32_e32 v3, v3
	s_delay_alu instid0(VALU_DEP_1) | instskip(SKIP_1) | instid1(VALU_DEP_2)
	v_fmamk_f32 v2, v3, 0xcf800000, v2
	v_cvt_u32_f32_e32 v3, v3
	v_cvt_u32_f32_e32 v2, v2
	s_delay_alu instid0(VALU_DEP_2) | instskip(NEXT) | instid1(VALU_DEP_2)
	v_readfirstlane_b32 s7, v3
	v_readfirstlane_b32 s21, v2
	s_delay_alu instid0(VALU_DEP_2) | instskip(NEXT) | instid1(VALU_DEP_1)
	s_mul_i32 s39, s25, s7
	s_mul_hi_u32 s41, s25, s21
	s_mul_i32 s40, s38, s21
	s_add_i32 s39, s41, s39
	s_mul_i32 s42, s25, s21
	s_add_i32 s39, s39, s40
	s_mul_hi_u32 s41, s21, s42
	s_mul_hi_u32 s43, s7, s42
	s_mul_i32 s40, s7, s42
	s_mul_hi_u32 s42, s21, s39
	s_mul_i32 s21, s21, s39
	s_mul_hi_u32 s44, s7, s39
	s_add_u32 s21, s41, s21
	s_addc_u32 s41, 0, s42
	s_add_u32 s21, s21, s40
	s_mul_i32 s39, s7, s39
	s_addc_u32 s21, s41, s43
	s_addc_u32 s40, s44, 0
	s_add_u32 s21, s21, s39
	s_addc_u32 s39, 0, s40
	v_add_co_u32 v2, s21, v2, s21
	s_delay_alu instid0(VALU_DEP_1) | instskip(SKIP_1) | instid1(VALU_DEP_1)
	s_cmp_lg_u32 s21, 0
	s_addc_u32 s7, s7, s39
	v_readfirstlane_b32 s21, v2
	s_mul_i32 s39, s25, s7
	s_delay_alu instid0(VALU_DEP_1)
	s_mul_hi_u32 s40, s25, s21
	s_mul_i32 s38, s38, s21
	s_add_i32 s39, s40, s39
	s_mul_i32 s25, s25, s21
	s_add_i32 s39, s39, s38
	s_mul_hi_u32 s40, s7, s25
	s_mul_i32 s41, s7, s25
	s_mul_hi_u32 s25, s21, s25
	s_mul_hi_u32 s42, s21, s39
	s_mul_i32 s21, s21, s39
	s_mul_hi_u32 s38, s7, s39
	s_add_u32 s21, s25, s21
	s_addc_u32 s25, 0, s42
	s_add_u32 s21, s21, s41
	s_mul_i32 s39, s7, s39
	s_addc_u32 s21, s25, s40
	s_addc_u32 s25, s38, 0
	s_add_u32 s21, s21, s39
	s_addc_u32 s25, 0, s25
	v_add_co_u32 v2, s21, v2, s21
	s_delay_alu instid0(VALU_DEP_1) | instskip(SKIP_2) | instid1(VALU_DEP_1)
	s_cmp_lg_u32 s21, 0
	s_addc_u32 s7, s7, s25
	s_ashr_i32 s38, s31, 31
	v_readfirstlane_b32 s21, v2
	s_add_u32 s40, s30, s38
	s_mov_b32 s39, s38
	s_addc_u32 s41, s31, s38
	s_delay_alu instid0(SALU_CYCLE_1) | instskip(NEXT) | instid1(SALU_CYCLE_1)
	s_xor_b64 s[40:41], s[40:41], s[38:39]
	s_mul_i32 s42, s40, s7
	s_mul_hi_u32 s43, s40, s21
	s_mul_hi_u32 s25, s40, s7
	;; [unrolled: 1-line block ×3, first 2 shown]
	s_mul_i32 s21, s41, s21
	s_add_u32 s42, s43, s42
	s_addc_u32 s25, 0, s25
	s_mul_hi_u32 s44, s41, s7
	s_add_u32 s21, s42, s21
	s_mul_i32 s7, s41, s7
	s_addc_u32 s21, s25, s45
	s_addc_u32 s25, s44, 0
	s_add_u32 s7, s21, s7
	s_addc_u32 s21, 0, s25
	s_mul_i32 s44, s36, s7
	s_mul_hi_u32 s25, s36, s7
	s_mul_i32 s43, s36, s21
	v_sub_co_u32 v2, s40, s40, s44
	s_mul_i32 s42, s37, s7
	s_add_i32 s25, s25, s43
	s_delay_alu instid0(SALU_CYCLE_1) | instskip(NEXT) | instid1(VALU_DEP_1)
	s_add_i32 s25, s25, s42
	v_sub_co_u32 v3, s43, v2, s36
	s_sub_i32 s42, s41, s25
	s_cmp_lg_u32 s40, 0
	s_subb_u32 s42, s42, s37
	s_cmp_lg_u32 s43, 0
	v_readfirstlane_b32 s43, v3
	s_subb_u32 s42, s42, 0
	s_delay_alu instid0(SALU_CYCLE_1) | instskip(SKIP_1) | instid1(VALU_DEP_1)
	s_cmp_ge_u32 s42, s37
	s_cselect_b32 s44, -1, 0
	s_cmp_ge_u32 s43, s36
	s_cselect_b32 s43, -1, 0
	s_cmp_eq_u32 s42, s37
	s_cselect_b32 s42, s43, s44
	s_add_u32 s43, s7, 1
	s_addc_u32 s44, s21, 0
	s_add_u32 s45, s7, 2
	s_addc_u32 s46, s21, 0
	s_cmp_lg_u32 s42, 0
	s_cselect_b32 s42, s45, s43
	s_cselect_b32 s43, s46, s44
	s_cmp_lg_u32 s40, 0
	v_readfirstlane_b32 s40, v2
	s_subb_u32 s25, s41, s25
	s_delay_alu instid0(SALU_CYCLE_1) | instskip(SKIP_1) | instid1(VALU_DEP_1)
	s_cmp_ge_u32 s25, s37
	s_cselect_b32 s41, -1, 0
	s_cmp_ge_u32 s40, s36
	s_cselect_b32 s36, -1, 0
	s_cmp_eq_u32 s25, s37
	s_cselect_b32 s25, s36, s41
	s_delay_alu instid0(SALU_CYCLE_1) | instskip(SKIP_3) | instid1(SALU_CYCLE_1)
	s_cmp_lg_u32 s25, 0
	s_cselect_b32 s37, s43, s21
	s_cselect_b32 s36, s42, s7
	s_xor_b64 s[22:23], s[38:39], s[22:23]
	s_xor_b64 s[36:37], s[36:37], s[22:23]
	s_delay_alu instid0(SALU_CYCLE_1)
	s_sub_u32 s22, s36, s22
	s_subb_u32 s23, s37, s23
	s_and_not1_b32 vcc_lo, exec_lo, s24
	s_cbranch_vccnz .LBB70_7
.LBB70_6:
	v_cvt_f32_u32_e32 v2, s34
	s_sub_i32 s21, 0, s34
	s_delay_alu instid0(VALU_DEP_1) | instskip(SKIP_2) | instid1(VALU_DEP_1)
	v_rcp_iflag_f32_e32 v2, v2
	s_waitcnt_depctr 0xfff
	v_mul_f32_e32 v2, 0x4f7ffffe, v2
	v_cvt_u32_f32_e32 v2, v2
	s_delay_alu instid0(VALU_DEP_1) | instskip(NEXT) | instid1(VALU_DEP_1)
	v_readfirstlane_b32 s7, v2
	s_mul_i32 s21, s21, s7
	s_delay_alu instid0(SALU_CYCLE_1) | instskip(NEXT) | instid1(SALU_CYCLE_1)
	s_mul_hi_u32 s21, s7, s21
	s_add_i32 s7, s7, s21
	s_delay_alu instid0(SALU_CYCLE_1) | instskip(NEXT) | instid1(SALU_CYCLE_1)
	s_mul_hi_u32 s7, s30, s7
	s_mul_i32 s21, s7, s34
	s_add_i32 s22, s7, 1
	s_sub_i32 s21, s30, s21
	s_delay_alu instid0(SALU_CYCLE_1)
	s_sub_i32 s23, s21, s34
	s_cmp_ge_u32 s21, s34
	s_cselect_b32 s7, s22, s7
	s_cselect_b32 s21, s23, s21
	s_add_i32 s22, s7, 1
	s_cmp_ge_u32 s21, s34
	s_mov_b32 s23, 0
	s_cselect_b32 s22, s22, s7
.LBB70_7:
	s_load_b64 s[24:25], s[2:3], 0x78
	s_mul_i32 s7, s22, s35
	s_mul_hi_u32 s21, s22, s34
	s_mul_i32 s35, s23, s4
	s_add_i32 s7, s21, s7
	s_mul_i32 s21, s23, s34
	s_mul_i32 s34, s22, s34
	s_add_i32 s21, s7, s21
	s_sub_u32 s7, s30, s34
	s_subb_u32 s21, s31, s21
	s_mul_hi_u32 s34, s22, s4
	s_mul_i32 s36, s22, s4
	s_mul_hi_u32 s31, s7, s5
	s_mul_i32 s23, s21, s5
	s_mul_i32 s30, s7, s5
	s_mov_b32 s37, exec_lo
	v_cmpx_gt_i32_e64 s20, v1
	s_cbranch_execz .LBB70_46
; %bb.8:
	s_load_b64 s[40:41], s[0:1], 0x4
	s_load_b32 s0, s[2:3], 0x8c
	s_mul_i32 s9, s16, s9
	s_mul_hi_u32 s38, s16, s8
	s_mul_i32 s8, s16, s8
	s_add_i32 s9, s38, s9
	s_ashr_i32 s21, s20, 31
	s_lshl_b64 s[42:43], s[8:9], 1
	v_bfe_u32 v2, v0, 10, 10
	s_waitcnt lgkmcnt(0)
	s_load_b32 s1, s[24:25], 0x0
	v_bfe_u32 v4, v0, 20, 10
	v_dual_mov_b32 v3, 0 :: v_dual_lshlrev_b32 v0, 1, v1
	v_mov_b32_e32 v12, v1
	s_lshr_b32 s9, s40, 16
	s_add_u32 s8, s12, s42
	s_mul_i32 s39, s9, s41
	s_addc_u32 s9, s13, s43
	s_ashr_i32 s40, s4, 31
	s_ashr_i32 s46, s5, 31
	s_and_b32 s38, s0, 0xffff
	s_mul_i32 s0, s22, s40
	s_mul_i32 s40, s7, s46
	s_add_i32 s0, s34, s0
	s_add_i32 s40, s31, s40
	s_lshl_b64 s[44:45], s[20:21], 1
	v_mul_lo_u32 v5, s39, v1
	s_ashr_i32 s47, s6, 31
	s_lshl_b32 s39, s38, 1
	s_add_i32 s0, s0, s35
	s_add_i32 s40, s40, s23
	s_add_u32 s28, s28, s44
	s_addc_u32 s29, s29, s45
	s_add_u32 s26, s26, s28
	s_addc_u32 s27, s27, s29
	;; [unrolled: 2-line block ×3, first 2 shown]
	v_mad_u32_u24 v2, v2, s41, v5
	s_add_u32 s12, s12, s28
	s_addc_u32 s13, s13, s29
	s_add_u32 s28, s36, s30
	s_addc_u32 s0, s0, s40
	s_add_u32 s28, s28, s6
	v_add_lshl_u32 v10, v2, v4, 1
	s_addc_u32 s0, s0, s47
	s_add_u32 s28, s18, s28
	s_addc_u32 s0, s19, s0
	v_add_co_u32 v4, s28, s28, v1
	v_add_nc_u32_e32 v11, 0x800, v10
	v_add_co_ci_u32_e64 v5, null, s0, 0, s28
	s_mov_b32 s28, 0
	s_branch .LBB70_10
.LBB70_9:                               ;   in Loop: Header=BB70_10 Depth=1
	s_or_b32 exec_lo, exec_lo, s0
	v_add_nc_u32_e32 v12, s38, v12
	v_add_co_u32 v8, vcc_lo, v4, s20
	s_add_u32 s17, s17, s39
	s_addc_u32 s33, s33, 0
	v_add_co_ci_u32_e32 v9, vcc_lo, s21, v5, vcc_lo
	s_add_u32 s26, s26, s39
	s_addc_u32 s27, s27, 0
	v_cmp_le_i32_e32 vcc_lo, s20, v12
	v_add_co_u32 v4, s0, v4, s38
	s_add_u32 s12, s12, s39
	s_addc_u32 s13, s13, 0
	v_add_co_ci_u32_e64 v5, s0, 0, v5, s0
	s_add_u32 s8, s8, s39
	s_addc_u32 s9, s9, 0
	s_or_b32 s28, vcc_lo, s28
	global_store_b8 v[8:9], v7, off
	s_and_not1_b32 exec_lo, exec_lo, s28
	s_cbranch_execz .LBB70_46
.LBB70_10:                              ; =>This Inner Loop Header: Depth=1
	v_add_co_u32 v6, s0, s17, v0
	s_delay_alu instid0(VALU_DEP_1) | instskip(SKIP_1) | instid1(VALU_DEP_1)
	v_add_co_ci_u32_e64 v7, null, s33, 0, s0
	v_add_co_u32 v15, s0, s8, v0
	v_add_co_ci_u32_e64 v16, null, s9, 0, s0
	v_add_co_u32 v17, s0, s12, v0
	s_delay_alu instid0(VALU_DEP_1) | instskip(SKIP_1) | instid1(VALU_DEP_1)
	v_add_co_ci_u32_e64 v18, null, s13, 0, s0
	v_add_co_u32 v8, s0, s26, v0
	v_add_co_ci_u32_e64 v9, null, s27, 0, s0
	global_load_u16 v2, v[15:16], off
	global_load_u16 v6, v[6:7], off
	;; [unrolled: 1-line block ×4, first 2 shown]
	s_waitcnt vmcnt(0)
	v_lshlrev_b32_e32 v8, 16, v8
	v_lshlrev_b32_e32 v7, 16, v7
	s_delay_alu instid0(VALU_DEP_1) | instskip(NEXT) | instid1(VALU_DEP_1)
	v_dual_mul_f32 v13, v8, v7 :: v_dual_lshlrev_b32 v2, 16, v2
	v_bfe_u32 v19, v13, 16, 1
	s_delay_alu instid0(VALU_DEP_1) | instskip(NEXT) | instid1(VALU_DEP_1)
	v_add3_u32 v19, v13, v19, 0x7fff
	v_and_b32_e32 v19, 0xffff0000, v19
	v_lshlrev_b32_e32 v6, 16, v6
	s_delay_alu instid0(VALU_DEP_1) | instskip(SKIP_1) | instid1(VALU_DEP_2)
	v_mul_f32_e32 v9, v6, v2
	v_mul_f32_e32 v2, v8, v2
	v_bfe_u32 v14, v9, 16, 1
	v_cmp_o_f32_e32 vcc_lo, v9, v9
	s_delay_alu instid0(VALU_DEP_2) | instskip(NEXT) | instid1(VALU_DEP_1)
	v_add3_u32 v14, v9, v14, 0x7fff
	v_and_b32_e32 v14, 0xffff0000, v14
	s_delay_alu instid0(VALU_DEP_1) | instskip(SKIP_2) | instid1(VALU_DEP_1)
	v_cndmask_b32_e32 v9, 0x7fc00000, v14, vcc_lo
	v_cmp_o_f32_e32 vcc_lo, v13, v13
	v_cndmask_b32_e32 v13, 0x7fc00000, v19, vcc_lo
	v_dual_mul_f32 v6, v6, v7 :: v_dual_sub_f32 v9, v9, v13
	s_delay_alu instid0(VALU_DEP_1) | instskip(NEXT) | instid1(VALU_DEP_2)
	v_bfe_u32 v8, v6, 16, 1
	v_bfe_u32 v13, v9, 16, 1
	v_cmp_o_f32_e32 vcc_lo, v9, v9
	s_delay_alu instid0(VALU_DEP_3) | instskip(NEXT) | instid1(VALU_DEP_3)
	v_add3_u32 v8, v6, v8, 0x7fff
	v_add3_u32 v13, v9, v13, 0x7fff
	s_delay_alu instid0(VALU_DEP_2) | instskip(NEXT) | instid1(VALU_DEP_2)
	v_and_b32_e32 v8, 0xffff0000, v8
	v_lshrrev_b32_e32 v13, 16, v13
	s_delay_alu instid0(VALU_DEP_1) | instskip(SKIP_2) | instid1(VALU_DEP_2)
	v_cndmask_b32_e32 v19, 0x7fc0, v13, vcc_lo
	v_bfe_u32 v13, v2, 16, 1
	v_cmp_o_f32_e32 vcc_lo, v6, v6
	v_add3_u32 v13, v2, v13, 0x7fff
	v_cndmask_b32_e32 v6, 0x7fc00000, v8, vcc_lo
	v_cmp_o_f32_e32 vcc_lo, v2, v2
	s_delay_alu instid0(VALU_DEP_3) | instskip(NEXT) | instid1(VALU_DEP_1)
	v_and_b32_e32 v13, 0xffff0000, v13
	v_cndmask_b32_e32 v2, 0x7fc00000, v13, vcc_lo
	s_delay_alu instid0(VALU_DEP_1) | instskip(SKIP_4) | instid1(VALU_DEP_2)
	v_add_f32_e32 v2, v2, v6
	ds_store_b16 v11, v19
	ds_load_b32 v9, v11
	v_bfe_u32 v13, v2, 16, 1
	v_cmp_o_f32_e64 s0, v2, v2
	v_add3_u32 v13, v2, v13, 0x7fff
	s_delay_alu instid0(VALU_DEP_1) | instskip(SKIP_3) | instid1(VALU_DEP_2)
	v_lshrrev_b32_e32 v13, 16, v13
	s_waitcnt lgkmcnt(0)
	v_div_scale_f32 v7, null, s1, s1, v9
	v_div_scale_f32 v8, vcc_lo, v9, s1, v9
	v_rcp_f32_e32 v14, v7
	s_waitcnt_depctr 0xfff
	v_fma_f32 v20, -v7, v14, 1.0
	s_delay_alu instid0(VALU_DEP_1) | instskip(NEXT) | instid1(VALU_DEP_1)
	v_fmac_f32_e32 v14, v20, v14
	v_mul_f32_e32 v6, v8, v14
	s_delay_alu instid0(VALU_DEP_1) | instskip(NEXT) | instid1(VALU_DEP_1)
	v_fma_f32 v20, -v7, v6, v8
	v_fmac_f32_e32 v6, v20, v14
	v_cndmask_b32_e64 v20, 0x7fc0, v13, s0
	s_delay_alu instid0(VALU_DEP_2)
	v_fma_f32 v7, -v7, v6, v8
	ds_store_b16 v10, v20
	ds_load_b32 v13, v10
	global_store_b16 v[15:16], v19, off
	global_store_b16 v[17:18], v20, off
	v_div_fmas_f32 v2, v7, v14, v6
	s_delay_alu instid0(VALU_DEP_1) | instskip(SKIP_1) | instid1(VALU_DEP_2)
	v_div_fixup_f32 v6, v2, s1, v9
	v_mov_b32_e32 v9, v3
	v_lshrrev_b32_e32 v7, 24, v6
	v_and_b32_e32 v8, 0x7f800000, v6
	v_and_b32_e32 v2, 0x7fffff, v6
	s_delay_alu instid0(VALU_DEP_3) | instskip(NEXT) | instid1(VALU_DEP_3)
	v_and_b32_e32 v14, 0x80, v7
	v_cmp_ne_u64_e32 vcc_lo, 0x7f800000, v[8:9]
	s_delay_alu instid0(VALU_DEP_2) | instskip(SKIP_1) | instid1(SALU_CYCLE_1)
	v_or_b32_e32 v8, 0x7e, v14
	s_and_saveexec_b32 s0, vcc_lo
	s_xor_b32 s29, exec_lo, s0
	s_cbranch_execz .LBB70_26
; %bb.11:                               ;   in Loop: Header=BB70_10 Depth=1
	v_dual_mov_b32 v16, v3 :: v_dual_and_b32 v15, 0x7fffffff, v6
	s_mov_b32 s0, exec_lo
	s_delay_alu instid0(VALU_DEP_1)
	v_cmpx_gt_u64_e32 0x43e00001, v[15:16]
	s_xor_b32 s40, exec_lo, s0
	s_cbranch_execz .LBB70_25
; %bb.12:                               ;   in Loop: Header=BB70_10 Depth=1
	v_mov_b32_e32 v8, 0
	s_mov_b32 s41, exec_lo
	v_cmpx_ne_u32_e32 0, v6
	s_cbranch_execz .LBB70_24
; %bb.13:                               ;   in Loop: Header=BB70_10 Depth=1
	v_bfe_u32 v15, v6, 23, 8
	v_or_b32_e32 v8, 0x800000, v2
	s_delay_alu instid0(VALU_DEP_2) | instskip(SKIP_1) | instid1(VALU_DEP_2)
	v_sub_nc_u32_e32 v6, 0x79, v15
	v_cmp_gt_u32_e32 vcc_lo, 0x7a, v15
	v_cndmask_b32_e32 v6, 0, v6, vcc_lo
	v_cmp_eq_u32_e32 vcc_lo, 0, v15
	s_delay_alu instid0(VALU_DEP_2) | instskip(SKIP_1) | instid1(VALU_DEP_2)
	v_cndmask_b32_e64 v16, v6, 0x78, vcc_lo
	v_cndmask_b32_e32 v2, v8, v2, vcc_lo
	v_add_nc_u32_e32 v6, 20, v16
	v_add_nc_u32_e32 v8, 19, v16
	s_delay_alu instid0(VALU_DEP_2) | instskip(NEXT) | instid1(VALU_DEP_2)
	v_lshlrev_b64 v[6:7], v6, -1
	v_lshlrev_b64 v[8:9], v8, 1
	s_delay_alu instid0(VALU_DEP_2) | instskip(NEXT) | instid1(VALU_DEP_3)
	v_not_b32_e32 v7, v7
	v_not_b32_e32 v6, v6
	s_delay_alu instid0(VALU_DEP_2) | instskip(NEXT) | instid1(VALU_DEP_2)
	v_and_b32_e32 v18, 0, v7
	v_and_b32_e32 v17, v2, v6
	v_lshrrev_b64 v[6:7], v16, v[2:3]
	s_delay_alu instid0(VALU_DEP_2) | instskip(NEXT) | instid1(VALU_DEP_2)
	v_cmp_eq_u64_e64 s0, v[17:18], v[8:9]
	v_dual_mov_b32 v9, v7 :: v_dual_mov_b32 v8, v6
	s_delay_alu instid0(VALU_DEP_2)
	s_and_saveexec_b32 s42, s0
; %bb.14:                               ;   in Loop: Header=BB70_10 Depth=1
	v_bfe_u32 v2, v6, 20, 1
	s_delay_alu instid0(VALU_DEP_1) | instskip(NEXT) | instid1(VALU_DEP_1)
	v_add_co_u32 v2, s0, v6, v2
	v_add_co_u32 v8, s0, v2, -1
; %bb.15:                               ;   in Loop: Header=BB70_10 Depth=1
	s_or_b32 exec_lo, exec_lo, s42
	v_add_nc_u32_e32 v2, 0xffffff81, v15
	v_lshrrev_b32_e32 v9, 23, v6
	s_mov_b32 s0, exec_lo
	s_delay_alu instid0(VALU_DEP_2) | instskip(NEXT) | instid1(VALU_DEP_1)
	v_cndmask_b32_e64 v2, v2, 0xffffff82, vcc_lo
	v_add3_u32 v9, v16, v2, v9
	v_and_b32_e32 v2, 0xfffff, v8
	s_delay_alu instid0(VALU_DEP_2) | instskip(NEXT) | instid1(VALU_DEP_2)
	v_add_nc_u32_e32 v8, 6, v9
	v_add_co_u32 v6, vcc_lo, v2, v6
	v_add_co_ci_u32_e32 v7, vcc_lo, 0, v7, vcc_lo
                                        ; implicit-def: $vgpr2
	s_delay_alu instid0(VALU_DEP_3)
	v_cmpx_ne_u32_e32 0, v8
	s_xor_b32 s0, exec_lo, s0
; %bb.16:                               ;   in Loop: Header=BB70_10 Depth=1
	s_delay_alu instid0(VALU_DEP_2) | instskip(SKIP_1) | instid1(VALU_DEP_1)
	v_cmp_lt_u64_e32 vcc_lo, 0xffffff, v[6:7]
	v_add_nc_u32_e32 v2, 7, v9
	v_cndmask_b32_e32 v2, v8, v2, vcc_lo
	v_cndmask_b32_e64 v8, 0, 1, vcc_lo
	s_delay_alu instid0(VALU_DEP_1)
	v_lshrrev_b64 v[6:7], v8, v[6:7]
; %bb.17:                               ;   in Loop: Header=BB70_10 Depth=1
	s_and_not1_saveexec_b32 s0, s0
; %bb.18:                               ;   in Loop: Header=BB70_10 Depth=1
	s_delay_alu instid0(VALU_DEP_1)
	v_bfe_u32 v2, v6, 23, 1
; %bb.19:                               ;   in Loop: Header=BB70_10 Depth=1
	s_or_b32 exec_lo, exec_lo, s0
	s_delay_alu instid0(VALU_DEP_2) | instskip(NEXT) | instid1(VALU_DEP_2)
	v_lshrrev_b64 v[6:7], 20, v[6:7]
	v_cmp_gt_i32_e32 vcc_lo, 16, v2
	v_cmp_ne_u32_e64 s0, 0, v2
                                        ; implicit-def: $vgpr8
	s_delay_alu instid0(VALU_DEP_3) | instskip(NEXT) | instid1(VALU_DEP_1)
	v_dual_cndmask_b32 v7, 0, v7 :: v_dual_cndmask_b32 v6, 7, v6
	v_cmp_ne_u64_e32 vcc_lo, 0, v[6:7]
	s_delay_alu instid0(VALU_DEP_3) | instskip(NEXT) | instid1(SALU_CYCLE_1)
	s_or_b32 s0, s0, vcc_lo
	s_and_saveexec_b32 s42, s0
	s_delay_alu instid0(SALU_CYCLE_1)
	s_xor_b32 s0, exec_lo, s42
; %bb.20:                               ;   in Loop: Header=BB70_10 Depth=1
	v_min_i32_e32 v2, 15, v2
	s_delay_alu instid0(VALU_DEP_1) | instskip(NEXT) | instid1(VALU_DEP_1)
	v_lshl_or_b32 v2, v2, 3, v14
                                        ; implicit-def: $vgpr14
	v_and_or_b32 v8, v6, 7, v2
; %bb.21:                               ;   in Loop: Header=BB70_10 Depth=1
	s_and_not1_saveexec_b32 s0, s0
; %bb.22:                               ;   in Loop: Header=BB70_10 Depth=1
	v_mov_b32_e32 v8, v14
; %bb.23:                               ;   in Loop: Header=BB70_10 Depth=1
	s_or_b32 exec_lo, exec_lo, s0
.LBB70_24:                              ;   in Loop: Header=BB70_10 Depth=1
	s_delay_alu instid0(SALU_CYCLE_1)
	s_or_b32 exec_lo, exec_lo, s41
.LBB70_25:                              ;   in Loop: Header=BB70_10 Depth=1
	s_and_not1_saveexec_b32 s0, s40
	s_delay_alu instid0(SALU_CYCLE_1)
	s_or_b32 exec_lo, exec_lo, s0
                                        ; implicit-def: $vgpr7
.LBB70_26:                              ;   in Loop: Header=BB70_10 Depth=1
	s_and_not1_saveexec_b32 s0, s29
; %bb.27:                               ;   in Loop: Header=BB70_10 Depth=1
	v_cmp_eq_u64_e32 vcc_lo, 0, v[2:3]
	v_or_b32_e32 v6, 0x7f, v7
	s_delay_alu instid0(VALU_DEP_1)
	v_cndmask_b32_e32 v8, v6, v8, vcc_lo
; %bb.28:                               ;   in Loop: Header=BB70_10 Depth=1
	s_or_b32 exec_lo, exec_lo, s0
	s_waitcnt lgkmcnt(0)
	v_div_scale_f32 v2, null, s1, s1, v13
	global_store_b8 v[4:5], v8, off
	s_mov_b32 s0, exec_lo
	v_mov_b32_e32 v15, v3
	v_rcp_f32_e32 v6, v2
	s_waitcnt_depctr 0xfff
	v_fma_f32 v7, -v2, v6, 1.0
	s_delay_alu instid0(VALU_DEP_1) | instskip(SKIP_1) | instid1(VALU_DEP_1)
	v_fmac_f32_e32 v6, v7, v6
	v_div_scale_f32 v7, vcc_lo, v13, s1, v13
	v_mul_f32_e32 v9, v7, v6
	s_delay_alu instid0(VALU_DEP_1) | instskip(NEXT) | instid1(VALU_DEP_1)
	v_fma_f32 v14, -v2, v9, v7
	v_fmac_f32_e32 v9, v14, v6
	s_delay_alu instid0(VALU_DEP_1) | instskip(NEXT) | instid1(VALU_DEP_1)
	v_fma_f32 v2, -v2, v9, v7
	v_div_fmas_f32 v2, v2, v6, v9
	s_delay_alu instid0(VALU_DEP_1) | instskip(NEXT) | instid1(VALU_DEP_1)
	v_div_fixup_f32 v6, v2, s1, v13
	v_lshrrev_b32_e32 v9, 24, v6
	v_and_b32_e32 v14, 0x7f800000, v6
	v_and_b32_e32 v2, 0x7fffff, v6
	s_delay_alu instid0(VALU_DEP_3) | instskip(NEXT) | instid1(VALU_DEP_1)
	v_and_b32_e32 v13, 0x80, v9
	v_or_b32_e32 v7, 0x7e, v13
	s_delay_alu instid0(VALU_DEP_4)
	v_cmpx_ne_u64_e32 0x7f800000, v[14:15]
	s_xor_b32 s29, exec_lo, s0
	s_cbranch_execz .LBB70_44
; %bb.29:                               ;   in Loop: Header=BB70_10 Depth=1
	v_dual_mov_b32 v9, v3 :: v_dual_and_b32 v8, 0x7fffffff, v6
	s_mov_b32 s0, exec_lo
	s_delay_alu instid0(VALU_DEP_1)
	v_cmpx_gt_u64_e32 0x43e00001, v[8:9]
	s_xor_b32 s40, exec_lo, s0
	s_cbranch_execz .LBB70_43
; %bb.30:                               ;   in Loop: Header=BB70_10 Depth=1
	v_mov_b32_e32 v7, 0
	s_mov_b32 s41, exec_lo
	v_cmpx_ne_u32_e32 0, v6
	s_cbranch_execz .LBB70_42
; %bb.31:                               ;   in Loop: Header=BB70_10 Depth=1
	v_bfe_u32 v14, v6, 23, 8
	v_or_b32_e32 v8, 0x800000, v2
	s_delay_alu instid0(VALU_DEP_2) | instskip(SKIP_1) | instid1(VALU_DEP_2)
	v_sub_nc_u32_e32 v6, 0x79, v14
	v_cmp_gt_u32_e32 vcc_lo, 0x7a, v14
	v_cndmask_b32_e32 v6, 0, v6, vcc_lo
	v_cmp_eq_u32_e32 vcc_lo, 0, v14
	s_delay_alu instid0(VALU_DEP_2) | instskip(SKIP_1) | instid1(VALU_DEP_2)
	v_cndmask_b32_e64 v15, v6, 0x78, vcc_lo
	v_cndmask_b32_e32 v2, v8, v2, vcc_lo
	v_add_nc_u32_e32 v6, 20, v15
	v_add_nc_u32_e32 v8, 19, v15
	s_delay_alu instid0(VALU_DEP_2) | instskip(NEXT) | instid1(VALU_DEP_2)
	v_lshlrev_b64 v[6:7], v6, -1
	v_lshlrev_b64 v[8:9], v8, 1
	s_delay_alu instid0(VALU_DEP_2) | instskip(NEXT) | instid1(VALU_DEP_3)
	v_not_b32_e32 v7, v7
	v_not_b32_e32 v6, v6
	s_delay_alu instid0(VALU_DEP_2) | instskip(NEXT) | instid1(VALU_DEP_2)
	v_and_b32_e32 v17, 0, v7
	v_and_b32_e32 v16, v2, v6
	v_lshrrev_b64 v[6:7], v15, v[2:3]
	s_delay_alu instid0(VALU_DEP_2) | instskip(NEXT) | instid1(VALU_DEP_2)
	v_cmp_eq_u64_e64 s0, v[16:17], v[8:9]
	v_dual_mov_b32 v9, v7 :: v_dual_mov_b32 v8, v6
	s_delay_alu instid0(VALU_DEP_2)
	s_and_saveexec_b32 s42, s0
; %bb.32:                               ;   in Loop: Header=BB70_10 Depth=1
	v_bfe_u32 v2, v6, 20, 1
	s_delay_alu instid0(VALU_DEP_1) | instskip(NEXT) | instid1(VALU_DEP_1)
	v_add_co_u32 v2, s0, v6, v2
	v_add_co_u32 v8, s0, v2, -1
; %bb.33:                               ;   in Loop: Header=BB70_10 Depth=1
	s_or_b32 exec_lo, exec_lo, s42
	v_add_nc_u32_e32 v2, 0xffffff81, v14
	v_lshrrev_b32_e32 v9, 23, v6
	s_mov_b32 s0, exec_lo
	s_delay_alu instid0(VALU_DEP_2) | instskip(NEXT) | instid1(VALU_DEP_1)
	v_cndmask_b32_e64 v2, v2, 0xffffff82, vcc_lo
	v_add3_u32 v9, v15, v2, v9
	v_and_b32_e32 v2, 0xfffff, v8
	s_delay_alu instid0(VALU_DEP_2) | instskip(NEXT) | instid1(VALU_DEP_2)
	v_add_nc_u32_e32 v8, 6, v9
	v_add_co_u32 v6, vcc_lo, v2, v6
	v_add_co_ci_u32_e32 v7, vcc_lo, 0, v7, vcc_lo
                                        ; implicit-def: $vgpr2
	s_delay_alu instid0(VALU_DEP_3)
	v_cmpx_ne_u32_e32 0, v8
	s_xor_b32 s0, exec_lo, s0
; %bb.34:                               ;   in Loop: Header=BB70_10 Depth=1
	s_delay_alu instid0(VALU_DEP_2) | instskip(SKIP_1) | instid1(VALU_DEP_1)
	v_cmp_lt_u64_e32 vcc_lo, 0xffffff, v[6:7]
	v_add_nc_u32_e32 v2, 7, v9
	v_cndmask_b32_e32 v2, v8, v2, vcc_lo
	v_cndmask_b32_e64 v8, 0, 1, vcc_lo
	s_delay_alu instid0(VALU_DEP_1)
	v_lshrrev_b64 v[6:7], v8, v[6:7]
; %bb.35:                               ;   in Loop: Header=BB70_10 Depth=1
	s_and_not1_saveexec_b32 s0, s0
; %bb.36:                               ;   in Loop: Header=BB70_10 Depth=1
	s_delay_alu instid0(VALU_DEP_1)
	v_bfe_u32 v2, v6, 23, 1
; %bb.37:                               ;   in Loop: Header=BB70_10 Depth=1
	s_or_b32 exec_lo, exec_lo, s0
	s_delay_alu instid0(VALU_DEP_2) | instskip(NEXT) | instid1(VALU_DEP_2)
	v_lshrrev_b64 v[6:7], 20, v[6:7]
	v_cmp_gt_i32_e32 vcc_lo, 16, v2
	v_cmp_ne_u32_e64 s0, 0, v2
	s_delay_alu instid0(VALU_DEP_3) | instskip(NEXT) | instid1(VALU_DEP_1)
	v_dual_cndmask_b32 v7, 0, v7 :: v_dual_cndmask_b32 v6, 7, v6
	v_cmp_ne_u64_e32 vcc_lo, 0, v[6:7]
                                        ; implicit-def: $vgpr7
	s_delay_alu instid0(VALU_DEP_3) | instskip(NEXT) | instid1(SALU_CYCLE_1)
	s_or_b32 s0, s0, vcc_lo
	s_and_saveexec_b32 s42, s0
	s_delay_alu instid0(SALU_CYCLE_1)
	s_xor_b32 s0, exec_lo, s42
; %bb.38:                               ;   in Loop: Header=BB70_10 Depth=1
	v_min_i32_e32 v2, 15, v2
	s_delay_alu instid0(VALU_DEP_1) | instskip(NEXT) | instid1(VALU_DEP_1)
	v_lshl_or_b32 v2, v2, 3, v13
                                        ; implicit-def: $vgpr13
	v_and_or_b32 v7, v6, 7, v2
; %bb.39:                               ;   in Loop: Header=BB70_10 Depth=1
	s_and_not1_saveexec_b32 s0, s0
; %bb.40:                               ;   in Loop: Header=BB70_10 Depth=1
	v_mov_b32_e32 v7, v13
; %bb.41:                               ;   in Loop: Header=BB70_10 Depth=1
	s_or_b32 exec_lo, exec_lo, s0
.LBB70_42:                              ;   in Loop: Header=BB70_10 Depth=1
	s_delay_alu instid0(SALU_CYCLE_1)
	s_or_b32 exec_lo, exec_lo, s41
.LBB70_43:                              ;   in Loop: Header=BB70_10 Depth=1
	s_and_not1_saveexec_b32 s0, s40
	s_delay_alu instid0(SALU_CYCLE_1)
	s_or_b32 exec_lo, exec_lo, s0
                                        ; implicit-def: $vgpr9
.LBB70_44:                              ;   in Loop: Header=BB70_10 Depth=1
	s_and_not1_saveexec_b32 s0, s29
	s_cbranch_execz .LBB70_9
; %bb.45:                               ;   in Loop: Header=BB70_10 Depth=1
	v_cmp_eq_u64_e32 vcc_lo, 0, v[2:3]
	v_or_b32_e32 v6, 0x7f, v9
	s_delay_alu instid0(VALU_DEP_1)
	v_cndmask_b32_e32 v7, v6, v7, vcc_lo
	s_branch .LBB70_9
.LBB70_46:
	s_or_b32 exec_lo, exec_lo, s37
	s_delay_alu instid0(SALU_CYCLE_1)
	s_mov_b32 s0, exec_lo
	v_cmpx_gt_i32_e64 s6, v1
	s_cbranch_execz .LBB70_67
; %bb.47:
	s_mul_i32 s1, s16, s11
	s_mul_hi_u32 s8, s16, s10
	s_mul_i32 s0, s16, s10
	s_add_i32 s1, s8, s1
	v_mov_b32_e32 v4, 0
	s_lshl_b64 s[8:9], s[0:1], 1
	s_load_b32 s0, s[2:3], 0x8c
	s_waitcnt lgkmcnt(0)
	s_load_b32 s3, s[24:25], 0x0
	s_add_u32 s1, s14, s8
	s_addc_u32 s2, s15, s9
	s_ashr_i32 s4, s4, 31
	s_delay_alu instid0(SALU_CYCLE_1) | instskip(NEXT) | instid1(SALU_CYCLE_1)
	s_mul_i32 s4, s22, s4
	s_add_i32 s4, s34, s4
	s_delay_alu instid0(SALU_CYCLE_1) | instskip(SKIP_3) | instid1(SALU_CYCLE_1)
	s_add_i32 s4, s4, s35
	s_add_u32 s8, s18, s36
	s_addc_u32 s9, s19, s4
	s_ashr_i32 s4, s5, 31
	s_mul_i32 s7, s7, s4
	s_delay_alu instid0(SALU_CYCLE_1) | instskip(NEXT) | instid1(SALU_CYCLE_1)
	s_add_i32 s4, s31, s7
	s_add_i32 s5, s4, s23
	s_add_u32 s4, s8, s30
	s_addc_u32 s5, s9, s5
	s_and_b32 s7, s0, 0xffff
	s_mov_b32 s8, 0
	s_branch .LBB70_49
.LBB70_48:                              ;   in Loop: Header=BB70_49 Depth=1
	s_or_b32 exec_lo, exec_lo, s0
	v_add_co_u32 v7, vcc_lo, s4, v1
	v_add_nc_u32_e32 v1, s7, v1
	v_add_co_ci_u32_e32 v8, vcc_lo, s5, v2, vcc_lo
	s_delay_alu instid0(VALU_DEP_2) | instskip(SKIP_2) | instid1(SALU_CYCLE_1)
	v_cmp_le_i32_e32 vcc_lo, s6, v1
	global_store_b8 v[7:8], v6, off
	s_or_b32 s8, vcc_lo, s8
	s_and_not1_b32 exec_lo, exec_lo, s8
	s_cbranch_execz .LBB70_67
.LBB70_49:                              ; =>This Inner Loop Header: Depth=1
	v_ashrrev_i32_e32 v2, 31, v1
	s_mov_b32 s0, exec_lo
	v_mov_b32_e32 v9, v4
	s_delay_alu instid0(VALU_DEP_2) | instskip(NEXT) | instid1(VALU_DEP_1)
	v_lshlrev_b64 v[5:6], 1, v[1:2]
	v_add_co_u32 v5, vcc_lo, s1, v5
	s_delay_alu instid0(VALU_DEP_2) | instskip(SKIP_3) | instid1(VALU_DEP_1)
	v_add_co_ci_u32_e32 v6, vcc_lo, s2, v6, vcc_lo
	global_load_b32 v0, v[5:6], off
	s_waitcnt vmcnt(0) lgkmcnt(0)
	v_div_scale_f32 v3, null, s3, s3, v0
	v_rcp_f32_e32 v5, v3
	s_waitcnt_depctr 0xfff
	v_fma_f32 v6, -v3, v5, 1.0
	s_delay_alu instid0(VALU_DEP_1) | instskip(SKIP_1) | instid1(VALU_DEP_1)
	v_fmac_f32_e32 v5, v6, v5
	v_div_scale_f32 v6, vcc_lo, v0, s3, v0
	v_mul_f32_e32 v7, v6, v5
	s_delay_alu instid0(VALU_DEP_1) | instskip(NEXT) | instid1(VALU_DEP_1)
	v_fma_f32 v8, -v3, v7, v6
	v_fmac_f32_e32 v7, v8, v5
	s_delay_alu instid0(VALU_DEP_1) | instskip(NEXT) | instid1(VALU_DEP_1)
	v_fma_f32 v3, -v3, v7, v6
	v_div_fmas_f32 v3, v3, v5, v7
	s_delay_alu instid0(VALU_DEP_1) | instskip(NEXT) | instid1(VALU_DEP_1)
	v_div_fixup_f32 v5, v3, s3, v0
	v_lshrrev_b32_e32 v7, 24, v5
	v_and_b32_e32 v8, 0x7f800000, v5
	v_and_b32_e32 v3, 0x7fffff, v5
	s_delay_alu instid0(VALU_DEP_3) | instskip(NEXT) | instid1(VALU_DEP_1)
	v_and_b32_e32 v0, 0x80, v7
	v_or_b32_e32 v6, 0x7e, v0
	s_delay_alu instid0(VALU_DEP_4)
	v_cmpx_ne_u64_e32 0x7f800000, v[8:9]
	s_xor_b32 s9, exec_lo, s0
	s_cbranch_execz .LBB70_65
; %bb.50:                               ;   in Loop: Header=BB70_49 Depth=1
	v_dual_mov_b32 v8, v4 :: v_dual_and_b32 v7, 0x7fffffff, v5
	s_mov_b32 s0, exec_lo
	s_delay_alu instid0(VALU_DEP_1)
	v_cmpx_gt_u64_e32 0x43e00001, v[7:8]
	s_xor_b32 s10, exec_lo, s0
	s_cbranch_execz .LBB70_64
; %bb.51:                               ;   in Loop: Header=BB70_49 Depth=1
	v_mov_b32_e32 v6, 0
	s_mov_b32 s11, exec_lo
	v_cmpx_ne_u32_e32 0, v5
	s_cbranch_execz .LBB70_63
; %bb.52:                               ;   in Loop: Header=BB70_49 Depth=1
	v_bfe_u32 v9, v5, 23, 8
	v_or_b32_e32 v7, 0x800000, v3
	s_delay_alu instid0(VALU_DEP_2) | instskip(SKIP_1) | instid1(VALU_DEP_2)
	v_sub_nc_u32_e32 v5, 0x79, v9
	v_cmp_gt_u32_e32 vcc_lo, 0x7a, v9
	v_cndmask_b32_e32 v5, 0, v5, vcc_lo
	v_cmp_eq_u32_e32 vcc_lo, 0, v9
	s_delay_alu instid0(VALU_DEP_2) | instskip(SKIP_1) | instid1(VALU_DEP_2)
	v_cndmask_b32_e64 v10, v5, 0x78, vcc_lo
	v_cndmask_b32_e32 v3, v7, v3, vcc_lo
	v_add_nc_u32_e32 v5, 20, v10
	v_add_nc_u32_e32 v7, 19, v10
	s_delay_alu instid0(VALU_DEP_2) | instskip(NEXT) | instid1(VALU_DEP_2)
	v_lshlrev_b64 v[5:6], v5, -1
	v_lshlrev_b64 v[7:8], v7, 1
	s_delay_alu instid0(VALU_DEP_2) | instskip(NEXT) | instid1(VALU_DEP_3)
	v_not_b32_e32 v6, v6
	v_not_b32_e32 v5, v5
	s_delay_alu instid0(VALU_DEP_2) | instskip(NEXT) | instid1(VALU_DEP_2)
	v_and_b32_e32 v12, 0, v6
	v_and_b32_e32 v11, v3, v5
	v_lshrrev_b64 v[5:6], v10, v[3:4]
	s_delay_alu instid0(VALU_DEP_2) | instskip(NEXT) | instid1(VALU_DEP_2)
	v_cmp_eq_u64_e64 s0, v[11:12], v[7:8]
	v_dual_mov_b32 v8, v6 :: v_dual_mov_b32 v7, v5
	s_delay_alu instid0(VALU_DEP_2)
	s_and_saveexec_b32 s12, s0
; %bb.53:                               ;   in Loop: Header=BB70_49 Depth=1
	v_bfe_u32 v3, v5, 20, 1
	s_delay_alu instid0(VALU_DEP_1) | instskip(NEXT) | instid1(VALU_DEP_1)
	v_add_co_u32 v3, s0, v5, v3
	v_add_co_u32 v7, s0, v3, -1
; %bb.54:                               ;   in Loop: Header=BB70_49 Depth=1
	s_or_b32 exec_lo, exec_lo, s12
	v_add_nc_u32_e32 v3, 0xffffff81, v9
	v_lshrrev_b32_e32 v8, 23, v5
	s_mov_b32 s0, exec_lo
	s_delay_alu instid0(VALU_DEP_2) | instskip(NEXT) | instid1(VALU_DEP_1)
	v_cndmask_b32_e64 v3, v3, 0xffffff82, vcc_lo
	v_add3_u32 v8, v10, v3, v8
	v_and_b32_e32 v3, 0xfffff, v7
	s_delay_alu instid0(VALU_DEP_2) | instskip(NEXT) | instid1(VALU_DEP_2)
	v_add_nc_u32_e32 v7, 6, v8
	v_add_co_u32 v5, vcc_lo, v3, v5
	v_add_co_ci_u32_e32 v6, vcc_lo, 0, v6, vcc_lo
                                        ; implicit-def: $vgpr3
	s_delay_alu instid0(VALU_DEP_3)
	v_cmpx_ne_u32_e32 0, v7
	s_xor_b32 s0, exec_lo, s0
; %bb.55:                               ;   in Loop: Header=BB70_49 Depth=1
	s_delay_alu instid0(VALU_DEP_2) | instskip(SKIP_1) | instid1(VALU_DEP_1)
	v_cmp_lt_u64_e32 vcc_lo, 0xffffff, v[5:6]
	v_add_nc_u32_e32 v3, 7, v8
	v_cndmask_b32_e32 v3, v7, v3, vcc_lo
	v_cndmask_b32_e64 v7, 0, 1, vcc_lo
	s_delay_alu instid0(VALU_DEP_1)
	v_lshrrev_b64 v[5:6], v7, v[5:6]
; %bb.56:                               ;   in Loop: Header=BB70_49 Depth=1
	s_and_not1_saveexec_b32 s0, s0
; %bb.57:                               ;   in Loop: Header=BB70_49 Depth=1
	s_delay_alu instid0(VALU_DEP_1)
	v_bfe_u32 v3, v5, 23, 1
; %bb.58:                               ;   in Loop: Header=BB70_49 Depth=1
	s_or_b32 exec_lo, exec_lo, s0
	s_delay_alu instid0(VALU_DEP_2) | instskip(NEXT) | instid1(VALU_DEP_2)
	v_lshrrev_b64 v[5:6], 20, v[5:6]
	v_cmp_gt_i32_e32 vcc_lo, 16, v3
	v_cmp_ne_u32_e64 s0, 0, v3
	s_delay_alu instid0(VALU_DEP_3) | instskip(NEXT) | instid1(VALU_DEP_1)
	v_dual_cndmask_b32 v6, 0, v6 :: v_dual_cndmask_b32 v5, 7, v5
	v_cmp_ne_u64_e32 vcc_lo, 0, v[5:6]
                                        ; implicit-def: $vgpr6
	s_delay_alu instid0(VALU_DEP_3) | instskip(NEXT) | instid1(SALU_CYCLE_1)
	s_or_b32 s0, s0, vcc_lo
	s_and_saveexec_b32 s12, s0
	s_delay_alu instid0(SALU_CYCLE_1)
	s_xor_b32 s0, exec_lo, s12
; %bb.59:                               ;   in Loop: Header=BB70_49 Depth=1
	v_min_i32_e32 v3, 15, v3
	s_delay_alu instid0(VALU_DEP_1) | instskip(NEXT) | instid1(VALU_DEP_1)
	v_lshl_or_b32 v0, v3, 3, v0
	v_and_or_b32 v6, v5, 7, v0
                                        ; implicit-def: $vgpr0
; %bb.60:                               ;   in Loop: Header=BB70_49 Depth=1
	s_and_not1_saveexec_b32 s0, s0
; %bb.61:                               ;   in Loop: Header=BB70_49 Depth=1
	v_mov_b32_e32 v6, v0
; %bb.62:                               ;   in Loop: Header=BB70_49 Depth=1
	s_or_b32 exec_lo, exec_lo, s0
.LBB70_63:                              ;   in Loop: Header=BB70_49 Depth=1
	s_delay_alu instid0(SALU_CYCLE_1)
	s_or_b32 exec_lo, exec_lo, s11
.LBB70_64:                              ;   in Loop: Header=BB70_49 Depth=1
	s_and_not1_saveexec_b32 s0, s10
	s_delay_alu instid0(SALU_CYCLE_1)
	s_or_b32 exec_lo, exec_lo, s0
                                        ; implicit-def: $vgpr7
.LBB70_65:                              ;   in Loop: Header=BB70_49 Depth=1
	s_and_not1_saveexec_b32 s0, s9
	s_cbranch_execz .LBB70_48
; %bb.66:                               ;   in Loop: Header=BB70_49 Depth=1
	v_cmp_eq_u64_e32 vcc_lo, 0, v[3:4]
	v_or_b32_e32 v0, 0x7f, v7
	s_delay_alu instid0(VALU_DEP_1)
	v_cndmask_b32_e32 v6, v0, v6, vcc_lo
	s_branch .LBB70_48
.LBB70_67:
	s_nop 0
	s_sendmsg sendmsg(MSG_DEALLOC_VGPRS)
	s_endpgm
.LBB70_68:
                                        ; implicit-def: $sgpr22_sgpr23
	s_branch .LBB70_6
	.section	.rodata,"a",@progbits
	.p2align	6, 0x0
	.amdhsa_kernel _ZN4vllm38concat_and_cache_mla_rope_fused_kernelIN3c108BFloat16ES2_Lb1EfhLNS_18Fp8KVCacheDataTypeE1EEEvPKlPT_S7_PKS6_PKT0_illlliPT3_S5_iiiiPKf
		.amdhsa_group_segment_fixed_size 4096
		.amdhsa_private_segment_fixed_size 0
		.amdhsa_kernarg_size 384
		.amdhsa_user_sgpr_count 15
		.amdhsa_user_sgpr_dispatch_ptr 1
		.amdhsa_user_sgpr_queue_ptr 0
		.amdhsa_user_sgpr_kernarg_segment_ptr 1
		.amdhsa_user_sgpr_dispatch_id 0
		.amdhsa_user_sgpr_private_segment_size 0
		.amdhsa_wavefront_size32 1
		.amdhsa_uses_dynamic_stack 0
		.amdhsa_enable_private_segment 0
		.amdhsa_system_sgpr_workgroup_id_x 1
		.amdhsa_system_sgpr_workgroup_id_y 0
		.amdhsa_system_sgpr_workgroup_id_z 0
		.amdhsa_system_sgpr_workgroup_info 0
		.amdhsa_system_vgpr_workitem_id 2
		.amdhsa_next_free_vgpr 21
		.amdhsa_next_free_sgpr 48
		.amdhsa_reserve_vcc 1
		.amdhsa_float_round_mode_32 0
		.amdhsa_float_round_mode_16_64 0
		.amdhsa_float_denorm_mode_32 3
		.amdhsa_float_denorm_mode_16_64 3
		.amdhsa_dx10_clamp 1
		.amdhsa_ieee_mode 1
		.amdhsa_fp16_overflow 0
		.amdhsa_workgroup_processor_mode 1
		.amdhsa_memory_ordered 1
		.amdhsa_forward_progress 0
		.amdhsa_shared_vgpr_count 0
		.amdhsa_exception_fp_ieee_invalid_op 0
		.amdhsa_exception_fp_denorm_src 0
		.amdhsa_exception_fp_ieee_div_zero 0
		.amdhsa_exception_fp_ieee_overflow 0
		.amdhsa_exception_fp_ieee_underflow 0
		.amdhsa_exception_fp_ieee_inexact 0
		.amdhsa_exception_int_div_zero 0
	.end_amdhsa_kernel
	.section	.text._ZN4vllm38concat_and_cache_mla_rope_fused_kernelIN3c108BFloat16ES2_Lb1EfhLNS_18Fp8KVCacheDataTypeE1EEEvPKlPT_S7_PKS6_PKT0_illlliPT3_S5_iiiiPKf,"axG",@progbits,_ZN4vllm38concat_and_cache_mla_rope_fused_kernelIN3c108BFloat16ES2_Lb1EfhLNS_18Fp8KVCacheDataTypeE1EEEvPKlPT_S7_PKS6_PKT0_illlliPT3_S5_iiiiPKf,comdat
.Lfunc_end70:
	.size	_ZN4vllm38concat_and_cache_mla_rope_fused_kernelIN3c108BFloat16ES2_Lb1EfhLNS_18Fp8KVCacheDataTypeE1EEEvPKlPT_S7_PKS6_PKT0_illlliPT3_S5_iiiiPKf, .Lfunc_end70-_ZN4vllm38concat_and_cache_mla_rope_fused_kernelIN3c108BFloat16ES2_Lb1EfhLNS_18Fp8KVCacheDataTypeE1EEEvPKlPT_S7_PKS6_PKT0_illlliPT3_S5_iiiiPKf
                                        ; -- End function
	.section	.AMDGPU.csdata,"",@progbits
; Kernel info:
; codeLenInByte = 5096
; NumSgprs: 50
; NumVgprs: 21
; ScratchSize: 0
; MemoryBound: 0
; FloatMode: 240
; IeeeMode: 1
; LDSByteSize: 4096 bytes/workgroup (compile time only)
; SGPRBlocks: 6
; VGPRBlocks: 2
; NumSGPRsForWavesPerEU: 50
; NumVGPRsForWavesPerEU: 21
; Occupancy: 16
; WaveLimiterHint : 1
; COMPUTE_PGM_RSRC2:SCRATCH_EN: 0
; COMPUTE_PGM_RSRC2:USER_SGPR: 15
; COMPUTE_PGM_RSRC2:TRAP_HANDLER: 0
; COMPUTE_PGM_RSRC2:TGID_X_EN: 1
; COMPUTE_PGM_RSRC2:TGID_Y_EN: 0
; COMPUTE_PGM_RSRC2:TGID_Z_EN: 0
; COMPUTE_PGM_RSRC2:TIDIG_COMP_CNT: 2
	.section	.text._ZN4vllm38concat_and_cache_mla_rope_fused_kernelIN3c108BFloat16ES2_Lb0EfhLNS_18Fp8KVCacheDataTypeE1EEEvPKlPT_S7_PKS6_PKT0_illlliPT3_S5_iiiiPKf,"axG",@progbits,_ZN4vllm38concat_and_cache_mla_rope_fused_kernelIN3c108BFloat16ES2_Lb0EfhLNS_18Fp8KVCacheDataTypeE1EEEvPKlPT_S7_PKS6_PKT0_illlliPT3_S5_iiiiPKf,comdat
	.protected	_ZN4vllm38concat_and_cache_mla_rope_fused_kernelIN3c108BFloat16ES2_Lb0EfhLNS_18Fp8KVCacheDataTypeE1EEEvPKlPT_S7_PKS6_PKT0_illlliPT3_S5_iiiiPKf ; -- Begin function _ZN4vllm38concat_and_cache_mla_rope_fused_kernelIN3c108BFloat16ES2_Lb0EfhLNS_18Fp8KVCacheDataTypeE1EEEvPKlPT_S7_PKS6_PKT0_illlliPT3_S5_iiiiPKf
	.globl	_ZN4vllm38concat_and_cache_mla_rope_fused_kernelIN3c108BFloat16ES2_Lb0EfhLNS_18Fp8KVCacheDataTypeE1EEEvPKlPT_S7_PKS6_PKT0_illlliPT3_S5_iiiiPKf
	.p2align	8
	.type	_ZN4vllm38concat_and_cache_mla_rope_fused_kernelIN3c108BFloat16ES2_Lb0EfhLNS_18Fp8KVCacheDataTypeE1EEEvPKlPT_S7_PKS6_PKT0_illlliPT3_S5_iiiiPKf,@function
_ZN4vllm38concat_and_cache_mla_rope_fused_kernelIN3c108BFloat16ES2_Lb0EfhLNS_18Fp8KVCacheDataTypeE1EEEvPKlPT_S7_PKS6_PKT0_illlliPT3_S5_iiiiPKf: ; @_ZN4vllm38concat_and_cache_mla_rope_fused_kernelIN3c108BFloat16ES2_Lb0EfhLNS_18Fp8KVCacheDataTypeE1EEEvPKlPT_S7_PKS6_PKT0_illlliPT3_S5_iiiiPKf
; %bb.0:
	s_load_b64 s[6:7], s[2:3], 0x60
	s_mov_b32 s20, s15
	s_mov_b32 s21, 0
	s_delay_alu instid0(SALU_CYCLE_1)
	s_lshl_b64 s[4:5], s[20:21], 3
	s_waitcnt lgkmcnt(0)
	s_add_u32 s6, s6, s4
	s_addc_u32 s7, s7, s5
	s_load_b64 s[28:29], s[6:7], 0x0
	s_waitcnt lgkmcnt(0)
	v_cmp_lt_i64_e64 s6, s[28:29], 0
	s_delay_alu instid0(VALU_DEP_1)
	s_and_b32 vcc_lo, exec_lo, s6
	s_cbranch_vccnz .LBB71_67
; %bb.1:
	s_clause 0x3
	s_load_b32 s21, s[2:3], 0x28
	s_load_b64 s[6:7], s[2:3], 0x0
	s_load_b128 s[16:19], s[2:3], 0x10
	s_load_b32 s25, s[2:3], 0x50
	v_and_b32_e32 v1, 0x3ff, v0
	s_delay_alu instid0(VALU_DEP_1)
	v_lshlrev_b32_e32 v4, 1, v1
	s_waitcnt lgkmcnt(0)
	s_ashr_i32 s30, s21, 31
	s_add_u32 s4, s6, s4
	s_addc_u32 s5, s7, s5
	s_lshr_b32 s6, s21, 31
	s_load_b64 s[4:5], s[4:5], 0x0
	s_clause 0x2
	s_load_b64 s[26:27], s[2:3], 0x20
	s_load_b64 s[22:23], s[2:3], 0x58
	s_load_b256 s[8:15], s[2:3], 0x30
	s_add_i32 s6, s21, s6
	s_delay_alu instid0(SALU_CYCLE_1) | instskip(NEXT) | instid1(SALU_CYCLE_1)
	s_ashr_i32 s24, s6, 1
	s_mul_i32 s7, s24, s25
	s_waitcnt lgkmcnt(0)
	s_mul_i32 s6, s4, s30
	s_mul_hi_u32 s25, s4, s21
	s_mul_i32 s5, s5, s21
	s_add_i32 s6, s25, s6
	s_mul_i32 s30, s4, s21
	s_add_i32 s31, s6, s5
	s_mov_b32 s21, exec_lo
	v_cmpx_gt_i32_e64 s7, v1
	s_cbranch_execz .LBB71_4
; %bb.2:
	s_load_b64 s[4:5], s[2:3], 0x8
	s_lshl_b64 s[34:35], s[30:31], 1
	s_mul_i32 s6, s20, s9
	s_mul_hi_u32 s9, s20, s8
	s_add_u32 s33, s26, s34
	s_mul_i32 s8, s20, s8
	s_addc_u32 s34, s27, s35
	s_add_i32 s9, s9, s6
	s_load_b32 s6, s[2:3], 0x8c
	s_lshl_b64 s[8:9], s[8:9], 1
	s_ashr_i32 s25, s24, 31
	s_mov_b32 s38, 0
	s_waitcnt lgkmcnt(0)
	s_add_u32 s35, s4, s8
	s_addc_u32 s36, s5, s9
	s_abs_i32 s37, s24
	s_sub_i32 s40, 0, s24
	v_cvt_f32_u32_e32 v2, s37
	s_sub_i32 s4, 0, s37
	s_lshl_b64 s[8:9], s[24:25], 1
	s_and_b32 s39, s6, 0xffff
	s_delay_alu instid0(VALU_DEP_1) | instskip(SKIP_3) | instid1(VALU_DEP_1)
	v_rcp_iflag_f32_e32 v2, v2
	s_lshl_b32 s42, s39, 1
	s_waitcnt_depctr 0xfff
	v_mul_f32_e32 v2, 0x4f7ffffe, v2
	v_cvt_u32_f32_e32 v3, v2
	s_delay_alu instid0(VALU_DEP_1) | instskip(SKIP_1) | instid1(SALU_CYCLE_1)
	v_mul_lo_u32 v2, s4, v3
	s_lshl_b32 s4, s24, 1
	s_sub_i32 s41, 0, s4
	s_delay_alu instid0(VALU_DEP_1) | instskip(NEXT) | instid1(VALU_DEP_1)
	v_mul_hi_u32 v5, v3, v2
	v_dual_mov_b32 v2, v4 :: v_dual_add_nc_u32 v5, v3, v5
	v_mov_b32_e32 v3, v1
.LBB71_3:                               ; =>This Inner Loop Header: Depth=1
	s_delay_alu instid0(VALU_DEP_1) | instskip(SKIP_1) | instid1(VALU_DEP_2)
	v_sub_nc_u32_e32 v6, 0, v3
	v_ashrrev_i32_e32 v7, 31, v3
	v_max_i32_e32 v6, v3, v6
	s_delay_alu instid0(VALU_DEP_2) | instskip(NEXT) | instid1(VALU_DEP_2)
	v_xor_b32_e32 v7, s25, v7
	v_mul_hi_u32 v8, v6, v5
	s_delay_alu instid0(VALU_DEP_1) | instskip(SKIP_1) | instid1(VALU_DEP_2)
	v_mul_lo_u32 v9, v8, s37
	v_add_nc_u32_e32 v10, 1, v8
	v_sub_nc_u32_e32 v6, v6, v9
	s_delay_alu instid0(VALU_DEP_1) | instskip(SKIP_1) | instid1(VALU_DEP_4)
	v_subrev_nc_u32_e32 v9, s37, v6
	v_cmp_le_u32_e32 vcc_lo, s37, v6
	v_cndmask_b32_e32 v8, v8, v10, vcc_lo
	s_delay_alu instid0(VALU_DEP_1) | instskip(NEXT) | instid1(VALU_DEP_1)
	v_dual_cndmask_b32 v6, v6, v9 :: v_dual_add_nc_u32 v9, 1, v8
	v_cmp_le_u32_e32 vcc_lo, s37, v6
	s_delay_alu instid0(VALU_DEP_2) | instskip(NEXT) | instid1(VALU_DEP_1)
	v_cndmask_b32_e32 v6, v8, v9, vcc_lo
	v_xor_b32_e32 v6, v6, v7
	s_delay_alu instid0(VALU_DEP_1) | instskip(NEXT) | instid1(VALU_DEP_1)
	v_sub_nc_u32_e32 v12, v6, v7
	v_mad_u64_u32 v[6:7], null, s40, v12, v[3:4]
	v_ashrrev_i32_e32 v7, 31, v12
	v_mul_lo_u32 v13, v12, s11
	v_mad_u64_u32 v[8:9], null, v12, s10, 0
	v_mad_u64_u32 v[10:11], null, s41, v12, v[2:3]
	s_delay_alu instid0(VALU_DEP_4) | instskip(SKIP_3) | instid1(VALU_DEP_3)
	v_mul_lo_u32 v12, v7, s10
	v_ashrrev_i32_e32 v7, 31, v6
	v_add_nc_u32_e32 v3, s39, v3
	v_add_nc_u32_e32 v2, s42, v2
	v_lshlrev_b64 v[6:7], 1, v[6:7]
	v_ashrrev_i32_e32 v11, 31, v10
	v_add3_u32 v9, v9, v13, v12
	s_delay_alu instid0(VALU_DEP_3) | instskip(NEXT) | instid1(VALU_DEP_2)
	v_add_co_u32 v6, vcc_lo, s33, v6
	v_lshlrev_b64 v[8:9], 1, v[8:9]
	v_add_co_ci_u32_e32 v7, vcc_lo, s34, v7, vcc_lo
	s_delay_alu instid0(VALU_DEP_3) | instskip(SKIP_1) | instid1(VALU_DEP_3)
	v_add_co_u32 v12, vcc_lo, v6, s8
	v_lshlrev_b64 v[10:11], 1, v[10:11]
	v_add_co_ci_u32_e32 v13, vcc_lo, s9, v7, vcc_lo
	v_add_co_u32 v8, vcc_lo, s35, v8
	v_add_co_ci_u32_e32 v9, vcc_lo, s36, v9, vcc_lo
	global_load_u16 v14, v[6:7], off
	v_add_co_u32 v6, vcc_lo, v8, v10
	v_add_co_ci_u32_e32 v7, vcc_lo, v9, v11, vcc_lo
	global_load_u16 v8, v[12:13], off
	global_load_b32 v9, v[6:7], off
	s_waitcnt vmcnt(2)
	v_lshlrev_b32_e32 v10, 16, v14
	s_waitcnt vmcnt(1)
	v_lshlrev_b32_e32 v8, 16, v8
	s_waitcnt vmcnt(0)
	v_and_b32_e32 v11, 0xffff0000, v9
	s_delay_alu instid0(VALU_DEP_1) | instskip(NEXT) | instid1(VALU_DEP_1)
	v_dual_mul_f32 v12, v8, v11 :: v_dual_lshlrev_b32 v9, 16, v9
	v_dual_mul_f32 v8, v9, v8 :: v_dual_mul_f32 v11, v10, v11
	s_delay_alu instid0(VALU_DEP_2) | instskip(NEXT) | instid1(VALU_DEP_2)
	v_cmp_o_f32_e32 vcc_lo, v12, v12
	v_bfe_u32 v15, v8, 16, 1
	s_delay_alu instid0(VALU_DEP_3) | instskip(SKIP_1) | instid1(VALU_DEP_3)
	v_bfe_u32 v13, v11, 16, 1
	v_cmp_o_f32_e64 s6, v11, v11
	v_add3_u32 v15, v8, v15, 0x7fff
	v_mul_f32_e32 v10, v10, v9
	v_bfe_u32 v9, v12, 16, 1
	v_add3_u32 v13, v11, v13, 0x7fff
	s_delay_alu instid0(VALU_DEP_4) | instskip(NEXT) | instid1(VALU_DEP_4)
	v_and_b32_e32 v15, 0xffff0000, v15
	v_bfe_u32 v14, v10, 16, 1
	s_delay_alu instid0(VALU_DEP_4) | instskip(SKIP_1) | instid1(VALU_DEP_3)
	v_add3_u32 v9, v12, v9, 0x7fff
	v_cmp_o_f32_e64 s5, v10, v10
	v_add3_u32 v14, v10, v14, 0x7fff
	s_delay_alu instid0(VALU_DEP_3) | instskip(SKIP_1) | instid1(VALU_DEP_3)
	v_and_b32_e32 v9, 0xffff0000, v9
	v_cmp_o_f32_e64 s4, v8, v8
	v_and_b32_e32 v14, 0xffff0000, v14
	s_delay_alu instid0(VALU_DEP_3) | instskip(NEXT) | instid1(VALU_DEP_3)
	v_cndmask_b32_e32 v9, 0x7fc00000, v9, vcc_lo
	v_cndmask_b32_e64 v11, 0x7fc00000, v15, s4
	v_and_b32_e32 v13, 0xffff0000, v13
	s_delay_alu instid0(VALU_DEP_4) | instskip(NEXT) | instid1(VALU_DEP_2)
	v_cndmask_b32_e64 v10, 0x7fc00000, v14, s5
	v_cndmask_b32_e64 v8, 0x7fc00000, v13, s6
	s_delay_alu instid0(VALU_DEP_1) | instskip(NEXT) | instid1(VALU_DEP_1)
	v_dual_sub_f32 v9, v10, v9 :: v_dual_add_f32 v8, v11, v8
	v_bfe_u32 v10, v9, 16, 1
	v_cmp_o_f32_e64 s4, v9, v9
	s_delay_alu instid0(VALU_DEP_3) | instskip(SKIP_1) | instid1(VALU_DEP_4)
	v_bfe_u32 v11, v8, 16, 1
	v_cmp_o_f32_e32 vcc_lo, v8, v8
	v_add3_u32 v10, v9, v10, 0x7fff
	s_delay_alu instid0(VALU_DEP_3) | instskip(NEXT) | instid1(VALU_DEP_2)
	v_add3_u32 v11, v8, v11, 0x7fff
	v_lshrrev_b32_e32 v10, 16, v10
	s_delay_alu instid0(VALU_DEP_2) | instskip(NEXT) | instid1(VALU_DEP_2)
	v_lshrrev_b32_e32 v11, 16, v11
	v_cndmask_b32_e64 v8, 0x7fc0, v10, s4
	s_delay_alu instid0(VALU_DEP_2) | instskip(SKIP_1) | instid1(VALU_DEP_2)
	v_cndmask_b32_e32 v9, 0x7fc0, v11, vcc_lo
	v_cmp_le_i32_e32 vcc_lo, s7, v3
	v_perm_b32 v8, v9, v8, 0x5040100
	s_or_b32 s38, vcc_lo, s38
	global_store_b32 v[6:7], v8, off
	s_and_not1_b32 exec_lo, exec_lo, s38
	s_cbranch_execnz .LBB71_3
.LBB71_4:
	s_or_b32 exec_lo, exec_lo, s21
	s_load_b128 s[4:7], s[2:3], 0x68
	s_waitcnt lgkmcnt(0)
	s_ashr_i32 s35, s7, 31
	s_mov_b32 s34, s7
	s_delay_alu instid0(SALU_CYCLE_1) | instskip(SKIP_1) | instid1(SALU_CYCLE_1)
	s_or_b64 s[10:11], s[28:29], s[34:35]
	s_mov_b32 s10, 0
	s_cmp_lg_u64 s[10:11], 0
	s_cbranch_scc0 .LBB71_68
; %bb.5:
	s_add_u32 s36, s34, s35
	s_mov_b32 s8, s35
	s_mov_b32 s9, s35
	s_addc_u32 s37, s35, s35
	s_delay_alu instid0(SALU_CYCLE_1) | instskip(NEXT) | instid1(SALU_CYCLE_1)
	s_xor_b64 s[36:37], s[36:37], s[8:9]
	v_cvt_f32_u32_e32 v2, s36
	v_cvt_f32_u32_e32 v3, s37
	s_sub_u32 s21, 0, s36
	s_subb_u32 s25, 0, s37
	s_delay_alu instid0(VALU_DEP_1) | instskip(NEXT) | instid1(VALU_DEP_1)
	v_fmamk_f32 v2, v3, 0x4f800000, v2
	v_rcp_f32_e32 v2, v2
	s_waitcnt_depctr 0xfff
	v_mul_f32_e32 v2, 0x5f7ffffc, v2
	s_delay_alu instid0(VALU_DEP_1) | instskip(NEXT) | instid1(VALU_DEP_1)
	v_mul_f32_e32 v3, 0x2f800000, v2
	v_trunc_f32_e32 v3, v3
	s_delay_alu instid0(VALU_DEP_1) | instskip(SKIP_1) | instid1(VALU_DEP_2)
	v_fmamk_f32 v2, v3, 0xcf800000, v2
	v_cvt_u32_f32_e32 v3, v3
	v_cvt_u32_f32_e32 v2, v2
	s_delay_alu instid0(VALU_DEP_2) | instskip(NEXT) | instid1(VALU_DEP_2)
	v_readfirstlane_b32 s7, v3
	v_readfirstlane_b32 s11, v2
	s_delay_alu instid0(VALU_DEP_2) | instskip(NEXT) | instid1(VALU_DEP_1)
	s_mul_i32 s33, s21, s7
	s_mul_hi_u32 s39, s21, s11
	s_mul_i32 s38, s25, s11
	s_add_i32 s33, s39, s33
	s_mul_i32 s40, s21, s11
	s_add_i32 s33, s33, s38
	s_mul_hi_u32 s39, s11, s40
	s_mul_hi_u32 s41, s7, s40
	s_mul_i32 s38, s7, s40
	s_mul_hi_u32 s40, s11, s33
	s_mul_i32 s11, s11, s33
	s_mul_hi_u32 s42, s7, s33
	s_add_u32 s11, s39, s11
	s_addc_u32 s39, 0, s40
	s_add_u32 s11, s11, s38
	s_mul_i32 s33, s7, s33
	s_addc_u32 s11, s39, s41
	s_addc_u32 s38, s42, 0
	s_add_u32 s11, s11, s33
	s_addc_u32 s33, 0, s38
	v_add_co_u32 v2, s11, v2, s11
	s_delay_alu instid0(VALU_DEP_1) | instskip(SKIP_1) | instid1(VALU_DEP_1)
	s_cmp_lg_u32 s11, 0
	s_addc_u32 s7, s7, s33
	v_readfirstlane_b32 s11, v2
	s_mul_i32 s33, s21, s7
	s_delay_alu instid0(VALU_DEP_1)
	s_mul_hi_u32 s38, s21, s11
	s_mul_i32 s25, s25, s11
	s_add_i32 s33, s38, s33
	s_mul_i32 s21, s21, s11
	s_add_i32 s33, s33, s25
	s_mul_hi_u32 s38, s7, s21
	s_mul_i32 s39, s7, s21
	s_mul_hi_u32 s21, s11, s21
	s_mul_hi_u32 s40, s11, s33
	s_mul_i32 s11, s11, s33
	s_mul_hi_u32 s25, s7, s33
	s_add_u32 s11, s21, s11
	s_addc_u32 s21, 0, s40
	s_add_u32 s11, s11, s39
	s_mul_i32 s33, s7, s33
	s_addc_u32 s11, s21, s38
	s_addc_u32 s21, s25, 0
	s_add_u32 s11, s11, s33
	s_addc_u32 s21, 0, s21
	v_add_co_u32 v2, s11, v2, s11
	s_delay_alu instid0(VALU_DEP_1) | instskip(SKIP_2) | instid1(VALU_DEP_1)
	s_cmp_lg_u32 s11, 0
	s_addc_u32 s7, s7, s21
	s_ashr_i32 s38, s29, 31
	v_readfirstlane_b32 s11, v2
	s_add_u32 s40, s28, s38
	s_mov_b32 s39, s38
	s_addc_u32 s41, s29, s38
	s_delay_alu instid0(SALU_CYCLE_1) | instskip(NEXT) | instid1(SALU_CYCLE_1)
	s_xor_b64 s[40:41], s[40:41], s[38:39]
	s_mul_i32 s25, s40, s7
	s_mul_hi_u32 s33, s40, s11
	s_mul_hi_u32 s21, s40, s7
	s_mul_hi_u32 s43, s41, s11
	s_mul_i32 s11, s41, s11
	s_add_u32 s25, s33, s25
	s_addc_u32 s21, 0, s21
	s_mul_hi_u32 s42, s41, s7
	s_add_u32 s11, s25, s11
	s_mul_i32 s7, s41, s7
	s_addc_u32 s11, s21, s43
	s_addc_u32 s21, s42, 0
	s_add_u32 s7, s11, s7
	s_addc_u32 s11, 0, s21
	s_mul_hi_u32 s21, s36, s7
	s_mul_i32 s33, s36, s11
	s_mul_i32 s42, s36, s7
	s_add_i32 s21, s21, s33
	v_sub_co_u32 v2, s33, s40, s42
	s_mul_i32 s25, s37, s7
	s_delay_alu instid0(SALU_CYCLE_1) | instskip(NEXT) | instid1(VALU_DEP_1)
	s_add_i32 s21, s21, s25
	v_sub_co_u32 v3, s40, v2, s36
	s_sub_i32 s25, s41, s21
	s_cmp_lg_u32 s33, 0
	s_subb_u32 s25, s25, s37
	s_cmp_lg_u32 s40, 0
	v_readfirstlane_b32 s40, v3
	s_subb_u32 s25, s25, 0
	s_delay_alu instid0(SALU_CYCLE_1) | instskip(SKIP_1) | instid1(VALU_DEP_1)
	s_cmp_ge_u32 s25, s37
	s_cselect_b32 s42, -1, 0
	s_cmp_ge_u32 s40, s36
	s_cselect_b32 s40, -1, 0
	s_cmp_eq_u32 s25, s37
	s_cselect_b32 s25, s40, s42
	s_add_u32 s40, s7, 1
	s_addc_u32 s42, s11, 0
	s_add_u32 s43, s7, 2
	s_addc_u32 s44, s11, 0
	s_cmp_lg_u32 s25, 0
	s_cselect_b32 s25, s43, s40
	s_cselect_b32 s40, s44, s42
	s_cmp_lg_u32 s33, 0
	v_readfirstlane_b32 s33, v2
	s_subb_u32 s21, s41, s21
	s_delay_alu instid0(SALU_CYCLE_1) | instskip(SKIP_1) | instid1(VALU_DEP_1)
	s_cmp_ge_u32 s21, s37
	s_cselect_b32 s41, -1, 0
	s_cmp_ge_u32 s33, s36
	s_cselect_b32 s33, -1, 0
	s_cmp_eq_u32 s21, s37
	s_cselect_b32 s21, s33, s41
	s_delay_alu instid0(SALU_CYCLE_1) | instskip(SKIP_3) | instid1(SALU_CYCLE_1)
	s_cmp_lg_u32 s21, 0
	s_cselect_b32 s37, s40, s11
	s_cselect_b32 s36, s25, s7
	s_xor_b64 s[8:9], s[38:39], s[8:9]
	s_xor_b64 s[36:37], s[36:37], s[8:9]
	s_delay_alu instid0(SALU_CYCLE_1)
	s_sub_u32 s8, s36, s8
	s_subb_u32 s9, s37, s9
	s_and_not1_b32 vcc_lo, exec_lo, s10
	s_cbranch_vccnz .LBB71_7
.LBB71_6:
	v_cvt_f32_u32_e32 v2, s34
	s_sub_i32 s8, 0, s34
	s_delay_alu instid0(VALU_DEP_1) | instskip(SKIP_2) | instid1(VALU_DEP_1)
	v_rcp_iflag_f32_e32 v2, v2
	s_waitcnt_depctr 0xfff
	v_mul_f32_e32 v2, 0x4f7ffffe, v2
	v_cvt_u32_f32_e32 v2, v2
	s_delay_alu instid0(VALU_DEP_1) | instskip(NEXT) | instid1(VALU_DEP_1)
	v_readfirstlane_b32 s7, v2
	s_mul_i32 s8, s8, s7
	s_delay_alu instid0(SALU_CYCLE_1) | instskip(NEXT) | instid1(SALU_CYCLE_1)
	s_mul_hi_u32 s8, s7, s8
	s_add_i32 s7, s7, s8
	s_delay_alu instid0(SALU_CYCLE_1) | instskip(NEXT) | instid1(SALU_CYCLE_1)
	s_mul_hi_u32 s7, s28, s7
	s_mul_i32 s8, s7, s34
	s_add_i32 s9, s7, 1
	s_sub_i32 s8, s28, s8
	s_delay_alu instid0(SALU_CYCLE_1)
	s_sub_i32 s10, s8, s34
	s_cmp_ge_u32 s8, s34
	s_cselect_b32 s7, s9, s7
	s_cselect_b32 s8, s10, s8
	s_add_i32 s10, s7, 1
	s_cmp_ge_u32 s8, s34
	s_mov_b32 s9, 0
	s_cselect_b32 s8, s10, s7
.LBB71_7:
	s_load_b64 s[10:11], s[2:3], 0x78
	s_mul_i32 s7, s8, s35
	s_mul_hi_u32 s21, s8, s34
	s_mul_i32 s25, s8, s34
	s_add_i32 s7, s21, s7
	s_mul_i32 s21, s9, s34
	s_mul_i32 s33, s9, s4
	s_add_i32 s21, s7, s21
	s_sub_u32 s7, s28, s25
	s_subb_u32 s21, s29, s21
	s_mul_hi_u32 s29, s8, s4
	s_mul_i32 s34, s8, s4
	s_mul_hi_u32 s28, s7, s5
	s_mul_i32 s9, s21, s5
	s_mul_i32 s21, s7, s5
	s_mov_b32 s35, exec_lo
	v_cmpx_gt_i32_e64 s24, v1
	s_cbranch_execz .LBB71_46
; %bb.8:
	s_load_b64 s[36:37], s[0:1], 0x4
	s_load_b32 s0, s[2:3], 0x8c
	s_ashr_i32 s41, s4, 31
	s_ashr_i32 s42, s5, 31
	s_lshl_b64 s[38:39], s[30:31], 1
	s_mul_hi_u32 s31, s12, s20
	s_mul_i32 s40, s12, s20
	s_mul_i32 s12, s8, s41
	;; [unrolled: 1-line block ×3, first 2 shown]
	s_add_i32 s12, s29, s12
	s_add_i32 s30, s28, s30
	v_bfe_u32 v2, v0, 10, 10
	s_ashr_i32 s25, s24, 31
	s_ashr_i32 s43, s6, 31
	s_mul_i32 s13, s13, s20
	s_add_i32 s42, s12, s33
	s_add_i32 s44, s30, s9
	v_lshlrev_b32_e32 v5, 2, v1
	v_bfe_u32 v0, v0, 20, 10
	s_waitcnt lgkmcnt(0)
	s_load_b32 s1, s[10:11], 0x0
	s_lshr_b32 s36, s36, 16
	s_and_b32 s30, s0, 0xffff
	s_mul_i32 s36, s36, s37
	s_add_u32 s0, s26, s38
	v_mul_lo_u32 v3, s36, v1
	s_addc_u32 s27, s27, s39
	s_add_i32 s41, s31, s13
	s_lshl_b32 s26, s30, 1
	s_lshl_b64 s[38:39], s[40:41], 1
	s_lshl_b64 s[12:13], s[24:25], 1
	v_mov_b32_e32 v15, v1
	v_mov_b32_e32 v9, 0
	v_mad_u32_u24 v6, v2, s37, v3
	v_add_co_u32 v2, s0, s0, v4
	s_delay_alu instid0(VALU_DEP_1)
	v_add_co_ci_u32_e64 v3, null, s27, 0, s0
	s_add_u32 s0, s16, s38
	s_addc_u32 s16, s17, s39
	v_add_co_u32 v5, s0, s0, v5
	v_add_lshl_u32 v0, v6, v0, 1
	v_add_co_ci_u32_e64 v6, null, s16, 0, s0
	s_lshl_b32 s16, s30, 2
	s_add_u32 s0, s34, s21
	s_addc_u32 s17, s42, s44
	s_add_u32 s25, s22, s6
	s_addc_u32 s27, s23, s43
	s_add_u32 s0, s25, s0
	s_addc_u32 s17, s27, s17
	v_add_co_u32 v7, s0, s0, v4
	s_delay_alu instid0(VALU_DEP_1) | instskip(SKIP_2) | instid1(VALU_DEP_4)
	v_add_co_ci_u32_e64 v8, null, s17, 0, s0
	v_add_co_u32 v4, vcc_lo, v5, 2
	v_add_co_ci_u32_e32 v5, vcc_lo, 0, v6, vcc_lo
	v_add_co_u32 v6, vcc_lo, v7, 1
	v_add_nc_u32_e32 v14, 0x800, v0
	v_add_co_ci_u32_e32 v7, vcc_lo, 0, v8, vcc_lo
	s_mov_b32 s17, 0
	s_branch .LBB71_10
.LBB71_9:                               ;   in Loop: Header=BB71_10 Depth=1
	s_or_b32 exec_lo, exec_lo, s0
	v_add_co_u32 v2, vcc_lo, v2, s26
	v_add_nc_u32_e32 v15, s30, v15
	v_add_co_ci_u32_e32 v3, vcc_lo, 0, v3, vcc_lo
	v_add_co_u32 v4, vcc_lo, v4, s16
	v_add_co_ci_u32_e32 v5, vcc_lo, 0, v5, vcc_lo
	global_store_b8 v[6:7], v12, off
	v_cmp_le_i32_e32 vcc_lo, s24, v15
	v_add_co_u32 v6, s0, v6, s26
	s_delay_alu instid0(VALU_DEP_1) | instskip(SKIP_1) | instid1(SALU_CYCLE_1)
	v_add_co_ci_u32_e64 v7, s0, 0, v7, s0
	s_or_b32 s17, vcc_lo, s17
	s_and_not1_b32 exec_lo, exec_lo, s17
	s_cbranch_execz .LBB71_46
.LBB71_10:                              ; =>This Inner Loop Header: Depth=1
	v_add_co_u32 v10, vcc_lo, v2, s12
	v_add_co_ci_u32_e32 v11, vcc_lo, s13, v3, vcc_lo
	global_load_u16 v8, v[2:3], off
	global_load_b32 v12, v[4:5], off offset:-2
	global_load_u16 v10, v[10:11], off
	s_waitcnt vmcnt(2)
	v_lshlrev_b32_e32 v8, 16, v8
	s_waitcnt vmcnt(1)
	v_lshlrev_b32_e32 v11, 16, v12
	s_delay_alu instid0(VALU_DEP_1) | instskip(NEXT) | instid1(VALU_DEP_1)
	v_dual_mul_f32 v13, v8, v11 :: v_dual_and_b32 v12, 0xffff0000, v12
	v_bfe_u32 v17, v13, 16, 1
	v_cmp_o_f32_e32 vcc_lo, v13, v13
	s_delay_alu instid0(VALU_DEP_2) | instskip(NEXT) | instid1(VALU_DEP_1)
	v_add3_u32 v17, v13, v17, 0x7fff
	v_and_b32_e32 v17, 0xffff0000, v17
	s_delay_alu instid0(VALU_DEP_1) | instskip(SKIP_2) | instid1(VALU_DEP_1)
	v_dual_cndmask_b32 v13, 0x7fc00000, v17 :: v_dual_mul_f32 v8, v8, v12
	s_waitcnt vmcnt(0)
	v_lshlrev_b32_e32 v10, 16, v10
	v_mul_f32_e32 v16, v10, v12
	s_delay_alu instid0(VALU_DEP_3) | instskip(NEXT) | instid1(VALU_DEP_2)
	v_bfe_u32 v12, v8, 16, 1
	v_bfe_u32 v18, v16, 16, 1
	v_cmp_o_f32_e32 vcc_lo, v16, v16
	s_delay_alu instid0(VALU_DEP_3) | instskip(NEXT) | instid1(VALU_DEP_3)
	v_add3_u32 v12, v8, v12, 0x7fff
	v_add3_u32 v18, v16, v18, 0x7fff
	s_delay_alu instid0(VALU_DEP_2) | instskip(NEXT) | instid1(VALU_DEP_2)
	v_and_b32_e32 v12, 0xffff0000, v12
	v_and_b32_e32 v18, 0xffff0000, v18
	s_delay_alu instid0(VALU_DEP_1) | instskip(NEXT) | instid1(VALU_DEP_1)
	v_cndmask_b32_e32 v16, 0x7fc00000, v18, vcc_lo
	v_dual_sub_f32 v13, v13, v16 :: v_dual_mul_f32 v10, v11, v10
	s_delay_alu instid0(VALU_DEP_1) | instskip(SKIP_1) | instid1(VALU_DEP_2)
	v_bfe_u32 v16, v13, 16, 1
	v_cmp_o_f32_e32 vcc_lo, v13, v13
	v_add3_u32 v16, v13, v16, 0x7fff
	s_delay_alu instid0(VALU_DEP_1) | instskip(NEXT) | instid1(VALU_DEP_1)
	v_lshrrev_b32_e32 v16, 16, v16
	v_cndmask_b32_e32 v13, 0x7fc0, v16, vcc_lo
	v_cmp_o_f32_e32 vcc_lo, v8, v8
	v_bfe_u32 v16, v10, 16, 1
	ds_store_b16 v14, v13
	ds_load_b32 v17, v14
	v_cndmask_b32_e32 v8, 0x7fc00000, v12, vcc_lo
	v_add3_u32 v16, v10, v16, 0x7fff
	v_cmp_o_f32_e32 vcc_lo, v10, v10
	s_delay_alu instid0(VALU_DEP_2) | instskip(NEXT) | instid1(VALU_DEP_1)
	v_and_b32_e32 v16, 0xffff0000, v16
	v_cndmask_b32_e32 v10, 0x7fc00000, v16, vcc_lo
	s_delay_alu instid0(VALU_DEP_1) | instskip(SKIP_3) | instid1(VALU_DEP_3)
	v_add_f32_e32 v8, v10, v8
	s_waitcnt lgkmcnt(0)
	v_div_scale_f32 v11, null, s1, s1, v17
	v_div_scale_f32 v12, vcc_lo, v17, s1, v17
	v_bfe_u32 v16, v8, 16, 1
	s_delay_alu instid0(VALU_DEP_3) | instskip(SKIP_1) | instid1(VALU_DEP_2)
	v_rcp_f32_e32 v18, v11
	v_cmp_o_f32_e64 s0, v8, v8
	v_add3_u32 v16, v8, v16, 0x7fff
	s_delay_alu instid0(VALU_DEP_1) | instskip(SKIP_3) | instid1(VALU_DEP_2)
	v_lshrrev_b32_e32 v16, 16, v16
	s_waitcnt_depctr 0xfff
	v_fma_f32 v19, -v11, v18, 1.0
	v_cndmask_b32_e64 v8, 0x7fc0, v16, s0
	v_fmac_f32_e32 v18, v19, v18
	s_mov_b32 s0, exec_lo
	ds_store_b16 v0, v8
	v_mul_f32_e32 v10, v12, v18
	ds_load_b32 v16, v0
	v_perm_b32 v13, v8, v13, 0x5040100
	v_fma_f32 v19, -v11, v10, v12
	global_store_b32 v[4:5], v13, off offset:-2
	v_dual_fmac_f32 v10, v19, v18 :: v_dual_mov_b32 v19, v9
	s_delay_alu instid0(VALU_DEP_1) | instskip(NEXT) | instid1(VALU_DEP_1)
	v_fma_f32 v11, -v11, v10, v12
	v_div_fmas_f32 v10, v11, v18, v10
	s_delay_alu instid0(VALU_DEP_1) | instskip(NEXT) | instid1(VALU_DEP_1)
	v_div_fixup_f32 v10, v10, s1, v17
	v_lshrrev_b32_e32 v12, 24, v10
	v_and_b32_e32 v18, 0x7f800000, v10
	v_and_b32_e32 v8, 0x7fffff, v10
	s_delay_alu instid0(VALU_DEP_3) | instskip(NEXT) | instid1(VALU_DEP_1)
	v_and_b32_e32 v17, 0x80, v12
	v_or_b32_e32 v11, 0x7e, v17
	s_delay_alu instid0(VALU_DEP_4)
	v_cmpx_ne_u64_e32 0x7f800000, v[18:19]
	s_xor_b32 s25, exec_lo, s0
	s_cbranch_execz .LBB71_26
; %bb.11:                               ;   in Loop: Header=BB71_10 Depth=1
	v_dual_mov_b32 v13, v9 :: v_dual_and_b32 v12, 0x7fffffff, v10
	s_mov_b32 s0, exec_lo
	s_delay_alu instid0(VALU_DEP_1)
	v_cmpx_gt_u64_e32 0x43e00001, v[12:13]
	s_xor_b32 s27, exec_lo, s0
	s_cbranch_execz .LBB71_25
; %bb.12:                               ;   in Loop: Header=BB71_10 Depth=1
	v_mov_b32_e32 v11, 0
	s_mov_b32 s31, exec_lo
	v_cmpx_ne_u32_e32 0, v10
	s_cbranch_execz .LBB71_24
; %bb.13:                               ;   in Loop: Header=BB71_10 Depth=1
	v_bfe_u32 v18, v10, 23, 8
	v_or_b32_e32 v12, 0x800000, v8
	s_delay_alu instid0(VALU_DEP_2) | instskip(SKIP_1) | instid1(VALU_DEP_2)
	v_sub_nc_u32_e32 v10, 0x79, v18
	v_cmp_gt_u32_e32 vcc_lo, 0x7a, v18
	v_cndmask_b32_e32 v10, 0, v10, vcc_lo
	v_cmp_eq_u32_e32 vcc_lo, 0, v18
	s_delay_alu instid0(VALU_DEP_2) | instskip(SKIP_1) | instid1(VALU_DEP_2)
	v_cndmask_b32_e64 v19, v10, 0x78, vcc_lo
	v_cndmask_b32_e32 v8, v12, v8, vcc_lo
	v_add_nc_u32_e32 v10, 20, v19
	v_add_nc_u32_e32 v12, 19, v19
	s_delay_alu instid0(VALU_DEP_2) | instskip(NEXT) | instid1(VALU_DEP_2)
	v_lshlrev_b64 v[10:11], v10, -1
	v_lshlrev_b64 v[12:13], v12, 1
	s_delay_alu instid0(VALU_DEP_2) | instskip(NEXT) | instid1(VALU_DEP_3)
	v_not_b32_e32 v11, v11
	v_not_b32_e32 v10, v10
	s_delay_alu instid0(VALU_DEP_2) | instskip(NEXT) | instid1(VALU_DEP_2)
	v_and_b32_e32 v21, 0, v11
	v_and_b32_e32 v20, v8, v10
	v_lshrrev_b64 v[10:11], v19, v[8:9]
	s_delay_alu instid0(VALU_DEP_2) | instskip(NEXT) | instid1(VALU_DEP_2)
	v_cmp_eq_u64_e64 s0, v[20:21], v[12:13]
	v_dual_mov_b32 v13, v11 :: v_dual_mov_b32 v12, v10
	s_delay_alu instid0(VALU_DEP_2)
	s_and_saveexec_b32 s36, s0
; %bb.14:                               ;   in Loop: Header=BB71_10 Depth=1
	v_bfe_u32 v8, v10, 20, 1
	s_delay_alu instid0(VALU_DEP_1) | instskip(NEXT) | instid1(VALU_DEP_1)
	v_add_co_u32 v8, s0, v10, v8
	v_add_co_u32 v12, s0, v8, -1
; %bb.15:                               ;   in Loop: Header=BB71_10 Depth=1
	s_or_b32 exec_lo, exec_lo, s36
	v_add_nc_u32_e32 v8, 0xffffff81, v18
	v_lshrrev_b32_e32 v13, 23, v10
	s_mov_b32 s0, exec_lo
	s_delay_alu instid0(VALU_DEP_2) | instskip(NEXT) | instid1(VALU_DEP_1)
	v_cndmask_b32_e64 v8, v8, 0xffffff82, vcc_lo
	v_add3_u32 v13, v19, v8, v13
	v_and_b32_e32 v8, 0xfffff, v12
	s_delay_alu instid0(VALU_DEP_2) | instskip(NEXT) | instid1(VALU_DEP_2)
	v_add_nc_u32_e32 v12, 6, v13
	v_add_co_u32 v10, vcc_lo, v8, v10
	v_add_co_ci_u32_e32 v11, vcc_lo, 0, v11, vcc_lo
                                        ; implicit-def: $vgpr8
	s_delay_alu instid0(VALU_DEP_3)
	v_cmpx_ne_u32_e32 0, v12
	s_xor_b32 s0, exec_lo, s0
; %bb.16:                               ;   in Loop: Header=BB71_10 Depth=1
	s_delay_alu instid0(VALU_DEP_2) | instskip(SKIP_1) | instid1(VALU_DEP_1)
	v_cmp_lt_u64_e32 vcc_lo, 0xffffff, v[10:11]
	v_add_nc_u32_e32 v8, 7, v13
	v_cndmask_b32_e32 v8, v12, v8, vcc_lo
	v_cndmask_b32_e64 v12, 0, 1, vcc_lo
	s_delay_alu instid0(VALU_DEP_1)
	v_lshrrev_b64 v[10:11], v12, v[10:11]
; %bb.17:                               ;   in Loop: Header=BB71_10 Depth=1
	s_and_not1_saveexec_b32 s0, s0
; %bb.18:                               ;   in Loop: Header=BB71_10 Depth=1
	s_delay_alu instid0(VALU_DEP_1)
	v_bfe_u32 v8, v10, 23, 1
; %bb.19:                               ;   in Loop: Header=BB71_10 Depth=1
	s_or_b32 exec_lo, exec_lo, s0
	s_delay_alu instid0(VALU_DEP_2) | instskip(NEXT) | instid1(VALU_DEP_2)
	v_lshrrev_b64 v[10:11], 20, v[10:11]
	v_cmp_gt_i32_e32 vcc_lo, 16, v8
	v_cmp_ne_u32_e64 s0, 0, v8
	s_delay_alu instid0(VALU_DEP_3) | instskip(NEXT) | instid1(VALU_DEP_1)
	v_dual_cndmask_b32 v11, 0, v11 :: v_dual_cndmask_b32 v10, 7, v10
	v_cmp_ne_u64_e32 vcc_lo, 0, v[10:11]
                                        ; implicit-def: $vgpr11
	s_delay_alu instid0(VALU_DEP_3) | instskip(NEXT) | instid1(SALU_CYCLE_1)
	s_or_b32 s0, s0, vcc_lo
	s_and_saveexec_b32 s36, s0
	s_delay_alu instid0(SALU_CYCLE_1)
	s_xor_b32 s0, exec_lo, s36
; %bb.20:                               ;   in Loop: Header=BB71_10 Depth=1
	v_min_i32_e32 v8, 15, v8
	s_delay_alu instid0(VALU_DEP_1) | instskip(NEXT) | instid1(VALU_DEP_1)
	v_lshl_or_b32 v8, v8, 3, v17
                                        ; implicit-def: $vgpr17
	v_and_or_b32 v11, v10, 7, v8
; %bb.21:                               ;   in Loop: Header=BB71_10 Depth=1
	s_and_not1_saveexec_b32 s0, s0
; %bb.22:                               ;   in Loop: Header=BB71_10 Depth=1
	v_mov_b32_e32 v11, v17
; %bb.23:                               ;   in Loop: Header=BB71_10 Depth=1
	s_or_b32 exec_lo, exec_lo, s0
.LBB71_24:                              ;   in Loop: Header=BB71_10 Depth=1
	s_delay_alu instid0(SALU_CYCLE_1)
	s_or_b32 exec_lo, exec_lo, s31
.LBB71_25:                              ;   in Loop: Header=BB71_10 Depth=1
	s_and_not1_saveexec_b32 s0, s27
	s_delay_alu instid0(SALU_CYCLE_1)
	s_or_b32 exec_lo, exec_lo, s0
                                        ; implicit-def: $vgpr12
.LBB71_26:                              ;   in Loop: Header=BB71_10 Depth=1
	s_and_not1_saveexec_b32 s0, s25
; %bb.27:                               ;   in Loop: Header=BB71_10 Depth=1
	v_cmp_eq_u64_e32 vcc_lo, 0, v[8:9]
	v_or_b32_e32 v10, 0x7f, v12
	s_delay_alu instid0(VALU_DEP_1)
	v_cndmask_b32_e32 v11, v10, v11, vcc_lo
; %bb.28:                               ;   in Loop: Header=BB71_10 Depth=1
	s_or_b32 exec_lo, exec_lo, s0
	s_waitcnt lgkmcnt(0)
	v_div_scale_f32 v8, null, s1, s1, v16
	global_store_b8 v[6:7], v11, off offset:-1
	s_mov_b32 s0, exec_lo
	v_mov_b32_e32 v18, v9
	v_rcp_f32_e32 v10, v8
	s_waitcnt_depctr 0xfff
	v_fma_f32 v12, -v8, v10, 1.0
	s_delay_alu instid0(VALU_DEP_1) | instskip(SKIP_1) | instid1(VALU_DEP_1)
	v_fmac_f32_e32 v10, v12, v10
	v_div_scale_f32 v12, vcc_lo, v16, s1, v16
	v_mul_f32_e32 v13, v12, v10
	s_delay_alu instid0(VALU_DEP_1) | instskip(NEXT) | instid1(VALU_DEP_1)
	v_fma_f32 v17, -v8, v13, v12
	v_fmac_f32_e32 v13, v17, v10
	s_delay_alu instid0(VALU_DEP_1) | instskip(NEXT) | instid1(VALU_DEP_1)
	v_fma_f32 v8, -v8, v13, v12
	v_div_fmas_f32 v8, v8, v10, v13
	s_delay_alu instid0(VALU_DEP_1) | instskip(NEXT) | instid1(VALU_DEP_1)
	v_div_fixup_f32 v10, v8, s1, v16
	v_lshrrev_b32_e32 v13, 24, v10
	v_and_b32_e32 v17, 0x7f800000, v10
	v_and_b32_e32 v8, 0x7fffff, v10
	s_delay_alu instid0(VALU_DEP_3) | instskip(NEXT) | instid1(VALU_DEP_1)
	v_and_b32_e32 v16, 0x80, v13
	v_or_b32_e32 v12, 0x7e, v16
	s_delay_alu instid0(VALU_DEP_4)
	v_cmpx_ne_u64_e32 0x7f800000, v[17:18]
	s_xor_b32 s25, exec_lo, s0
	s_cbranch_execz .LBB71_44
; %bb.29:                               ;   in Loop: Header=BB71_10 Depth=1
	v_dual_mov_b32 v18, v9 :: v_dual_and_b32 v17, 0x7fffffff, v10
	s_mov_b32 s0, exec_lo
	s_delay_alu instid0(VALU_DEP_1)
	v_cmpx_gt_u64_e32 0x43e00001, v[17:18]
	s_xor_b32 s27, exec_lo, s0
	s_cbranch_execz .LBB71_43
; %bb.30:                               ;   in Loop: Header=BB71_10 Depth=1
	v_mov_b32_e32 v12, 0
	s_mov_b32 s31, exec_lo
	v_cmpx_ne_u32_e32 0, v10
	s_cbranch_execz .LBB71_42
; %bb.31:                               ;   in Loop: Header=BB71_10 Depth=1
	v_bfe_u32 v17, v10, 23, 8
	v_or_b32_e32 v12, 0x800000, v8
	s_delay_alu instid0(VALU_DEP_2) | instskip(SKIP_1) | instid1(VALU_DEP_2)
	v_sub_nc_u32_e32 v10, 0x79, v17
	v_cmp_gt_u32_e32 vcc_lo, 0x7a, v17
	v_cndmask_b32_e32 v10, 0, v10, vcc_lo
	v_cmp_eq_u32_e32 vcc_lo, 0, v17
	s_delay_alu instid0(VALU_DEP_2) | instskip(SKIP_1) | instid1(VALU_DEP_2)
	v_cndmask_b32_e64 v18, v10, 0x78, vcc_lo
	v_cndmask_b32_e32 v8, v12, v8, vcc_lo
	v_add_nc_u32_e32 v10, 20, v18
	v_add_nc_u32_e32 v12, 19, v18
	s_delay_alu instid0(VALU_DEP_2) | instskip(NEXT) | instid1(VALU_DEP_2)
	v_lshlrev_b64 v[10:11], v10, -1
	v_lshlrev_b64 v[12:13], v12, 1
	s_delay_alu instid0(VALU_DEP_2) | instskip(NEXT) | instid1(VALU_DEP_3)
	v_not_b32_e32 v11, v11
	v_not_b32_e32 v10, v10
	s_delay_alu instid0(VALU_DEP_2) | instskip(NEXT) | instid1(VALU_DEP_2)
	v_and_b32_e32 v20, 0, v11
	v_and_b32_e32 v19, v8, v10
	v_lshrrev_b64 v[10:11], v18, v[8:9]
	s_delay_alu instid0(VALU_DEP_2) | instskip(NEXT) | instid1(VALU_DEP_2)
	v_cmp_eq_u64_e64 s0, v[19:20], v[12:13]
	v_dual_mov_b32 v13, v11 :: v_dual_mov_b32 v12, v10
	s_delay_alu instid0(VALU_DEP_2)
	s_and_saveexec_b32 s36, s0
; %bb.32:                               ;   in Loop: Header=BB71_10 Depth=1
	v_bfe_u32 v8, v10, 20, 1
	s_delay_alu instid0(VALU_DEP_1) | instskip(NEXT) | instid1(VALU_DEP_1)
	v_add_co_u32 v8, s0, v10, v8
	v_add_co_u32 v12, s0, v8, -1
; %bb.33:                               ;   in Loop: Header=BB71_10 Depth=1
	s_or_b32 exec_lo, exec_lo, s36
	v_add_nc_u32_e32 v8, 0xffffff81, v17
	v_lshrrev_b32_e32 v13, 23, v10
	s_mov_b32 s0, exec_lo
	s_delay_alu instid0(VALU_DEP_2) | instskip(NEXT) | instid1(VALU_DEP_1)
	v_cndmask_b32_e64 v8, v8, 0xffffff82, vcc_lo
	v_add3_u32 v13, v18, v8, v13
	v_and_b32_e32 v8, 0xfffff, v12
	s_delay_alu instid0(VALU_DEP_2) | instskip(NEXT) | instid1(VALU_DEP_2)
	v_add_nc_u32_e32 v12, 6, v13
	v_add_co_u32 v10, vcc_lo, v8, v10
	v_add_co_ci_u32_e32 v11, vcc_lo, 0, v11, vcc_lo
                                        ; implicit-def: $vgpr8
	s_delay_alu instid0(VALU_DEP_3)
	v_cmpx_ne_u32_e32 0, v12
	s_xor_b32 s0, exec_lo, s0
; %bb.34:                               ;   in Loop: Header=BB71_10 Depth=1
	s_delay_alu instid0(VALU_DEP_2) | instskip(SKIP_1) | instid1(VALU_DEP_1)
	v_cmp_lt_u64_e32 vcc_lo, 0xffffff, v[10:11]
	v_add_nc_u32_e32 v8, 7, v13
	v_cndmask_b32_e32 v8, v12, v8, vcc_lo
	v_cndmask_b32_e64 v12, 0, 1, vcc_lo
	s_delay_alu instid0(VALU_DEP_1)
	v_lshrrev_b64 v[10:11], v12, v[10:11]
; %bb.35:                               ;   in Loop: Header=BB71_10 Depth=1
	s_and_not1_saveexec_b32 s0, s0
; %bb.36:                               ;   in Loop: Header=BB71_10 Depth=1
	s_delay_alu instid0(VALU_DEP_1)
	v_bfe_u32 v8, v10, 23, 1
; %bb.37:                               ;   in Loop: Header=BB71_10 Depth=1
	s_or_b32 exec_lo, exec_lo, s0
	s_delay_alu instid0(VALU_DEP_2) | instskip(NEXT) | instid1(VALU_DEP_2)
	v_lshrrev_b64 v[10:11], 20, v[10:11]
	v_cmp_gt_i32_e32 vcc_lo, 16, v8
	v_cmp_ne_u32_e64 s0, 0, v8
                                        ; implicit-def: $vgpr12
	s_delay_alu instid0(VALU_DEP_3) | instskip(NEXT) | instid1(VALU_DEP_1)
	v_dual_cndmask_b32 v11, 0, v11 :: v_dual_cndmask_b32 v10, 7, v10
	v_cmp_ne_u64_e32 vcc_lo, 0, v[10:11]
	s_delay_alu instid0(VALU_DEP_3) | instskip(NEXT) | instid1(SALU_CYCLE_1)
	s_or_b32 s0, s0, vcc_lo
	s_and_saveexec_b32 s36, s0
	s_delay_alu instid0(SALU_CYCLE_1)
	s_xor_b32 s0, exec_lo, s36
; %bb.38:                               ;   in Loop: Header=BB71_10 Depth=1
	v_min_i32_e32 v8, 15, v8
	s_delay_alu instid0(VALU_DEP_1) | instskip(NEXT) | instid1(VALU_DEP_1)
	v_lshl_or_b32 v8, v8, 3, v16
                                        ; implicit-def: $vgpr16
	v_and_or_b32 v12, v10, 7, v8
; %bb.39:                               ;   in Loop: Header=BB71_10 Depth=1
	s_and_not1_saveexec_b32 s0, s0
; %bb.40:                               ;   in Loop: Header=BB71_10 Depth=1
	v_mov_b32_e32 v12, v16
; %bb.41:                               ;   in Loop: Header=BB71_10 Depth=1
	s_or_b32 exec_lo, exec_lo, s0
.LBB71_42:                              ;   in Loop: Header=BB71_10 Depth=1
	s_delay_alu instid0(SALU_CYCLE_1)
	s_or_b32 exec_lo, exec_lo, s31
.LBB71_43:                              ;   in Loop: Header=BB71_10 Depth=1
	s_and_not1_saveexec_b32 s0, s27
	s_delay_alu instid0(SALU_CYCLE_1)
	s_or_b32 exec_lo, exec_lo, s0
                                        ; implicit-def: $vgpr13
.LBB71_44:                              ;   in Loop: Header=BB71_10 Depth=1
	s_and_not1_saveexec_b32 s0, s25
	s_cbranch_execz .LBB71_9
; %bb.45:                               ;   in Loop: Header=BB71_10 Depth=1
	v_cmp_eq_u64_e32 vcc_lo, 0, v[8:9]
	v_or_b32_e32 v10, 0x7f, v13
	s_delay_alu instid0(VALU_DEP_1)
	v_cndmask_b32_e32 v12, v10, v12, vcc_lo
	s_branch .LBB71_9
.LBB71_46:
	s_or_b32 exec_lo, exec_lo, s35
	s_delay_alu instid0(SALU_CYCLE_1)
	s_mov_b32 s0, exec_lo
	v_cmpx_gt_i32_e64 s6, v1
	s_cbranch_execz .LBB71_67
; %bb.47:
	s_mul_i32 s1, s20, s15
	s_mul_hi_u32 s12, s20, s14
	s_mul_i32 s0, s20, s14
	s_add_i32 s1, s12, s1
	v_mov_b32_e32 v4, 0
	s_lshl_b64 s[12:13], s[0:1], 1
	s_load_b32 s0, s[2:3], 0x8c
	s_waitcnt lgkmcnt(0)
	s_load_b32 s3, s[10:11], 0x0
	s_add_u32 s1, s18, s12
	s_addc_u32 s2, s19, s13
	s_ashr_i32 s4, s4, 31
	s_delay_alu instid0(SALU_CYCLE_1) | instskip(NEXT) | instid1(SALU_CYCLE_1)
	s_mul_i32 s4, s8, s4
	s_add_i32 s4, s29, s4
	s_delay_alu instid0(SALU_CYCLE_1) | instskip(SKIP_3) | instid1(SALU_CYCLE_1)
	s_add_i32 s4, s4, s33
	s_add_u32 s8, s22, s34
	s_addc_u32 s10, s23, s4
	s_ashr_i32 s4, s5, 31
	s_mul_i32 s7, s7, s4
	s_delay_alu instid0(SALU_CYCLE_1) | instskip(NEXT) | instid1(SALU_CYCLE_1)
	s_add_i32 s4, s28, s7
	s_add_i32 s5, s4, s9
	s_add_u32 s4, s8, s21
	s_addc_u32 s5, s10, s5
	s_and_b32 s7, s0, 0xffff
	s_mov_b32 s8, 0
	s_branch .LBB71_49
.LBB71_48:                              ;   in Loop: Header=BB71_49 Depth=1
	s_or_b32 exec_lo, exec_lo, s0
	v_add_co_u32 v7, vcc_lo, s4, v1
	v_add_nc_u32_e32 v1, s7, v1
	v_add_co_ci_u32_e32 v8, vcc_lo, s5, v2, vcc_lo
	s_delay_alu instid0(VALU_DEP_2) | instskip(SKIP_2) | instid1(SALU_CYCLE_1)
	v_cmp_le_i32_e32 vcc_lo, s6, v1
	global_store_b8 v[7:8], v6, off
	s_or_b32 s8, vcc_lo, s8
	s_and_not1_b32 exec_lo, exec_lo, s8
	s_cbranch_execz .LBB71_67
.LBB71_49:                              ; =>This Inner Loop Header: Depth=1
	v_ashrrev_i32_e32 v2, 31, v1
	s_mov_b32 s0, exec_lo
	v_mov_b32_e32 v9, v4
	s_delay_alu instid0(VALU_DEP_2) | instskip(NEXT) | instid1(VALU_DEP_1)
	v_lshlrev_b64 v[5:6], 1, v[1:2]
	v_add_co_u32 v5, vcc_lo, s1, v5
	s_delay_alu instid0(VALU_DEP_2) | instskip(SKIP_3) | instid1(VALU_DEP_1)
	v_add_co_ci_u32_e32 v6, vcc_lo, s2, v6, vcc_lo
	global_load_b32 v0, v[5:6], off
	s_waitcnt vmcnt(0) lgkmcnt(0)
	v_div_scale_f32 v3, null, s3, s3, v0
	v_rcp_f32_e32 v5, v3
	s_waitcnt_depctr 0xfff
	v_fma_f32 v6, -v3, v5, 1.0
	s_delay_alu instid0(VALU_DEP_1) | instskip(SKIP_1) | instid1(VALU_DEP_1)
	v_fmac_f32_e32 v5, v6, v5
	v_div_scale_f32 v6, vcc_lo, v0, s3, v0
	v_mul_f32_e32 v7, v6, v5
	s_delay_alu instid0(VALU_DEP_1) | instskip(NEXT) | instid1(VALU_DEP_1)
	v_fma_f32 v8, -v3, v7, v6
	v_fmac_f32_e32 v7, v8, v5
	s_delay_alu instid0(VALU_DEP_1) | instskip(NEXT) | instid1(VALU_DEP_1)
	v_fma_f32 v3, -v3, v7, v6
	v_div_fmas_f32 v3, v3, v5, v7
	s_delay_alu instid0(VALU_DEP_1) | instskip(NEXT) | instid1(VALU_DEP_1)
	v_div_fixup_f32 v5, v3, s3, v0
	v_lshrrev_b32_e32 v7, 24, v5
	v_and_b32_e32 v8, 0x7f800000, v5
	v_and_b32_e32 v3, 0x7fffff, v5
	s_delay_alu instid0(VALU_DEP_3) | instskip(NEXT) | instid1(VALU_DEP_1)
	v_and_b32_e32 v0, 0x80, v7
	v_or_b32_e32 v6, 0x7e, v0
	s_delay_alu instid0(VALU_DEP_4)
	v_cmpx_ne_u64_e32 0x7f800000, v[8:9]
	s_xor_b32 s9, exec_lo, s0
	s_cbranch_execz .LBB71_65
; %bb.50:                               ;   in Loop: Header=BB71_49 Depth=1
	v_dual_mov_b32 v8, v4 :: v_dual_and_b32 v7, 0x7fffffff, v5
	s_mov_b32 s0, exec_lo
	s_delay_alu instid0(VALU_DEP_1)
	v_cmpx_gt_u64_e32 0x43e00001, v[7:8]
	s_xor_b32 s10, exec_lo, s0
	s_cbranch_execz .LBB71_64
; %bb.51:                               ;   in Loop: Header=BB71_49 Depth=1
	v_mov_b32_e32 v6, 0
	s_mov_b32 s11, exec_lo
	v_cmpx_ne_u32_e32 0, v5
	s_cbranch_execz .LBB71_63
; %bb.52:                               ;   in Loop: Header=BB71_49 Depth=1
	v_bfe_u32 v9, v5, 23, 8
	v_or_b32_e32 v7, 0x800000, v3
	s_delay_alu instid0(VALU_DEP_2) | instskip(SKIP_1) | instid1(VALU_DEP_2)
	v_sub_nc_u32_e32 v5, 0x79, v9
	v_cmp_gt_u32_e32 vcc_lo, 0x7a, v9
	v_cndmask_b32_e32 v5, 0, v5, vcc_lo
	v_cmp_eq_u32_e32 vcc_lo, 0, v9
	s_delay_alu instid0(VALU_DEP_2) | instskip(SKIP_1) | instid1(VALU_DEP_2)
	v_cndmask_b32_e64 v10, v5, 0x78, vcc_lo
	v_cndmask_b32_e32 v3, v7, v3, vcc_lo
	v_add_nc_u32_e32 v5, 20, v10
	v_add_nc_u32_e32 v7, 19, v10
	s_delay_alu instid0(VALU_DEP_2) | instskip(NEXT) | instid1(VALU_DEP_2)
	v_lshlrev_b64 v[5:6], v5, -1
	v_lshlrev_b64 v[7:8], v7, 1
	s_delay_alu instid0(VALU_DEP_2) | instskip(NEXT) | instid1(VALU_DEP_3)
	v_not_b32_e32 v6, v6
	v_not_b32_e32 v5, v5
	s_delay_alu instid0(VALU_DEP_2) | instskip(NEXT) | instid1(VALU_DEP_2)
	v_and_b32_e32 v12, 0, v6
	v_and_b32_e32 v11, v3, v5
	v_lshrrev_b64 v[5:6], v10, v[3:4]
	s_delay_alu instid0(VALU_DEP_2) | instskip(NEXT) | instid1(VALU_DEP_2)
	v_cmp_eq_u64_e64 s0, v[11:12], v[7:8]
	v_dual_mov_b32 v8, v6 :: v_dual_mov_b32 v7, v5
	s_delay_alu instid0(VALU_DEP_2)
	s_and_saveexec_b32 s12, s0
; %bb.53:                               ;   in Loop: Header=BB71_49 Depth=1
	v_bfe_u32 v3, v5, 20, 1
	s_delay_alu instid0(VALU_DEP_1) | instskip(NEXT) | instid1(VALU_DEP_1)
	v_add_co_u32 v3, s0, v5, v3
	v_add_co_u32 v7, s0, v3, -1
; %bb.54:                               ;   in Loop: Header=BB71_49 Depth=1
	s_or_b32 exec_lo, exec_lo, s12
	v_add_nc_u32_e32 v3, 0xffffff81, v9
	v_lshrrev_b32_e32 v8, 23, v5
	s_mov_b32 s0, exec_lo
	s_delay_alu instid0(VALU_DEP_2) | instskip(NEXT) | instid1(VALU_DEP_1)
	v_cndmask_b32_e64 v3, v3, 0xffffff82, vcc_lo
	v_add3_u32 v8, v10, v3, v8
	v_and_b32_e32 v3, 0xfffff, v7
	s_delay_alu instid0(VALU_DEP_2) | instskip(NEXT) | instid1(VALU_DEP_2)
	v_add_nc_u32_e32 v7, 6, v8
	v_add_co_u32 v5, vcc_lo, v3, v5
	v_add_co_ci_u32_e32 v6, vcc_lo, 0, v6, vcc_lo
                                        ; implicit-def: $vgpr3
	s_delay_alu instid0(VALU_DEP_3)
	v_cmpx_ne_u32_e32 0, v7
	s_xor_b32 s0, exec_lo, s0
; %bb.55:                               ;   in Loop: Header=BB71_49 Depth=1
	s_delay_alu instid0(VALU_DEP_2) | instskip(SKIP_1) | instid1(VALU_DEP_1)
	v_cmp_lt_u64_e32 vcc_lo, 0xffffff, v[5:6]
	v_add_nc_u32_e32 v3, 7, v8
	v_cndmask_b32_e32 v3, v7, v3, vcc_lo
	v_cndmask_b32_e64 v7, 0, 1, vcc_lo
	s_delay_alu instid0(VALU_DEP_1)
	v_lshrrev_b64 v[5:6], v7, v[5:6]
; %bb.56:                               ;   in Loop: Header=BB71_49 Depth=1
	s_and_not1_saveexec_b32 s0, s0
; %bb.57:                               ;   in Loop: Header=BB71_49 Depth=1
	s_delay_alu instid0(VALU_DEP_1)
	v_bfe_u32 v3, v5, 23, 1
; %bb.58:                               ;   in Loop: Header=BB71_49 Depth=1
	s_or_b32 exec_lo, exec_lo, s0
	s_delay_alu instid0(VALU_DEP_2) | instskip(NEXT) | instid1(VALU_DEP_2)
	v_lshrrev_b64 v[5:6], 20, v[5:6]
	v_cmp_gt_i32_e32 vcc_lo, 16, v3
	v_cmp_ne_u32_e64 s0, 0, v3
	s_delay_alu instid0(VALU_DEP_3) | instskip(NEXT) | instid1(VALU_DEP_1)
	v_dual_cndmask_b32 v6, 0, v6 :: v_dual_cndmask_b32 v5, 7, v5
	v_cmp_ne_u64_e32 vcc_lo, 0, v[5:6]
                                        ; implicit-def: $vgpr6
	s_delay_alu instid0(VALU_DEP_3) | instskip(NEXT) | instid1(SALU_CYCLE_1)
	s_or_b32 s0, s0, vcc_lo
	s_and_saveexec_b32 s12, s0
	s_delay_alu instid0(SALU_CYCLE_1)
	s_xor_b32 s0, exec_lo, s12
; %bb.59:                               ;   in Loop: Header=BB71_49 Depth=1
	v_min_i32_e32 v3, 15, v3
	s_delay_alu instid0(VALU_DEP_1) | instskip(NEXT) | instid1(VALU_DEP_1)
	v_lshl_or_b32 v0, v3, 3, v0
	v_and_or_b32 v6, v5, 7, v0
                                        ; implicit-def: $vgpr0
; %bb.60:                               ;   in Loop: Header=BB71_49 Depth=1
	s_and_not1_saveexec_b32 s0, s0
; %bb.61:                               ;   in Loop: Header=BB71_49 Depth=1
	v_mov_b32_e32 v6, v0
; %bb.62:                               ;   in Loop: Header=BB71_49 Depth=1
	s_or_b32 exec_lo, exec_lo, s0
.LBB71_63:                              ;   in Loop: Header=BB71_49 Depth=1
	s_delay_alu instid0(SALU_CYCLE_1)
	s_or_b32 exec_lo, exec_lo, s11
.LBB71_64:                              ;   in Loop: Header=BB71_49 Depth=1
	s_and_not1_saveexec_b32 s0, s10
	s_delay_alu instid0(SALU_CYCLE_1)
	s_or_b32 exec_lo, exec_lo, s0
                                        ; implicit-def: $vgpr7
.LBB71_65:                              ;   in Loop: Header=BB71_49 Depth=1
	s_and_not1_saveexec_b32 s0, s9
	s_cbranch_execz .LBB71_48
; %bb.66:                               ;   in Loop: Header=BB71_49 Depth=1
	v_cmp_eq_u64_e32 vcc_lo, 0, v[3:4]
	v_or_b32_e32 v0, 0x7f, v7
	s_delay_alu instid0(VALU_DEP_1)
	v_cndmask_b32_e32 v6, v0, v6, vcc_lo
	s_branch .LBB71_48
.LBB71_67:
	s_nop 0
	s_sendmsg sendmsg(MSG_DEALLOC_VGPRS)
	s_endpgm
.LBB71_68:
                                        ; implicit-def: $sgpr8_sgpr9
	s_branch .LBB71_6
	.section	.rodata,"a",@progbits
	.p2align	6, 0x0
	.amdhsa_kernel _ZN4vllm38concat_and_cache_mla_rope_fused_kernelIN3c108BFloat16ES2_Lb0EfhLNS_18Fp8KVCacheDataTypeE1EEEvPKlPT_S7_PKS6_PKT0_illlliPT3_S5_iiiiPKf
		.amdhsa_group_segment_fixed_size 4096
		.amdhsa_private_segment_fixed_size 0
		.amdhsa_kernarg_size 384
		.amdhsa_user_sgpr_count 15
		.amdhsa_user_sgpr_dispatch_ptr 1
		.amdhsa_user_sgpr_queue_ptr 0
		.amdhsa_user_sgpr_kernarg_segment_ptr 1
		.amdhsa_user_sgpr_dispatch_id 0
		.amdhsa_user_sgpr_private_segment_size 0
		.amdhsa_wavefront_size32 1
		.amdhsa_uses_dynamic_stack 0
		.amdhsa_enable_private_segment 0
		.amdhsa_system_sgpr_workgroup_id_x 1
		.amdhsa_system_sgpr_workgroup_id_y 0
		.amdhsa_system_sgpr_workgroup_id_z 0
		.amdhsa_system_sgpr_workgroup_info 0
		.amdhsa_system_vgpr_workitem_id 2
		.amdhsa_next_free_vgpr 22
		.amdhsa_next_free_sgpr 45
		.amdhsa_reserve_vcc 1
		.amdhsa_float_round_mode_32 0
		.amdhsa_float_round_mode_16_64 0
		.amdhsa_float_denorm_mode_32 3
		.amdhsa_float_denorm_mode_16_64 3
		.amdhsa_dx10_clamp 1
		.amdhsa_ieee_mode 1
		.amdhsa_fp16_overflow 0
		.amdhsa_workgroup_processor_mode 1
		.amdhsa_memory_ordered 1
		.amdhsa_forward_progress 0
		.amdhsa_shared_vgpr_count 0
		.amdhsa_exception_fp_ieee_invalid_op 0
		.amdhsa_exception_fp_denorm_src 0
		.amdhsa_exception_fp_ieee_div_zero 0
		.amdhsa_exception_fp_ieee_overflow 0
		.amdhsa_exception_fp_ieee_underflow 0
		.amdhsa_exception_fp_ieee_inexact 0
		.amdhsa_exception_int_div_zero 0
	.end_amdhsa_kernel
	.section	.text._ZN4vllm38concat_and_cache_mla_rope_fused_kernelIN3c108BFloat16ES2_Lb0EfhLNS_18Fp8KVCacheDataTypeE1EEEvPKlPT_S7_PKS6_PKT0_illlliPT3_S5_iiiiPKf,"axG",@progbits,_ZN4vllm38concat_and_cache_mla_rope_fused_kernelIN3c108BFloat16ES2_Lb0EfhLNS_18Fp8KVCacheDataTypeE1EEEvPKlPT_S7_PKS6_PKT0_illlliPT3_S5_iiiiPKf,comdat
.Lfunc_end71:
	.size	_ZN4vllm38concat_and_cache_mla_rope_fused_kernelIN3c108BFloat16ES2_Lb0EfhLNS_18Fp8KVCacheDataTypeE1EEEvPKlPT_S7_PKS6_PKT0_illlliPT3_S5_iiiiPKf, .Lfunc_end71-_ZN4vllm38concat_and_cache_mla_rope_fused_kernelIN3c108BFloat16ES2_Lb0EfhLNS_18Fp8KVCacheDataTypeE1EEEvPKlPT_S7_PKS6_PKT0_illlliPT3_S5_iiiiPKf
                                        ; -- End function
	.section	.AMDGPU.csdata,"",@progbits
; Kernel info:
; codeLenInByte = 5084
; NumSgprs: 47
; NumVgprs: 22
; ScratchSize: 0
; MemoryBound: 0
; FloatMode: 240
; IeeeMode: 1
; LDSByteSize: 4096 bytes/workgroup (compile time only)
; SGPRBlocks: 5
; VGPRBlocks: 2
; NumSGPRsForWavesPerEU: 47
; NumVGPRsForWavesPerEU: 22
; Occupancy: 16
; WaveLimiterHint : 1
; COMPUTE_PGM_RSRC2:SCRATCH_EN: 0
; COMPUTE_PGM_RSRC2:USER_SGPR: 15
; COMPUTE_PGM_RSRC2:TRAP_HANDLER: 0
; COMPUTE_PGM_RSRC2:TGID_X_EN: 1
; COMPUTE_PGM_RSRC2:TGID_Y_EN: 0
; COMPUTE_PGM_RSRC2:TGID_Z_EN: 0
; COMPUTE_PGM_RSRC2:TIDIG_COMP_CNT: 2
	.section	.text._ZN4vllm38concat_and_cache_mla_rope_fused_kernelIffLb1EthLNS_18Fp8KVCacheDataTypeE1EEEvPKlPT_S5_PKS4_PKT0_illlliPT3_S3_iiiiPKf,"axG",@progbits,_ZN4vllm38concat_and_cache_mla_rope_fused_kernelIffLb1EthLNS_18Fp8KVCacheDataTypeE1EEEvPKlPT_S5_PKS4_PKT0_illlliPT3_S3_iiiiPKf,comdat
	.protected	_ZN4vllm38concat_and_cache_mla_rope_fused_kernelIffLb1EthLNS_18Fp8KVCacheDataTypeE1EEEvPKlPT_S5_PKS4_PKT0_illlliPT3_S3_iiiiPKf ; -- Begin function _ZN4vllm38concat_and_cache_mla_rope_fused_kernelIffLb1EthLNS_18Fp8KVCacheDataTypeE1EEEvPKlPT_S5_PKS4_PKT0_illlliPT3_S3_iiiiPKf
	.globl	_ZN4vllm38concat_and_cache_mla_rope_fused_kernelIffLb1EthLNS_18Fp8KVCacheDataTypeE1EEEvPKlPT_S5_PKS4_PKT0_illlliPT3_S3_iiiiPKf
	.p2align	8
	.type	_ZN4vllm38concat_and_cache_mla_rope_fused_kernelIffLb1EthLNS_18Fp8KVCacheDataTypeE1EEEvPKlPT_S5_PKS4_PKT0_illlliPT3_S3_iiiiPKf,@function
_ZN4vllm38concat_and_cache_mla_rope_fused_kernelIffLb1EthLNS_18Fp8KVCacheDataTypeE1EEEvPKlPT_S5_PKS4_PKT0_illlliPT3_S3_iiiiPKf: ; @_ZN4vllm38concat_and_cache_mla_rope_fused_kernelIffLb1EthLNS_18Fp8KVCacheDataTypeE1EEEvPKlPT_S5_PKS4_PKT0_illlliPT3_S3_iiiiPKf
; %bb.0:
	s_load_b64 s[4:5], s[0:1], 0x60
	s_mov_b32 s16, s15
	s_mov_b32 s17, 0
	s_delay_alu instid0(SALU_CYCLE_1)
	s_lshl_b64 s[2:3], s[16:17], 3
	s_waitcnt lgkmcnt(0)
	s_add_u32 s4, s4, s2
	s_addc_u32 s5, s5, s3
	s_load_b64 s[28:29], s[4:5], 0x0
	s_waitcnt lgkmcnt(0)
	v_cmp_lt_i64_e64 s4, s[28:29], 0
	s_delay_alu instid0(VALU_DEP_1)
	s_and_b32 vcc_lo, exec_lo, s4
	s_cbranch_vccnz .LBB72_67
; %bb.1:
	s_clause 0x2
	s_load_b32 s22, s[0:1], 0x28
	s_load_b64 s[4:5], s[0:1], 0x0
	s_load_b128 s[12:15], s[0:1], 0x10
	s_waitcnt lgkmcnt(0)
	s_ashr_i32 s17, s22, 31
	s_add_u32 s2, s4, s2
	s_addc_u32 s3, s5, s3
	s_load_b64 s[20:21], s[2:3], 0x0
	s_clause 0x3
	s_load_b64 s[2:3], s[0:1], 0x20
	s_load_b32 s23, s[0:1], 0x50
	s_load_b64 s[18:19], s[0:1], 0x58
	s_load_b256 s[4:11], s[0:1], 0x30
	s_waitcnt lgkmcnt(0)
	s_mul_i32 s17, s20, s17
	s_mul_hi_u32 s24, s20, s22
	s_mul_i32 s21, s21, s22
	s_add_i32 s17, s24, s17
	s_mul_i32 s20, s20, s22
	s_add_i32 s21, s17, s21
	s_delay_alu instid0(SALU_CYCLE_1) | instskip(NEXT) | instid1(SALU_CYCLE_1)
	s_lshl_b64 s[26:27], s[20:21], 2
	s_add_u32 s17, s2, s26
	s_addc_u32 s33, s3, s27
	s_lshr_b32 s20, s22, 31
	s_delay_alu instid0(SALU_CYCLE_1) | instskip(NEXT) | instid1(SALU_CYCLE_1)
	s_add_i32 s22, s22, s20
	s_ashr_i32 s20, s22, 1
	s_delay_alu instid0(SALU_CYCLE_1)
	s_mul_i32 s22, s20, s23
	s_mov_b32 s23, exec_lo
	v_cmpx_gt_i32_e64 s22, v0
	s_cbranch_execz .LBB72_4
; %bb.2:
	s_clause 0x1
	s_load_b64 s[24:25], s[0:1], 0x8
	s_load_b32 s31, s[0:1], 0x8c
	s_mul_i32 s5, s16, s5
	s_mul_hi_u32 s21, s16, s4
	s_mul_i32 s4, s16, s4
	s_add_i32 s5, s21, s5
	s_ashr_i32 s21, s20, 31
	s_lshl_b64 s[4:5], s[4:5], 2
	s_mov_b32 s34, 0
	s_waitcnt lgkmcnt(0)
	s_add_u32 s24, s24, s4
	s_addc_u32 s25, s25, s5
	s_abs_i32 s30, s20
	s_and_b32 s31, s31, 0xffff
	v_cvt_f32_u32_e32 v1, s30
	s_sub_i32 s4, 0, s30
	s_sub_i32 s35, 0, s20
	s_delay_alu instid0(VALU_DEP_1) | instskip(SKIP_2) | instid1(VALU_DEP_1)
	v_rcp_iflag_f32_e32 v1, v1
	s_waitcnt_depctr 0xfff
	v_mul_f32_e32 v1, 0x4f7ffffe, v1
	v_cvt_u32_f32_e32 v1, v1
	s_delay_alu instid0(VALU_DEP_1) | instskip(SKIP_1) | instid1(VALU_DEP_1)
	v_mul_lo_u32 v2, s4, v1
	s_lshl_b64 s[4:5], s[20:21], 2
	v_mul_hi_u32 v2, v1, v2
	s_delay_alu instid0(VALU_DEP_1)
	v_dual_mov_b32 v1, v0 :: v_dual_add_nc_u32 v2, v1, v2
.LBB72_3:                               ; =>This Inner Loop Header: Depth=1
	s_delay_alu instid0(VALU_DEP_1) | instskip(SKIP_1) | instid1(VALU_DEP_2)
	v_sub_nc_u32_e32 v3, 0, v1
	v_ashrrev_i32_e32 v4, 31, v1
	v_max_i32_e32 v3, v1, v3
	s_delay_alu instid0(VALU_DEP_2) | instskip(NEXT) | instid1(VALU_DEP_2)
	v_xor_b32_e32 v4, s21, v4
	v_mul_hi_u32 v5, v3, v2
	s_delay_alu instid0(VALU_DEP_1) | instskip(SKIP_1) | instid1(VALU_DEP_2)
	v_mul_lo_u32 v6, v5, s30
	v_add_nc_u32_e32 v7, 1, v5
	v_sub_nc_u32_e32 v3, v3, v6
	s_delay_alu instid0(VALU_DEP_1) | instskip(SKIP_1) | instid1(VALU_DEP_4)
	v_subrev_nc_u32_e32 v6, s30, v3
	v_cmp_le_u32_e32 vcc_lo, s30, v3
	v_cndmask_b32_e32 v5, v5, v7, vcc_lo
	s_delay_alu instid0(VALU_DEP_1) | instskip(NEXT) | instid1(VALU_DEP_1)
	v_dual_cndmask_b32 v3, v3, v6 :: v_dual_add_nc_u32 v6, 1, v5
	v_cmp_le_u32_e32 vcc_lo, s30, v3
	s_delay_alu instid0(VALU_DEP_2) | instskip(NEXT) | instid1(VALU_DEP_1)
	v_cndmask_b32_e32 v3, v5, v6, vcc_lo
	v_xor_b32_e32 v3, v3, v4
	s_delay_alu instid0(VALU_DEP_1) | instskip(NEXT) | instid1(VALU_DEP_1)
	v_sub_nc_u32_e32 v7, v3, v4
	v_ashrrev_i32_e32 v8, 31, v7
	v_mad_u64_u32 v[3:4], null, s35, v7, v[1:2]
	v_mul_lo_u32 v9, v7, s7
	v_mad_u64_u32 v[5:6], null, v7, s6, 0
	s_delay_alu instid0(VALU_DEP_4) | instskip(SKIP_2) | instid1(VALU_DEP_3)
	v_mul_lo_u32 v7, v8, s6
	v_add_nc_u32_e32 v1, s31, v1
	v_ashrrev_i32_e32 v4, 31, v3
	v_add3_u32 v6, v6, v9, v7
	s_delay_alu instid0(VALU_DEP_2) | instskip(NEXT) | instid1(VALU_DEP_2)
	v_lshlrev_b64 v[3:4], 2, v[3:4]
	v_lshlrev_b64 v[5:6], 2, v[5:6]
	s_delay_alu instid0(VALU_DEP_2) | instskip(NEXT) | instid1(VALU_DEP_3)
	v_add_co_u32 v7, vcc_lo, s17, v3
	v_add_co_ci_u32_e32 v8, vcc_lo, s33, v4, vcc_lo
	s_delay_alu instid0(VALU_DEP_3) | instskip(NEXT) | instid1(VALU_DEP_4)
	v_add_co_u32 v9, vcc_lo, s24, v5
	v_add_co_ci_u32_e32 v10, vcc_lo, s25, v6, vcc_lo
	s_delay_alu instid0(VALU_DEP_4) | instskip(NEXT) | instid1(VALU_DEP_4)
	v_add_co_u32 v5, vcc_lo, v7, s4
	v_add_co_ci_u32_e32 v6, vcc_lo, s5, v8, vcc_lo
	s_delay_alu instid0(VALU_DEP_4) | instskip(NEXT) | instid1(VALU_DEP_4)
	v_add_co_u32 v3, vcc_lo, v9, v3
	v_add_co_ci_u32_e32 v4, vcc_lo, v10, v4, vcc_lo
	s_delay_alu instid0(VALU_DEP_2) | instskip(NEXT) | instid1(VALU_DEP_2)
	v_add_co_u32 v9, vcc_lo, v3, s4
	v_add_co_ci_u32_e32 v10, vcc_lo, s5, v4, vcc_lo
	s_clause 0x1
	global_load_b32 v7, v[7:8], off
	global_load_b32 v5, v[5:6], off
	s_clause 0x1
	global_load_b32 v6, v[3:4], off
	global_load_b32 v8, v[9:10], off
	v_cmp_le_i32_e32 vcc_lo, s22, v1
	s_or_b32 s34, vcc_lo, s34
	s_waitcnt vmcnt(0)
	v_mul_f32_e32 v11, v5, v8
	v_mul_f32_e32 v8, v7, v8
	s_delay_alu instid0(VALU_DEP_2) | instskip(NEXT) | instid1(VALU_DEP_2)
	v_fma_f32 v7, v7, v6, -v11
	v_fmac_f32_e32 v8, v5, v6
	s_clause 0x1
	global_store_b32 v[3:4], v7, off
	global_store_b32 v[9:10], v8, off
	s_and_not1_b32 exec_lo, exec_lo, s34
	s_cbranch_execnz .LBB72_3
.LBB72_4:
	s_or_b32 exec_lo, exec_lo, s23
	s_load_b128 s[4:7], s[0:1], 0x68
	s_waitcnt lgkmcnt(0)
	s_ashr_i32 s31, s7, 31
	s_mov_b32 s30, s7
	s_delay_alu instid0(SALU_CYCLE_1) | instskip(SKIP_1) | instid1(SALU_CYCLE_1)
	s_or_b64 s[24:25], s[28:29], s[30:31]
	s_mov_b32 s24, 0
	s_cmp_lg_u64 s[24:25], 0
	s_cbranch_scc0 .LBB72_68
; %bb.5:
	s_add_u32 s34, s30, s31
	s_mov_b32 s22, s31
	s_mov_b32 s23, s31
	s_addc_u32 s35, s31, s31
	s_delay_alu instid0(SALU_CYCLE_1) | instskip(NEXT) | instid1(SALU_CYCLE_1)
	s_xor_b64 s[34:35], s[34:35], s[22:23]
	v_cvt_f32_u32_e32 v1, s34
	v_cvt_f32_u32_e32 v2, s35
	s_sub_u32 s25, 0, s34
	s_subb_u32 s36, 0, s35
	s_delay_alu instid0(VALU_DEP_1) | instskip(NEXT) | instid1(VALU_DEP_1)
	v_fmamk_f32 v1, v2, 0x4f800000, v1
	v_rcp_f32_e32 v1, v1
	s_waitcnt_depctr 0xfff
	v_mul_f32_e32 v1, 0x5f7ffffc, v1
	s_delay_alu instid0(VALU_DEP_1) | instskip(NEXT) | instid1(VALU_DEP_1)
	v_mul_f32_e32 v2, 0x2f800000, v1
	v_trunc_f32_e32 v2, v2
	s_delay_alu instid0(VALU_DEP_1) | instskip(SKIP_1) | instid1(VALU_DEP_2)
	v_fmamk_f32 v1, v2, 0xcf800000, v1
	v_cvt_u32_f32_e32 v2, v2
	v_cvt_u32_f32_e32 v1, v1
	s_delay_alu instid0(VALU_DEP_2) | instskip(NEXT) | instid1(VALU_DEP_2)
	v_readfirstlane_b32 s7, v2
	v_readfirstlane_b32 s21, v1
	s_delay_alu instid0(VALU_DEP_2) | instskip(NEXT) | instid1(VALU_DEP_1)
	s_mul_i32 s37, s25, s7
	s_mul_hi_u32 s39, s25, s21
	s_mul_i32 s38, s36, s21
	s_add_i32 s37, s39, s37
	s_mul_i32 s40, s25, s21
	s_add_i32 s37, s37, s38
	s_mul_hi_u32 s39, s21, s40
	s_mul_hi_u32 s41, s7, s40
	s_mul_i32 s38, s7, s40
	s_mul_hi_u32 s40, s21, s37
	s_mul_i32 s21, s21, s37
	s_mul_hi_u32 s42, s7, s37
	s_add_u32 s21, s39, s21
	s_addc_u32 s39, 0, s40
	s_add_u32 s21, s21, s38
	s_mul_i32 s37, s7, s37
	s_addc_u32 s21, s39, s41
	s_addc_u32 s38, s42, 0
	s_add_u32 s21, s21, s37
	s_addc_u32 s37, 0, s38
	v_add_co_u32 v1, s21, v1, s21
	s_delay_alu instid0(VALU_DEP_1) | instskip(SKIP_1) | instid1(VALU_DEP_1)
	s_cmp_lg_u32 s21, 0
	s_addc_u32 s7, s7, s37
	v_readfirstlane_b32 s21, v1
	s_mul_i32 s37, s25, s7
	s_delay_alu instid0(VALU_DEP_1)
	s_mul_hi_u32 s38, s25, s21
	s_mul_i32 s36, s36, s21
	s_add_i32 s37, s38, s37
	s_mul_i32 s25, s25, s21
	s_add_i32 s37, s37, s36
	s_mul_hi_u32 s38, s7, s25
	s_mul_i32 s39, s7, s25
	s_mul_hi_u32 s25, s21, s25
	s_mul_hi_u32 s40, s21, s37
	s_mul_i32 s21, s21, s37
	s_mul_hi_u32 s36, s7, s37
	s_add_u32 s21, s25, s21
	s_addc_u32 s25, 0, s40
	s_add_u32 s21, s21, s39
	s_mul_i32 s37, s7, s37
	s_addc_u32 s21, s25, s38
	s_addc_u32 s25, s36, 0
	s_add_u32 s21, s21, s37
	s_addc_u32 s25, 0, s25
	v_add_co_u32 v1, s21, v1, s21
	s_delay_alu instid0(VALU_DEP_1) | instskip(SKIP_2) | instid1(VALU_DEP_1)
	s_cmp_lg_u32 s21, 0
	s_addc_u32 s7, s7, s25
	s_ashr_i32 s36, s29, 31
	v_readfirstlane_b32 s21, v1
	s_add_u32 s38, s28, s36
	s_mov_b32 s37, s36
	s_addc_u32 s39, s29, s36
	s_delay_alu instid0(SALU_CYCLE_1) | instskip(NEXT) | instid1(SALU_CYCLE_1)
	s_xor_b64 s[38:39], s[38:39], s[36:37]
	s_mul_i32 s40, s38, s7
	s_mul_hi_u32 s41, s38, s21
	s_mul_hi_u32 s25, s38, s7
	s_mul_hi_u32 s43, s39, s21
	s_mul_i32 s21, s39, s21
	s_add_u32 s40, s41, s40
	s_addc_u32 s25, 0, s25
	s_mul_hi_u32 s42, s39, s7
	s_add_u32 s21, s40, s21
	s_mul_i32 s7, s39, s7
	s_addc_u32 s21, s25, s43
	s_addc_u32 s25, s42, 0
	s_add_u32 s7, s21, s7
	s_addc_u32 s21, 0, s25
	s_mul_i32 s42, s34, s7
	s_mul_hi_u32 s25, s34, s7
	s_mul_i32 s41, s34, s21
	v_sub_co_u32 v1, s38, s38, s42
	s_mul_i32 s40, s35, s7
	s_add_i32 s25, s25, s41
	s_delay_alu instid0(SALU_CYCLE_1) | instskip(NEXT) | instid1(VALU_DEP_1)
	s_add_i32 s25, s25, s40
	v_sub_co_u32 v2, s41, v1, s34
	s_sub_i32 s40, s39, s25
	s_cmp_lg_u32 s38, 0
	s_subb_u32 s40, s40, s35
	s_cmp_lg_u32 s41, 0
	v_readfirstlane_b32 s41, v2
	s_subb_u32 s40, s40, 0
	s_delay_alu instid0(SALU_CYCLE_1) | instskip(SKIP_1) | instid1(VALU_DEP_1)
	s_cmp_ge_u32 s40, s35
	s_cselect_b32 s42, -1, 0
	s_cmp_ge_u32 s41, s34
	s_cselect_b32 s41, -1, 0
	s_cmp_eq_u32 s40, s35
	s_cselect_b32 s40, s41, s42
	s_add_u32 s41, s7, 1
	s_addc_u32 s42, s21, 0
	s_add_u32 s43, s7, 2
	s_addc_u32 s44, s21, 0
	s_cmp_lg_u32 s40, 0
	s_cselect_b32 s40, s43, s41
	s_cselect_b32 s41, s44, s42
	s_cmp_lg_u32 s38, 0
	v_readfirstlane_b32 s38, v1
	s_subb_u32 s25, s39, s25
	s_delay_alu instid0(SALU_CYCLE_1) | instskip(SKIP_1) | instid1(VALU_DEP_1)
	s_cmp_ge_u32 s25, s35
	s_cselect_b32 s39, -1, 0
	s_cmp_ge_u32 s38, s34
	s_cselect_b32 s34, -1, 0
	s_cmp_eq_u32 s25, s35
	s_cselect_b32 s25, s34, s39
	s_delay_alu instid0(SALU_CYCLE_1) | instskip(SKIP_3) | instid1(SALU_CYCLE_1)
	s_cmp_lg_u32 s25, 0
	s_cselect_b32 s35, s41, s21
	s_cselect_b32 s34, s40, s7
	s_xor_b64 s[22:23], s[36:37], s[22:23]
	s_xor_b64 s[34:35], s[34:35], s[22:23]
	s_delay_alu instid0(SALU_CYCLE_1)
	s_sub_u32 s22, s34, s22
	s_subb_u32 s23, s35, s23
	s_and_not1_b32 vcc_lo, exec_lo, s24
	s_cbranch_vccnz .LBB72_7
.LBB72_6:
	v_cvt_f32_u32_e32 v1, s30
	s_sub_i32 s21, 0, s30
	s_delay_alu instid0(VALU_DEP_1) | instskip(SKIP_2) | instid1(VALU_DEP_1)
	v_rcp_iflag_f32_e32 v1, v1
	s_waitcnt_depctr 0xfff
	v_mul_f32_e32 v1, 0x4f7ffffe, v1
	v_cvt_u32_f32_e32 v1, v1
	s_delay_alu instid0(VALU_DEP_1) | instskip(NEXT) | instid1(VALU_DEP_1)
	v_readfirstlane_b32 s7, v1
	s_mul_i32 s21, s21, s7
	s_delay_alu instid0(SALU_CYCLE_1) | instskip(NEXT) | instid1(SALU_CYCLE_1)
	s_mul_hi_u32 s21, s7, s21
	s_add_i32 s7, s7, s21
	s_delay_alu instid0(SALU_CYCLE_1) | instskip(NEXT) | instid1(SALU_CYCLE_1)
	s_mul_hi_u32 s7, s28, s7
	s_mul_i32 s21, s7, s30
	s_add_i32 s22, s7, 1
	s_sub_i32 s21, s28, s21
	s_delay_alu instid0(SALU_CYCLE_1)
	s_sub_i32 s23, s21, s30
	s_cmp_ge_u32 s21, s30
	s_cselect_b32 s7, s22, s7
	s_cselect_b32 s21, s23, s21
	s_add_i32 s22, s7, 1
	s_cmp_ge_u32 s21, s30
	s_mov_b32 s23, 0
	s_cselect_b32 s22, s22, s7
.LBB72_7:
	s_load_b64 s[24:25], s[0:1], 0x78
	s_mul_i32 s7, s22, s31
	s_mul_hi_u32 s21, s22, s30
	s_mul_i32 s31, s23, s4
	s_add_i32 s7, s21, s7
	s_mul_i32 s21, s23, s30
	s_mul_i32 s30, s22, s30
	s_add_i32 s21, s7, s21
	s_sub_u32 s7, s28, s30
	s_subb_u32 s21, s29, s21
	s_mul_hi_u32 s30, s22, s4
	s_mul_i32 s34, s22, s4
	s_mul_hi_u32 s29, s7, s5
	s_mul_i32 s23, s21, s5
	s_mul_i32 s28, s7, s5
	s_mov_b32 s35, exec_lo
	v_cmpx_gt_i32_e64 s20, v0
	s_cbranch_execz .LBB72_46
; %bb.8:
	s_load_b32 s38, s[0:1], 0x8c
	s_mul_i32 s9, s16, s9
	s_mul_hi_u32 s37, s16, s8
	s_mul_i32 s36, s16, s8
	s_add_i32 s37, s37, s9
	s_ashr_i32 s21, s20, 31
	s_lshl_b64 s[40:41], s[36:37], 2
	s_waitcnt lgkmcnt(0)
	s_load_b32 s8, s[24:25], 0x0
	s_add_u32 s9, s12, s40
	s_addc_u32 s36, s13, s41
	s_ashr_i32 s37, s4, 31
	s_ashr_i32 s39, s5, 31
	s_mul_i32 s37, s22, s37
	s_mul_i32 s39, s7, s39
	s_add_i32 s37, s30, s37
	s_add_i32 s39, s29, s39
	;; [unrolled: 1-line block ×3, first 2 shown]
	s_lshl_b64 s[42:43], s[20:21], 2
	s_ashr_i32 s44, s6, 31
	s_add_i32 s39, s39, s23
	s_and_b32 s37, s38, 0xffff
	v_dual_mov_b32 v2, 0 :: v_dual_lshlrev_b32 v9, 2, v0
	s_lshl_b32 s38, s37, 2
	s_add_u32 s26, s26, s42
	s_addc_u32 s27, s27, s43
	s_add_u32 s26, s2, s26
	s_addc_u32 s3, s3, s27
	s_add_u32 s2, s40, s42
	s_addc_u32 s27, s41, s43
	s_add_u32 s12, s12, s2
	s_addc_u32 s13, s13, s27
	s_add_u32 s2, s34, s28
	s_addc_u32 s27, s45, s39
	s_add_u32 s2, s2, s6
	s_addc_u32 s27, s27, s44
	s_add_u32 s2, s18, s2
	s_addc_u32 s27, s19, s27
	v_add_co_u32 v3, s2, s2, v0
	s_delay_alu instid0(VALU_DEP_1)
	v_add_co_ci_u32_e64 v4, null, s27, 0, s2
	v_mov_b32_e32 v10, v0
	s_mov_b32 s27, 0
	s_branch .LBB72_10
.LBB72_9:                               ;   in Loop: Header=BB72_10 Depth=1
	s_or_b32 exec_lo, exec_lo, s2
	v_add_nc_u32_e32 v10, s37, v10
	v_add_co_u32 v5, vcc_lo, v3, s20
	s_add_u32 s17, s17, s38
	s_addc_u32 s33, s33, 0
	v_add_co_ci_u32_e32 v6, vcc_lo, s21, v4, vcc_lo
	s_add_u32 s26, s26, s38
	s_addc_u32 s3, s3, 0
	v_cmp_le_i32_e32 vcc_lo, s20, v10
	v_add_co_u32 v3, s2, v3, s37
	s_add_u32 s12, s12, s38
	s_addc_u32 s13, s13, 0
	v_add_co_ci_u32_e64 v4, s2, 0, v4, s2
	s_add_u32 s9, s9, s38
	s_addc_u32 s36, s36, 0
	s_or_b32 s27, vcc_lo, s27
	global_store_b8 v[5:6], v7, off
	s_and_not1_b32 exec_lo, exec_lo, s27
	s_cbranch_execz .LBB72_46
.LBB72_10:                              ; =>This Inner Loop Header: Depth=1
	v_add_co_u32 v5, s2, s26, v9
	s_delay_alu instid0(VALU_DEP_1) | instskip(SKIP_1) | instid1(VALU_DEP_1)
	v_add_co_ci_u32_e64 v6, null, s3, 0, s2
	v_add_co_u32 v7, s2, s17, v9
	v_add_co_ci_u32_e64 v8, null, s33, 0, s2
	v_add_co_u32 v13, s2, s12, v9
	s_delay_alu instid0(VALU_DEP_1) | instskip(SKIP_1) | instid1(VALU_DEP_1)
	v_add_co_ci_u32_e64 v14, null, s13, 0, s2
	v_add_co_u32 v15, s2, s9, v9
	v_add_co_ci_u32_e64 v16, null, s36, 0, s2
	global_load_b32 v1, v[5:6], off
	global_load_b32 v6, v[13:14], off
	;; [unrolled: 1-line block ×4, first 2 shown]
	s_mov_b32 s2, exec_lo
	s_waitcnt vmcnt(2)
	v_mul_f32_e32 v5, v1, v6
	s_waitcnt vmcnt(0)
	s_delay_alu instid0(VALU_DEP_1) | instskip(NEXT) | instid1(VALU_DEP_1)
	v_fma_f32 v20, v8, v19, -v5
	v_cvt_f32_f16_e32 v5, v20
	s_waitcnt lgkmcnt(0)
	s_delay_alu instid0(VALU_DEP_1) | instskip(NEXT) | instid1(VALU_DEP_1)
	v_div_scale_f32 v7, null, s8, s8, v5
	v_rcp_f32_e32 v11, v7
	s_waitcnt_depctr 0xfff
	v_fma_f32 v12, -v7, v11, 1.0
	s_delay_alu instid0(VALU_DEP_1) | instskip(SKIP_1) | instid1(VALU_DEP_1)
	v_fmac_f32_e32 v11, v12, v11
	v_div_scale_f32 v12, vcc_lo, v5, s8, v5
	v_mul_f32_e32 v17, v12, v11
	s_delay_alu instid0(VALU_DEP_1) | instskip(NEXT) | instid1(VALU_DEP_1)
	v_fma_f32 v18, -v7, v17, v12
	v_fmac_f32_e32 v17, v18, v11
	v_mov_b32_e32 v18, v2
	s_delay_alu instid0(VALU_DEP_2) | instskip(NEXT) | instid1(VALU_DEP_1)
	v_fma_f32 v7, -v7, v17, v12
	v_div_fmas_f32 v7, v7, v11, v17
	s_delay_alu instid0(VALU_DEP_1) | instskip(NEXT) | instid1(VALU_DEP_1)
	v_div_fixup_f32 v5, v7, s8, v5
	v_cvt_f16_f32_e32 v5, v5
	s_delay_alu instid0(VALU_DEP_1) | instskip(NEXT) | instid1(VALU_DEP_1)
	v_cvt_f32_f16_e32 v5, v5
	v_lshrrev_b32_e32 v7, 24, v5
	v_mul_f32_e32 v11, v8, v6
	v_and_b32_e32 v17, 0x7f800000, v5
	s_delay_alu instid0(VALU_DEP_3) | instskip(NEXT) | instid1(VALU_DEP_3)
	v_and_b32_e32 v12, 0x80, v7
	v_fmac_f32_e32 v11, v1, v19
	v_and_b32_e32 v1, 0x7fffff, v5
	global_store_b32 v[15:16], v20, off
	global_store_b32 v[13:14], v11, off
	v_or_b32_e32 v6, 0x7e, v12
	v_cmpx_ne_u64_e32 0x7f800000, v[17:18]
	s_xor_b32 s39, exec_lo, s2
	s_cbranch_execz .LBB72_26
; %bb.11:                               ;   in Loop: Header=BB72_10 Depth=1
	v_dual_mov_b32 v8, v2 :: v_dual_and_b32 v7, 0x7fffffff, v5
	s_mov_b32 s2, exec_lo
	s_delay_alu instid0(VALU_DEP_1)
	v_cmpx_gt_u64_e32 0x43e00001, v[7:8]
	s_xor_b32 s40, exec_lo, s2
	s_cbranch_execz .LBB72_25
; %bb.12:                               ;   in Loop: Header=BB72_10 Depth=1
	v_mov_b32_e32 v6, 0
	s_mov_b32 s41, exec_lo
	v_cmpx_ne_u32_e32 0, v5
	s_cbranch_execz .LBB72_24
; %bb.13:                               ;   in Loop: Header=BB72_10 Depth=1
	v_bfe_u32 v13, v5, 23, 8
	v_or_b32_e32 v7, 0x800000, v1
	s_delay_alu instid0(VALU_DEP_2) | instskip(SKIP_1) | instid1(VALU_DEP_2)
	v_sub_nc_u32_e32 v5, 0x79, v13
	v_cmp_gt_u32_e32 vcc_lo, 0x7a, v13
	v_cndmask_b32_e32 v5, 0, v5, vcc_lo
	v_cmp_eq_u32_e32 vcc_lo, 0, v13
	s_delay_alu instid0(VALU_DEP_2) | instskip(SKIP_1) | instid1(VALU_DEP_2)
	v_cndmask_b32_e64 v14, v5, 0x78, vcc_lo
	v_cndmask_b32_e32 v1, v7, v1, vcc_lo
	v_add_nc_u32_e32 v5, 20, v14
	v_add_nc_u32_e32 v7, 19, v14
	s_delay_alu instid0(VALU_DEP_2) | instskip(NEXT) | instid1(VALU_DEP_2)
	v_lshlrev_b64 v[5:6], v5, -1
	v_lshlrev_b64 v[7:8], v7, 1
	s_delay_alu instid0(VALU_DEP_2) | instskip(NEXT) | instid1(VALU_DEP_3)
	v_not_b32_e32 v6, v6
	v_not_b32_e32 v5, v5
	s_delay_alu instid0(VALU_DEP_2) | instskip(NEXT) | instid1(VALU_DEP_2)
	v_and_b32_e32 v16, 0, v6
	v_and_b32_e32 v15, v1, v5
	v_lshrrev_b64 v[5:6], v14, v[1:2]
	s_delay_alu instid0(VALU_DEP_2) | instskip(NEXT) | instid1(VALU_DEP_2)
	v_cmp_eq_u64_e64 s2, v[15:16], v[7:8]
	v_dual_mov_b32 v8, v6 :: v_dual_mov_b32 v7, v5
	s_delay_alu instid0(VALU_DEP_2)
	s_and_saveexec_b32 s42, s2
; %bb.14:                               ;   in Loop: Header=BB72_10 Depth=1
	v_bfe_u32 v1, v5, 20, 1
	s_delay_alu instid0(VALU_DEP_1) | instskip(NEXT) | instid1(VALU_DEP_1)
	v_add_co_u32 v1, s2, v5, v1
	v_add_co_u32 v7, s2, v1, -1
; %bb.15:                               ;   in Loop: Header=BB72_10 Depth=1
	s_or_b32 exec_lo, exec_lo, s42
	v_add_nc_u32_e32 v1, 0xffffff81, v13
	v_lshrrev_b32_e32 v8, 23, v5
	s_mov_b32 s2, exec_lo
	s_delay_alu instid0(VALU_DEP_2) | instskip(NEXT) | instid1(VALU_DEP_1)
	v_cndmask_b32_e64 v1, v1, 0xffffff82, vcc_lo
	v_add3_u32 v8, v14, v1, v8
	v_and_b32_e32 v1, 0xfffff, v7
	s_delay_alu instid0(VALU_DEP_2) | instskip(NEXT) | instid1(VALU_DEP_2)
	v_add_nc_u32_e32 v7, 6, v8
	v_add_co_u32 v5, vcc_lo, v1, v5
	v_add_co_ci_u32_e32 v6, vcc_lo, 0, v6, vcc_lo
                                        ; implicit-def: $vgpr1
	s_delay_alu instid0(VALU_DEP_3)
	v_cmpx_ne_u32_e32 0, v7
	s_xor_b32 s2, exec_lo, s2
; %bb.16:                               ;   in Loop: Header=BB72_10 Depth=1
	s_delay_alu instid0(VALU_DEP_2) | instskip(SKIP_1) | instid1(VALU_DEP_1)
	v_cmp_lt_u64_e32 vcc_lo, 0xffffff, v[5:6]
	v_add_nc_u32_e32 v1, 7, v8
	v_cndmask_b32_e32 v1, v7, v1, vcc_lo
	v_cndmask_b32_e64 v7, 0, 1, vcc_lo
	s_delay_alu instid0(VALU_DEP_1)
	v_lshrrev_b64 v[5:6], v7, v[5:6]
; %bb.17:                               ;   in Loop: Header=BB72_10 Depth=1
	s_and_not1_saveexec_b32 s2, s2
; %bb.18:                               ;   in Loop: Header=BB72_10 Depth=1
	s_delay_alu instid0(VALU_DEP_1)
	v_bfe_u32 v1, v5, 23, 1
; %bb.19:                               ;   in Loop: Header=BB72_10 Depth=1
	s_or_b32 exec_lo, exec_lo, s2
	s_delay_alu instid0(VALU_DEP_2) | instskip(NEXT) | instid1(VALU_DEP_2)
	v_lshrrev_b64 v[5:6], 20, v[5:6]
	v_cmp_gt_i32_e32 vcc_lo, 16, v1
	v_cmp_ne_u32_e64 s2, 0, v1
	s_delay_alu instid0(VALU_DEP_3) | instskip(NEXT) | instid1(VALU_DEP_1)
	v_dual_cndmask_b32 v6, 0, v6 :: v_dual_cndmask_b32 v5, 7, v5
	v_cmp_ne_u64_e32 vcc_lo, 0, v[5:6]
                                        ; implicit-def: $vgpr6
	s_delay_alu instid0(VALU_DEP_3) | instskip(NEXT) | instid1(SALU_CYCLE_1)
	s_or_b32 s2, s2, vcc_lo
	s_and_saveexec_b32 s42, s2
	s_delay_alu instid0(SALU_CYCLE_1)
	s_xor_b32 s2, exec_lo, s42
; %bb.20:                               ;   in Loop: Header=BB72_10 Depth=1
	v_min_i32_e32 v1, 15, v1
	s_delay_alu instid0(VALU_DEP_1) | instskip(NEXT) | instid1(VALU_DEP_1)
	v_lshl_or_b32 v1, v1, 3, v12
                                        ; implicit-def: $vgpr12
	v_and_or_b32 v6, v5, 7, v1
; %bb.21:                               ;   in Loop: Header=BB72_10 Depth=1
	s_and_not1_saveexec_b32 s2, s2
; %bb.22:                               ;   in Loop: Header=BB72_10 Depth=1
	v_mov_b32_e32 v6, v12
; %bb.23:                               ;   in Loop: Header=BB72_10 Depth=1
	s_or_b32 exec_lo, exec_lo, s2
.LBB72_24:                              ;   in Loop: Header=BB72_10 Depth=1
	s_delay_alu instid0(SALU_CYCLE_1)
	s_or_b32 exec_lo, exec_lo, s41
.LBB72_25:                              ;   in Loop: Header=BB72_10 Depth=1
	s_and_not1_saveexec_b32 s2, s40
	s_delay_alu instid0(SALU_CYCLE_1)
	s_or_b32 exec_lo, exec_lo, s2
                                        ; implicit-def: $vgpr7
.LBB72_26:                              ;   in Loop: Header=BB72_10 Depth=1
	s_and_not1_saveexec_b32 s2, s39
; %bb.27:                               ;   in Loop: Header=BB72_10 Depth=1
	v_cmp_eq_u64_e32 vcc_lo, 0, v[1:2]
	v_or_b32_e32 v5, 0x7f, v7
	s_delay_alu instid0(VALU_DEP_1)
	v_cndmask_b32_e32 v6, v5, v6, vcc_lo
; %bb.28:                               ;   in Loop: Header=BB72_10 Depth=1
	s_or_b32 exec_lo, exec_lo, s2
	v_cvt_f32_f16_e32 v1, v11
	v_mov_b32_e32 v13, v2
	global_store_b8 v[3:4], v6, off
	s_mov_b32 s2, exec_lo
	v_div_scale_f32 v5, null, s8, s8, v1
	s_delay_alu instid0(VALU_DEP_1) | instskip(SKIP_2) | instid1(VALU_DEP_1)
	v_rcp_f32_e32 v7, v5
	s_waitcnt_depctr 0xfff
	v_fma_f32 v8, -v5, v7, 1.0
	v_fmac_f32_e32 v7, v8, v7
	v_div_scale_f32 v8, vcc_lo, v1, s8, v1
	s_delay_alu instid0(VALU_DEP_1) | instskip(NEXT) | instid1(VALU_DEP_1)
	v_mul_f32_e32 v11, v8, v7
	v_fma_f32 v12, -v5, v11, v8
	s_delay_alu instid0(VALU_DEP_1) | instskip(NEXT) | instid1(VALU_DEP_1)
	v_fmac_f32_e32 v11, v12, v7
	v_fma_f32 v5, -v5, v11, v8
	s_delay_alu instid0(VALU_DEP_1) | instskip(NEXT) | instid1(VALU_DEP_1)
	v_div_fmas_f32 v5, v5, v7, v11
	v_div_fixup_f32 v1, v5, s8, v1
	s_delay_alu instid0(VALU_DEP_1) | instskip(NEXT) | instid1(VALU_DEP_1)
	v_cvt_f16_f32_e32 v1, v1
	v_cvt_f32_f16_e32 v5, v1
	s_delay_alu instid0(VALU_DEP_1) | instskip(SKIP_2) | instid1(VALU_DEP_2)
	v_and_b32_e32 v12, 0x7f800000, v5
	v_lshrrev_b32_e32 v8, 24, v5
	v_and_b32_e32 v1, 0x7fffff, v5
	v_and_b32_e32 v11, 0x80, v8
	s_delay_alu instid0(VALU_DEP_1)
	v_or_b32_e32 v7, 0x7e, v11
	v_cmpx_ne_u64_e32 0x7f800000, v[12:13]
	s_xor_b32 s39, exec_lo, s2
	s_cbranch_execz .LBB72_44
; %bb.29:                               ;   in Loop: Header=BB72_10 Depth=1
	v_dual_mov_b32 v13, v2 :: v_dual_and_b32 v12, 0x7fffffff, v5
	s_mov_b32 s2, exec_lo
	s_delay_alu instid0(VALU_DEP_1)
	v_cmpx_gt_u64_e32 0x43e00001, v[12:13]
	s_xor_b32 s40, exec_lo, s2
	s_cbranch_execz .LBB72_43
; %bb.30:                               ;   in Loop: Header=BB72_10 Depth=1
	v_mov_b32_e32 v7, 0
	s_mov_b32 s41, exec_lo
	v_cmpx_ne_u32_e32 0, v5
	s_cbranch_execz .LBB72_42
; %bb.31:                               ;   in Loop: Header=BB72_10 Depth=1
	v_bfe_u32 v12, v5, 23, 8
	v_or_b32_e32 v7, 0x800000, v1
	s_delay_alu instid0(VALU_DEP_2) | instskip(SKIP_1) | instid1(VALU_DEP_2)
	v_sub_nc_u32_e32 v5, 0x79, v12
	v_cmp_gt_u32_e32 vcc_lo, 0x7a, v12
	v_cndmask_b32_e32 v5, 0, v5, vcc_lo
	v_cmp_eq_u32_e32 vcc_lo, 0, v12
	s_delay_alu instid0(VALU_DEP_2) | instskip(SKIP_1) | instid1(VALU_DEP_2)
	v_cndmask_b32_e64 v13, v5, 0x78, vcc_lo
	v_cndmask_b32_e32 v1, v7, v1, vcc_lo
	v_add_nc_u32_e32 v5, 20, v13
	v_add_nc_u32_e32 v7, 19, v13
	s_delay_alu instid0(VALU_DEP_2) | instskip(NEXT) | instid1(VALU_DEP_2)
	v_lshlrev_b64 v[5:6], v5, -1
	v_lshlrev_b64 v[7:8], v7, 1
	s_delay_alu instid0(VALU_DEP_2) | instskip(NEXT) | instid1(VALU_DEP_3)
	v_not_b32_e32 v6, v6
	v_not_b32_e32 v5, v5
	s_delay_alu instid0(VALU_DEP_2) | instskip(NEXT) | instid1(VALU_DEP_2)
	v_and_b32_e32 v15, 0, v6
	v_and_b32_e32 v14, v1, v5
	v_lshrrev_b64 v[5:6], v13, v[1:2]
	s_delay_alu instid0(VALU_DEP_2) | instskip(NEXT) | instid1(VALU_DEP_2)
	v_cmp_eq_u64_e64 s2, v[14:15], v[7:8]
	v_dual_mov_b32 v8, v6 :: v_dual_mov_b32 v7, v5
	s_delay_alu instid0(VALU_DEP_2)
	s_and_saveexec_b32 s42, s2
; %bb.32:                               ;   in Loop: Header=BB72_10 Depth=1
	v_bfe_u32 v1, v5, 20, 1
	s_delay_alu instid0(VALU_DEP_1) | instskip(NEXT) | instid1(VALU_DEP_1)
	v_add_co_u32 v1, s2, v5, v1
	v_add_co_u32 v7, s2, v1, -1
; %bb.33:                               ;   in Loop: Header=BB72_10 Depth=1
	s_or_b32 exec_lo, exec_lo, s42
	v_add_nc_u32_e32 v1, 0xffffff81, v12
	v_lshrrev_b32_e32 v8, 23, v5
	s_mov_b32 s2, exec_lo
	s_delay_alu instid0(VALU_DEP_2) | instskip(NEXT) | instid1(VALU_DEP_1)
	v_cndmask_b32_e64 v1, v1, 0xffffff82, vcc_lo
	v_add3_u32 v8, v13, v1, v8
	v_and_b32_e32 v1, 0xfffff, v7
	s_delay_alu instid0(VALU_DEP_2) | instskip(NEXT) | instid1(VALU_DEP_2)
	v_add_nc_u32_e32 v7, 6, v8
	v_add_co_u32 v5, vcc_lo, v1, v5
	v_add_co_ci_u32_e32 v6, vcc_lo, 0, v6, vcc_lo
                                        ; implicit-def: $vgpr1
	s_delay_alu instid0(VALU_DEP_3)
	v_cmpx_ne_u32_e32 0, v7
	s_xor_b32 s2, exec_lo, s2
; %bb.34:                               ;   in Loop: Header=BB72_10 Depth=1
	s_delay_alu instid0(VALU_DEP_2) | instskip(SKIP_1) | instid1(VALU_DEP_1)
	v_cmp_lt_u64_e32 vcc_lo, 0xffffff, v[5:6]
	v_add_nc_u32_e32 v1, 7, v8
	v_cndmask_b32_e32 v1, v7, v1, vcc_lo
	v_cndmask_b32_e64 v7, 0, 1, vcc_lo
	s_delay_alu instid0(VALU_DEP_1)
	v_lshrrev_b64 v[5:6], v7, v[5:6]
; %bb.35:                               ;   in Loop: Header=BB72_10 Depth=1
	s_and_not1_saveexec_b32 s2, s2
; %bb.36:                               ;   in Loop: Header=BB72_10 Depth=1
	s_delay_alu instid0(VALU_DEP_1)
	v_bfe_u32 v1, v5, 23, 1
; %bb.37:                               ;   in Loop: Header=BB72_10 Depth=1
	s_or_b32 exec_lo, exec_lo, s2
	s_delay_alu instid0(VALU_DEP_2) | instskip(NEXT) | instid1(VALU_DEP_2)
	v_lshrrev_b64 v[5:6], 20, v[5:6]
	v_cmp_gt_i32_e32 vcc_lo, 16, v1
	v_cmp_ne_u32_e64 s2, 0, v1
                                        ; implicit-def: $vgpr7
	s_delay_alu instid0(VALU_DEP_3) | instskip(NEXT) | instid1(VALU_DEP_1)
	v_dual_cndmask_b32 v6, 0, v6 :: v_dual_cndmask_b32 v5, 7, v5
	v_cmp_ne_u64_e32 vcc_lo, 0, v[5:6]
	s_delay_alu instid0(VALU_DEP_3) | instskip(NEXT) | instid1(SALU_CYCLE_1)
	s_or_b32 s2, s2, vcc_lo
	s_and_saveexec_b32 s42, s2
	s_delay_alu instid0(SALU_CYCLE_1)
	s_xor_b32 s2, exec_lo, s42
; %bb.38:                               ;   in Loop: Header=BB72_10 Depth=1
	v_min_i32_e32 v1, 15, v1
	s_delay_alu instid0(VALU_DEP_1) | instskip(NEXT) | instid1(VALU_DEP_1)
	v_lshl_or_b32 v1, v1, 3, v11
                                        ; implicit-def: $vgpr11
	v_and_or_b32 v7, v5, 7, v1
; %bb.39:                               ;   in Loop: Header=BB72_10 Depth=1
	s_and_not1_saveexec_b32 s2, s2
; %bb.40:                               ;   in Loop: Header=BB72_10 Depth=1
	v_mov_b32_e32 v7, v11
; %bb.41:                               ;   in Loop: Header=BB72_10 Depth=1
	s_or_b32 exec_lo, exec_lo, s2
.LBB72_42:                              ;   in Loop: Header=BB72_10 Depth=1
	s_delay_alu instid0(SALU_CYCLE_1)
	s_or_b32 exec_lo, exec_lo, s41
.LBB72_43:                              ;   in Loop: Header=BB72_10 Depth=1
	s_and_not1_saveexec_b32 s2, s40
	s_delay_alu instid0(SALU_CYCLE_1)
	s_or_b32 exec_lo, exec_lo, s2
                                        ; implicit-def: $vgpr8
.LBB72_44:                              ;   in Loop: Header=BB72_10 Depth=1
	s_and_not1_saveexec_b32 s2, s39
	s_cbranch_execz .LBB72_9
; %bb.45:                               ;   in Loop: Header=BB72_10 Depth=1
	v_cmp_eq_u64_e32 vcc_lo, 0, v[1:2]
	v_or_b32_e32 v5, 0x7f, v8
	s_delay_alu instid0(VALU_DEP_1)
	v_cndmask_b32_e32 v7, v5, v7, vcc_lo
	s_branch .LBB72_9
.LBB72_46:
	s_or_b32 exec_lo, exec_lo, s35
	s_delay_alu instid0(SALU_CYCLE_1)
	s_mov_b32 s2, exec_lo
	v_cmpx_gt_i32_e64 s6, v0
	s_cbranch_execz .LBB72_67
; %bb.47:
	s_mul_i32 s3, s16, s11
	s_mul_hi_u32 s8, s16, s10
	s_mul_i32 s2, s16, s10
	s_add_i32 s3, s8, s3
	s_load_b32 s0, s[0:1], 0x8c
	s_lshl_b64 s[2:3], s[2:3], 2
	v_mov_b32_e32 v3, 0
	s_add_u32 s1, s14, s2
	s_addc_u32 s2, s15, s3
	s_waitcnt lgkmcnt(0)
	s_load_b32 s3, s[24:25], 0x0
	s_ashr_i32 s4, s4, 31
	s_delay_alu instid0(SALU_CYCLE_1) | instskip(NEXT) | instid1(SALU_CYCLE_1)
	s_mul_i32 s4, s22, s4
	s_add_i32 s4, s30, s4
	s_delay_alu instid0(SALU_CYCLE_1) | instskip(SKIP_3) | instid1(SALU_CYCLE_1)
	s_add_i32 s4, s4, s31
	s_add_u32 s8, s18, s34
	s_addc_u32 s9, s19, s4
	s_ashr_i32 s4, s5, 31
	s_mul_i32 s7, s7, s4
	s_delay_alu instid0(SALU_CYCLE_1) | instskip(NEXT) | instid1(SALU_CYCLE_1)
	s_add_i32 s4, s29, s7
	s_add_i32 s5, s4, s23
	s_add_u32 s4, s8, s28
	s_addc_u32 s5, s9, s5
	s_and_b32 s7, s0, 0xffff
	s_mov_b32 s8, 0
	s_branch .LBB72_49
.LBB72_48:                              ;   in Loop: Header=BB72_49 Depth=1
	s_or_b32 exec_lo, exec_lo, s0
	v_add_co_u32 v6, vcc_lo, s4, v0
	v_add_nc_u32_e32 v0, s7, v0
	v_add_co_ci_u32_e32 v7, vcc_lo, s5, v1, vcc_lo
	s_delay_alu instid0(VALU_DEP_2) | instskip(SKIP_2) | instid1(SALU_CYCLE_1)
	v_cmp_le_i32_e32 vcc_lo, s6, v0
	global_store_b8 v[6:7], v5, off
	s_or_b32 s8, vcc_lo, s8
	s_and_not1_b32 exec_lo, exec_lo, s8
	s_cbranch_execz .LBB72_67
.LBB72_49:                              ; =>This Inner Loop Header: Depth=1
	v_ashrrev_i32_e32 v1, 31, v0
	s_mov_b32 s0, exec_lo
	v_mov_b32_e32 v10, v3
	s_delay_alu instid0(VALU_DEP_2) | instskip(NEXT) | instid1(VALU_DEP_1)
	v_lshlrev_b64 v[4:5], 2, v[0:1]
	v_add_co_u32 v4, vcc_lo, s1, v4
	s_delay_alu instid0(VALU_DEP_2) | instskip(SKIP_4) | instid1(VALU_DEP_1)
	v_add_co_ci_u32_e32 v5, vcc_lo, s2, v5, vcc_lo
	global_load_u16 v2, v[4:5], off
	s_waitcnt vmcnt(0)
	v_cvt_f32_f16_e32 v2, v2
	s_waitcnt lgkmcnt(0)
	v_div_scale_f32 v4, null, s3, s3, v2
	s_delay_alu instid0(VALU_DEP_1) | instskip(SKIP_2) | instid1(VALU_DEP_1)
	v_rcp_f32_e32 v5, v4
	s_waitcnt_depctr 0xfff
	v_fma_f32 v6, -v4, v5, 1.0
	v_fmac_f32_e32 v5, v6, v5
	v_div_scale_f32 v6, vcc_lo, v2, s3, v2
	s_delay_alu instid0(VALU_DEP_1) | instskip(NEXT) | instid1(VALU_DEP_1)
	v_mul_f32_e32 v7, v6, v5
	v_fma_f32 v8, -v4, v7, v6
	s_delay_alu instid0(VALU_DEP_1) | instskip(NEXT) | instid1(VALU_DEP_1)
	v_fmac_f32_e32 v7, v8, v5
	v_fma_f32 v4, -v4, v7, v6
	s_delay_alu instid0(VALU_DEP_1) | instskip(NEXT) | instid1(VALU_DEP_1)
	v_div_fmas_f32 v4, v4, v5, v7
	v_div_fixup_f32 v2, v4, s3, v2
	s_delay_alu instid0(VALU_DEP_1) | instskip(NEXT) | instid1(VALU_DEP_1)
	v_cvt_f16_f32_e32 v2, v2
	v_cvt_f32_f16_e32 v4, v2
	s_delay_alu instid0(VALU_DEP_1) | instskip(SKIP_2) | instid1(VALU_DEP_2)
	v_and_b32_e32 v2, 0x7fffff, v4
	v_lshrrev_b32_e32 v6, 24, v4
	v_and_b32_e32 v9, 0x7f800000, v4
	v_and_b32_e32 v8, 0x80, v6
	s_delay_alu instid0(VALU_DEP_1) | instskip(NEXT) | instid1(VALU_DEP_3)
	v_or_b32_e32 v5, 0x7e, v8
	v_cmpx_ne_u64_e32 0x7f800000, v[9:10]
	s_xor_b32 s9, exec_lo, s0
	s_cbranch_execz .LBB72_65
; %bb.50:                               ;   in Loop: Header=BB72_49 Depth=1
	v_dual_mov_b32 v7, v3 :: v_dual_and_b32 v6, 0x7fffffff, v4
	s_mov_b32 s0, exec_lo
	s_delay_alu instid0(VALU_DEP_1)
	v_cmpx_gt_u64_e32 0x43e00001, v[6:7]
	s_xor_b32 s10, exec_lo, s0
	s_cbranch_execz .LBB72_64
; %bb.51:                               ;   in Loop: Header=BB72_49 Depth=1
	v_mov_b32_e32 v5, 0
	s_mov_b32 s11, exec_lo
	v_cmpx_ne_u32_e32 0, v4
	s_cbranch_execz .LBB72_63
; %bb.52:                               ;   in Loop: Header=BB72_49 Depth=1
	v_bfe_u32 v9, v4, 23, 8
	v_or_b32_e32 v6, 0x800000, v2
	s_delay_alu instid0(VALU_DEP_2) | instskip(SKIP_1) | instid1(VALU_DEP_2)
	v_sub_nc_u32_e32 v4, 0x79, v9
	v_cmp_gt_u32_e32 vcc_lo, 0x7a, v9
	v_cndmask_b32_e32 v4, 0, v4, vcc_lo
	v_cmp_eq_u32_e32 vcc_lo, 0, v9
	s_delay_alu instid0(VALU_DEP_2) | instskip(SKIP_1) | instid1(VALU_DEP_2)
	v_cndmask_b32_e64 v10, v4, 0x78, vcc_lo
	v_cndmask_b32_e32 v2, v6, v2, vcc_lo
	v_add_nc_u32_e32 v4, 20, v10
	v_add_nc_u32_e32 v6, 19, v10
	s_delay_alu instid0(VALU_DEP_2) | instskip(NEXT) | instid1(VALU_DEP_2)
	v_lshlrev_b64 v[4:5], v4, -1
	v_lshlrev_b64 v[6:7], v6, 1
	s_delay_alu instid0(VALU_DEP_2) | instskip(NEXT) | instid1(VALU_DEP_3)
	v_not_b32_e32 v5, v5
	v_not_b32_e32 v4, v4
	s_delay_alu instid0(VALU_DEP_2) | instskip(NEXT) | instid1(VALU_DEP_2)
	v_and_b32_e32 v12, 0, v5
	v_and_b32_e32 v11, v2, v4
	v_lshrrev_b64 v[4:5], v10, v[2:3]
	s_delay_alu instid0(VALU_DEP_2) | instskip(NEXT) | instid1(VALU_DEP_2)
	v_cmp_eq_u64_e64 s0, v[11:12], v[6:7]
	v_dual_mov_b32 v7, v5 :: v_dual_mov_b32 v6, v4
	s_delay_alu instid0(VALU_DEP_2)
	s_and_saveexec_b32 s12, s0
; %bb.53:                               ;   in Loop: Header=BB72_49 Depth=1
	v_bfe_u32 v2, v4, 20, 1
	s_delay_alu instid0(VALU_DEP_1) | instskip(NEXT) | instid1(VALU_DEP_1)
	v_add_co_u32 v2, s0, v4, v2
	v_add_co_u32 v6, s0, v2, -1
; %bb.54:                               ;   in Loop: Header=BB72_49 Depth=1
	s_or_b32 exec_lo, exec_lo, s12
	v_add_nc_u32_e32 v2, 0xffffff81, v9
	v_lshrrev_b32_e32 v7, 23, v4
	s_mov_b32 s0, exec_lo
	s_delay_alu instid0(VALU_DEP_2) | instskip(NEXT) | instid1(VALU_DEP_1)
	v_cndmask_b32_e64 v2, v2, 0xffffff82, vcc_lo
	v_add3_u32 v7, v10, v2, v7
	v_and_b32_e32 v2, 0xfffff, v6
	s_delay_alu instid0(VALU_DEP_2) | instskip(NEXT) | instid1(VALU_DEP_2)
	v_add_nc_u32_e32 v6, 6, v7
	v_add_co_u32 v4, vcc_lo, v2, v4
	v_add_co_ci_u32_e32 v5, vcc_lo, 0, v5, vcc_lo
                                        ; implicit-def: $vgpr2
	s_delay_alu instid0(VALU_DEP_3)
	v_cmpx_ne_u32_e32 0, v6
	s_xor_b32 s0, exec_lo, s0
; %bb.55:                               ;   in Loop: Header=BB72_49 Depth=1
	s_delay_alu instid0(VALU_DEP_2) | instskip(SKIP_1) | instid1(VALU_DEP_1)
	v_cmp_lt_u64_e32 vcc_lo, 0xffffff, v[4:5]
	v_add_nc_u32_e32 v2, 7, v7
	v_cndmask_b32_e32 v2, v6, v2, vcc_lo
	v_cndmask_b32_e64 v6, 0, 1, vcc_lo
	s_delay_alu instid0(VALU_DEP_1)
	v_lshrrev_b64 v[4:5], v6, v[4:5]
; %bb.56:                               ;   in Loop: Header=BB72_49 Depth=1
	s_and_not1_saveexec_b32 s0, s0
; %bb.57:                               ;   in Loop: Header=BB72_49 Depth=1
	s_delay_alu instid0(VALU_DEP_1)
	v_bfe_u32 v2, v4, 23, 1
; %bb.58:                               ;   in Loop: Header=BB72_49 Depth=1
	s_or_b32 exec_lo, exec_lo, s0
	s_delay_alu instid0(VALU_DEP_2) | instskip(NEXT) | instid1(VALU_DEP_2)
	v_lshrrev_b64 v[4:5], 20, v[4:5]
	v_cmp_gt_i32_e32 vcc_lo, 16, v2
	v_cmp_ne_u32_e64 s0, 0, v2
	s_delay_alu instid0(VALU_DEP_3) | instskip(NEXT) | instid1(VALU_DEP_1)
	v_dual_cndmask_b32 v5, 0, v5 :: v_dual_cndmask_b32 v4, 7, v4
	v_cmp_ne_u64_e32 vcc_lo, 0, v[4:5]
                                        ; implicit-def: $vgpr5
	s_delay_alu instid0(VALU_DEP_3) | instskip(NEXT) | instid1(SALU_CYCLE_1)
	s_or_b32 s0, s0, vcc_lo
	s_and_saveexec_b32 s12, s0
	s_delay_alu instid0(SALU_CYCLE_1)
	s_xor_b32 s0, exec_lo, s12
; %bb.59:                               ;   in Loop: Header=BB72_49 Depth=1
	v_min_i32_e32 v2, 15, v2
	s_delay_alu instid0(VALU_DEP_1) | instskip(NEXT) | instid1(VALU_DEP_1)
	v_lshl_or_b32 v2, v2, 3, v8
                                        ; implicit-def: $vgpr8
	v_and_or_b32 v5, v4, 7, v2
; %bb.60:                               ;   in Loop: Header=BB72_49 Depth=1
	s_and_not1_saveexec_b32 s0, s0
; %bb.61:                               ;   in Loop: Header=BB72_49 Depth=1
	v_mov_b32_e32 v5, v8
; %bb.62:                               ;   in Loop: Header=BB72_49 Depth=1
	s_or_b32 exec_lo, exec_lo, s0
.LBB72_63:                              ;   in Loop: Header=BB72_49 Depth=1
	s_delay_alu instid0(SALU_CYCLE_1)
	s_or_b32 exec_lo, exec_lo, s11
.LBB72_64:                              ;   in Loop: Header=BB72_49 Depth=1
	s_and_not1_saveexec_b32 s0, s10
	s_delay_alu instid0(SALU_CYCLE_1)
	s_or_b32 exec_lo, exec_lo, s0
                                        ; implicit-def: $vgpr6
.LBB72_65:                              ;   in Loop: Header=BB72_49 Depth=1
	s_and_not1_saveexec_b32 s0, s9
	s_cbranch_execz .LBB72_48
; %bb.66:                               ;   in Loop: Header=BB72_49 Depth=1
	v_cmp_eq_u64_e32 vcc_lo, 0, v[2:3]
	v_or_b32_e32 v4, 0x7f, v6
	s_delay_alu instid0(VALU_DEP_1)
	v_cndmask_b32_e32 v5, v4, v5, vcc_lo
	s_branch .LBB72_48
.LBB72_67:
	s_nop 0
	s_sendmsg sendmsg(MSG_DEALLOC_VGPRS)
	s_endpgm
.LBB72_68:
                                        ; implicit-def: $sgpr22_sgpr23
	s_branch .LBB72_6
	.section	.rodata,"a",@progbits
	.p2align	6, 0x0
	.amdhsa_kernel _ZN4vllm38concat_and_cache_mla_rope_fused_kernelIffLb1EthLNS_18Fp8KVCacheDataTypeE1EEEvPKlPT_S5_PKS4_PKT0_illlliPT3_S3_iiiiPKf
		.amdhsa_group_segment_fixed_size 0
		.amdhsa_private_segment_fixed_size 0
		.amdhsa_kernarg_size 384
		.amdhsa_user_sgpr_count 15
		.amdhsa_user_sgpr_dispatch_ptr 0
		.amdhsa_user_sgpr_queue_ptr 0
		.amdhsa_user_sgpr_kernarg_segment_ptr 1
		.amdhsa_user_sgpr_dispatch_id 0
		.amdhsa_user_sgpr_private_segment_size 0
		.amdhsa_wavefront_size32 1
		.amdhsa_uses_dynamic_stack 0
		.amdhsa_enable_private_segment 0
		.amdhsa_system_sgpr_workgroup_id_x 1
		.amdhsa_system_sgpr_workgroup_id_y 0
		.amdhsa_system_sgpr_workgroup_id_z 0
		.amdhsa_system_sgpr_workgroup_info 0
		.amdhsa_system_vgpr_workitem_id 0
		.amdhsa_next_free_vgpr 21
		.amdhsa_next_free_sgpr 46
		.amdhsa_reserve_vcc 1
		.amdhsa_float_round_mode_32 0
		.amdhsa_float_round_mode_16_64 0
		.amdhsa_float_denorm_mode_32 3
		.amdhsa_float_denorm_mode_16_64 3
		.amdhsa_dx10_clamp 1
		.amdhsa_ieee_mode 1
		.amdhsa_fp16_overflow 0
		.amdhsa_workgroup_processor_mode 1
		.amdhsa_memory_ordered 1
		.amdhsa_forward_progress 0
		.amdhsa_shared_vgpr_count 0
		.amdhsa_exception_fp_ieee_invalid_op 0
		.amdhsa_exception_fp_denorm_src 0
		.amdhsa_exception_fp_ieee_div_zero 0
		.amdhsa_exception_fp_ieee_overflow 0
		.amdhsa_exception_fp_ieee_underflow 0
		.amdhsa_exception_fp_ieee_inexact 0
		.amdhsa_exception_int_div_zero 0
	.end_amdhsa_kernel
	.section	.text._ZN4vllm38concat_and_cache_mla_rope_fused_kernelIffLb1EthLNS_18Fp8KVCacheDataTypeE1EEEvPKlPT_S5_PKS4_PKT0_illlliPT3_S3_iiiiPKf,"axG",@progbits,_ZN4vllm38concat_and_cache_mla_rope_fused_kernelIffLb1EthLNS_18Fp8KVCacheDataTypeE1EEEvPKlPT_S5_PKS4_PKT0_illlliPT3_S3_iiiiPKf,comdat
.Lfunc_end72:
	.size	_ZN4vllm38concat_and_cache_mla_rope_fused_kernelIffLb1EthLNS_18Fp8KVCacheDataTypeE1EEEvPKlPT_S5_PKS4_PKT0_illlliPT3_S3_iiiiPKf, .Lfunc_end72-_ZN4vllm38concat_and_cache_mla_rope_fused_kernelIffLb1EthLNS_18Fp8KVCacheDataTypeE1EEEvPKlPT_S5_PKS4_PKT0_illlliPT3_S3_iiiiPKf
                                        ; -- End function
	.section	.AMDGPU.csdata,"",@progbits
; Kernel info:
; codeLenInByte = 4420
; NumSgprs: 48
; NumVgprs: 21
; ScratchSize: 0
; MemoryBound: 0
; FloatMode: 240
; IeeeMode: 1
; LDSByteSize: 0 bytes/workgroup (compile time only)
; SGPRBlocks: 5
; VGPRBlocks: 2
; NumSGPRsForWavesPerEU: 48
; NumVGPRsForWavesPerEU: 21
; Occupancy: 16
; WaveLimiterHint : 1
; COMPUTE_PGM_RSRC2:SCRATCH_EN: 0
; COMPUTE_PGM_RSRC2:USER_SGPR: 15
; COMPUTE_PGM_RSRC2:TRAP_HANDLER: 0
; COMPUTE_PGM_RSRC2:TGID_X_EN: 1
; COMPUTE_PGM_RSRC2:TGID_Y_EN: 0
; COMPUTE_PGM_RSRC2:TGID_Z_EN: 0
; COMPUTE_PGM_RSRC2:TIDIG_COMP_CNT: 0
	.section	.text._ZN4vllm38concat_and_cache_mla_rope_fused_kernelIffLb0EthLNS_18Fp8KVCacheDataTypeE1EEEvPKlPT_S5_PKS4_PKT0_illlliPT3_S3_iiiiPKf,"axG",@progbits,_ZN4vllm38concat_and_cache_mla_rope_fused_kernelIffLb0EthLNS_18Fp8KVCacheDataTypeE1EEEvPKlPT_S5_PKS4_PKT0_illlliPT3_S3_iiiiPKf,comdat
	.protected	_ZN4vllm38concat_and_cache_mla_rope_fused_kernelIffLb0EthLNS_18Fp8KVCacheDataTypeE1EEEvPKlPT_S5_PKS4_PKT0_illlliPT3_S3_iiiiPKf ; -- Begin function _ZN4vllm38concat_and_cache_mla_rope_fused_kernelIffLb0EthLNS_18Fp8KVCacheDataTypeE1EEEvPKlPT_S5_PKS4_PKT0_illlliPT3_S3_iiiiPKf
	.globl	_ZN4vllm38concat_and_cache_mla_rope_fused_kernelIffLb0EthLNS_18Fp8KVCacheDataTypeE1EEEvPKlPT_S5_PKS4_PKT0_illlliPT3_S3_iiiiPKf
	.p2align	8
	.type	_ZN4vllm38concat_and_cache_mla_rope_fused_kernelIffLb0EthLNS_18Fp8KVCacheDataTypeE1EEEvPKlPT_S5_PKS4_PKT0_illlliPT3_S3_iiiiPKf,@function
_ZN4vllm38concat_and_cache_mla_rope_fused_kernelIffLb0EthLNS_18Fp8KVCacheDataTypeE1EEEvPKlPT_S5_PKS4_PKT0_illlliPT3_S3_iiiiPKf: ; @_ZN4vllm38concat_and_cache_mla_rope_fused_kernelIffLb0EthLNS_18Fp8KVCacheDataTypeE1EEEvPKlPT_S5_PKS4_PKT0_illlliPT3_S3_iiiiPKf
; %bb.0:
	s_load_b64 s[4:5], s[0:1], 0x60
	s_mov_b32 s16, s15
	s_mov_b32 s17, 0
	s_delay_alu instid0(SALU_CYCLE_1)
	s_lshl_b64 s[2:3], s[16:17], 3
	s_waitcnt lgkmcnt(0)
	s_add_u32 s4, s4, s2
	s_addc_u32 s5, s5, s3
	s_load_b64 s[26:27], s[4:5], 0x0
	s_waitcnt lgkmcnt(0)
	v_cmp_lt_i64_e64 s4, s[26:27], 0
	s_delay_alu instid0(VALU_DEP_1)
	s_and_b32 vcc_lo, exec_lo, s4
	s_cbranch_vccnz .LBB73_67
; %bb.1:
	s_clause 0x3
	s_load_b32 s21, s[0:1], 0x28
	s_load_b64 s[4:5], s[0:1], 0x0
	s_load_b128 s[12:15], s[0:1], 0x10
	s_load_b32 s17, s[0:1], 0x50
	v_lshlrev_b32_e32 v3, 1, v0
	s_waitcnt lgkmcnt(0)
	s_ashr_i32 s24, s21, 31
	s_add_u32 s2, s4, s2
	s_addc_u32 s3, s5, s3
	s_lshr_b32 s20, s21, 31
	s_load_b64 s[22:23], s[2:3], 0x0
	s_clause 0x2
	s_load_b64 s[2:3], s[0:1], 0x20
	s_load_b64 s[18:19], s[0:1], 0x58
	s_load_b256 s[4:11], s[0:1], 0x30
	s_add_i32 s20, s21, s20
	s_delay_alu instid0(SALU_CYCLE_1) | instskip(NEXT) | instid1(SALU_CYCLE_1)
	s_ashr_i32 s20, s20, 1
	s_mul_i32 s17, s20, s17
	s_waitcnt lgkmcnt(0)
	s_mul_i32 s24, s22, s24
	s_mul_hi_u32 s25, s22, s21
	s_mul_i32 s23, s23, s21
	s_add_i32 s24, s25, s24
	s_mul_i32 s28, s22, s21
	s_add_i32 s29, s24, s23
	s_mov_b32 s22, exec_lo
	v_cmpx_gt_i32_e64 s17, v0
	s_cbranch_execz .LBB73_4
; %bb.2:
	s_clause 0x1
	s_load_b64 s[30:31], s[0:1], 0x8
	s_load_b32 s34, s[0:1], 0x8c
	s_lshl_b64 s[24:25], s[28:29], 2
	s_mul_i32 s5, s16, s5
	s_mul_hi_u32 s21, s16, s4
	s_add_u32 s23, s2, s24
	s_mul_i32 s4, s16, s4
	s_addc_u32 s24, s3, s25
	s_add_i32 s5, s21, s5
	s_ashr_i32 s21, s20, 31
	s_lshl_b64 s[4:5], s[4:5], 2
	s_mov_b32 s33, 0
	s_waitcnt lgkmcnt(0)
	s_add_u32 s25, s30, s4
	s_addc_u32 s30, s31, s5
	s_abs_i32 s31, s20
	s_and_b32 s34, s34, 0xffff
	v_cvt_f32_u32_e32 v1, s31
	s_sub_i32 s4, 0, s31
	s_sub_i32 s35, 0, s20
	s_lshl_b32 s37, s34, 1
	s_delay_alu instid0(VALU_DEP_1) | instskip(SKIP_2) | instid1(VALU_DEP_1)
	v_rcp_iflag_f32_e32 v1, v1
	s_waitcnt_depctr 0xfff
	v_mul_f32_e32 v1, 0x4f7ffffe, v1
	v_cvt_u32_f32_e32 v2, v1
	s_delay_alu instid0(VALU_DEP_1) | instskip(SKIP_1) | instid1(SALU_CYCLE_1)
	v_mul_lo_u32 v1, s4, v2
	s_lshl_b32 s4, s20, 1
	s_sub_i32 s36, 0, s4
	s_lshl_b64 s[4:5], s[20:21], 2
	s_delay_alu instid0(VALU_DEP_1) | instskip(NEXT) | instid1(VALU_DEP_1)
	v_mul_hi_u32 v4, v2, v1
	v_dual_mov_b32 v1, v3 :: v_dual_add_nc_u32 v4, v2, v4
	v_mov_b32_e32 v2, v0
.LBB73_3:                               ; =>This Inner Loop Header: Depth=1
	s_delay_alu instid0(VALU_DEP_1) | instskip(SKIP_1) | instid1(VALU_DEP_2)
	v_sub_nc_u32_e32 v5, 0, v2
	v_ashrrev_i32_e32 v6, 31, v2
	v_max_i32_e32 v5, v2, v5
	s_delay_alu instid0(VALU_DEP_2) | instskip(NEXT) | instid1(VALU_DEP_2)
	v_xor_b32_e32 v6, s21, v6
	v_mul_hi_u32 v7, v5, v4
	s_delay_alu instid0(VALU_DEP_1) | instskip(SKIP_1) | instid1(VALU_DEP_2)
	v_mul_lo_u32 v8, v7, s31
	v_add_nc_u32_e32 v9, 1, v7
	v_sub_nc_u32_e32 v5, v5, v8
	s_delay_alu instid0(VALU_DEP_1) | instskip(SKIP_1) | instid1(VALU_DEP_4)
	v_subrev_nc_u32_e32 v8, s31, v5
	v_cmp_le_u32_e32 vcc_lo, s31, v5
	v_cndmask_b32_e32 v7, v7, v9, vcc_lo
	s_delay_alu instid0(VALU_DEP_1) | instskip(NEXT) | instid1(VALU_DEP_1)
	v_dual_cndmask_b32 v5, v5, v8 :: v_dual_add_nc_u32 v8, 1, v7
	v_cmp_le_u32_e32 vcc_lo, s31, v5
	s_delay_alu instid0(VALU_DEP_2) | instskip(NEXT) | instid1(VALU_DEP_1)
	v_cndmask_b32_e32 v5, v7, v8, vcc_lo
	v_xor_b32_e32 v5, v5, v6
	s_delay_alu instid0(VALU_DEP_1) | instskip(NEXT) | instid1(VALU_DEP_1)
	v_sub_nc_u32_e32 v11, v5, v6
	v_mad_u64_u32 v[5:6], null, s35, v11, v[2:3]
	v_ashrrev_i32_e32 v6, 31, v11
	v_mul_lo_u32 v12, v11, s7
	v_mad_u64_u32 v[7:8], null, v11, s6, 0
	v_mad_u64_u32 v[9:10], null, s36, v11, v[1:2]
	s_delay_alu instid0(VALU_DEP_4) | instskip(SKIP_3) | instid1(VALU_DEP_3)
	v_mul_lo_u32 v11, v6, s6
	v_ashrrev_i32_e32 v6, 31, v5
	v_add_nc_u32_e32 v2, s34, v2
	v_add_nc_u32_e32 v1, s37, v1
	v_lshlrev_b64 v[5:6], 2, v[5:6]
	v_ashrrev_i32_e32 v10, 31, v9
	v_add3_u32 v8, v8, v12, v11
	s_delay_alu instid0(VALU_DEP_3) | instskip(NEXT) | instid1(VALU_DEP_2)
	v_add_co_u32 v5, vcc_lo, s23, v5
	v_lshlrev_b64 v[7:8], 2, v[7:8]
	v_add_co_ci_u32_e32 v6, vcc_lo, s24, v6, vcc_lo
	v_lshlrev_b64 v[9:10], 2, v[9:10]
	s_delay_alu instid0(VALU_DEP_3) | instskip(NEXT) | instid1(VALU_DEP_4)
	v_add_co_u32 v11, vcc_lo, s25, v7
	v_add_co_ci_u32_e32 v12, vcc_lo, s30, v8, vcc_lo
	v_add_co_u32 v7, vcc_lo, v5, s4
	v_add_co_ci_u32_e32 v8, vcc_lo, s5, v6, vcc_lo
	s_delay_alu instid0(VALU_DEP_4) | instskip(NEXT) | instid1(VALU_DEP_4)
	v_add_co_u32 v9, vcc_lo, v11, v9
	v_add_co_ci_u32_e32 v10, vcc_lo, v12, v10, vcc_lo
	s_clause 0x1
	global_load_b32 v11, v[5:6], off
	global_load_b32 v8, v[7:8], off
	global_load_b64 v[5:6], v[9:10], off
	v_cmp_le_i32_e32 vcc_lo, s17, v2
	s_or_b32 s33, vcc_lo, s33
	s_waitcnt vmcnt(0)
	v_mul_f32_e32 v12, v8, v6
	v_mul_f32_e32 v7, v11, v6
	s_delay_alu instid0(VALU_DEP_2) | instskip(NEXT) | instid1(VALU_DEP_2)
	v_fma_f32 v6, v11, v5, -v12
	v_fmac_f32_e32 v7, v8, v5
	global_store_b64 v[9:10], v[6:7], off
	s_and_not1_b32 exec_lo, exec_lo, s33
	s_cbranch_execnz .LBB73_3
.LBB73_4:
	s_or_b32 exec_lo, exec_lo, s22
	s_load_b128 s[4:7], s[0:1], 0x68
	s_waitcnt lgkmcnt(0)
	s_ashr_i32 s31, s7, 31
	s_mov_b32 s30, s7
	s_delay_alu instid0(SALU_CYCLE_1) | instskip(SKIP_1) | instid1(SALU_CYCLE_1)
	s_or_b64 s[24:25], s[26:27], s[30:31]
	s_mov_b32 s24, 0
	s_cmp_lg_u64 s[24:25], 0
	s_cbranch_scc0 .LBB73_68
; %bb.5:
	s_add_u32 s34, s30, s31
	s_mov_b32 s22, s31
	s_mov_b32 s23, s31
	s_addc_u32 s35, s31, s31
	s_delay_alu instid0(SALU_CYCLE_1) | instskip(NEXT) | instid1(SALU_CYCLE_1)
	s_xor_b64 s[34:35], s[34:35], s[22:23]
	v_cvt_f32_u32_e32 v1, s34
	v_cvt_f32_u32_e32 v2, s35
	s_sub_u32 s21, 0, s34
	s_subb_u32 s25, 0, s35
	s_delay_alu instid0(VALU_DEP_1) | instskip(NEXT) | instid1(VALU_DEP_1)
	v_fmamk_f32 v1, v2, 0x4f800000, v1
	v_rcp_f32_e32 v1, v1
	s_waitcnt_depctr 0xfff
	v_mul_f32_e32 v1, 0x5f7ffffc, v1
	s_delay_alu instid0(VALU_DEP_1) | instskip(NEXT) | instid1(VALU_DEP_1)
	v_mul_f32_e32 v2, 0x2f800000, v1
	v_trunc_f32_e32 v2, v2
	s_delay_alu instid0(VALU_DEP_1) | instskip(SKIP_1) | instid1(VALU_DEP_2)
	v_fmamk_f32 v1, v2, 0xcf800000, v1
	v_cvt_u32_f32_e32 v2, v2
	v_cvt_u32_f32_e32 v1, v1
	s_delay_alu instid0(VALU_DEP_2) | instskip(NEXT) | instid1(VALU_DEP_2)
	v_readfirstlane_b32 s7, v2
	v_readfirstlane_b32 s17, v1
	s_delay_alu instid0(VALU_DEP_2) | instskip(NEXT) | instid1(VALU_DEP_1)
	s_mul_i32 s33, s21, s7
	s_mul_hi_u32 s37, s21, s17
	s_mul_i32 s36, s25, s17
	s_add_i32 s33, s37, s33
	s_mul_i32 s38, s21, s17
	s_add_i32 s33, s33, s36
	s_mul_hi_u32 s37, s17, s38
	s_mul_hi_u32 s39, s7, s38
	s_mul_i32 s36, s7, s38
	s_mul_hi_u32 s38, s17, s33
	s_mul_i32 s17, s17, s33
	s_mul_hi_u32 s40, s7, s33
	s_add_u32 s17, s37, s17
	s_addc_u32 s37, 0, s38
	s_add_u32 s17, s17, s36
	s_mul_i32 s33, s7, s33
	s_addc_u32 s17, s37, s39
	s_addc_u32 s36, s40, 0
	s_add_u32 s17, s17, s33
	s_addc_u32 s33, 0, s36
	v_add_co_u32 v1, s17, v1, s17
	s_delay_alu instid0(VALU_DEP_1) | instskip(SKIP_1) | instid1(VALU_DEP_1)
	s_cmp_lg_u32 s17, 0
	s_addc_u32 s7, s7, s33
	v_readfirstlane_b32 s17, v1
	s_mul_i32 s33, s21, s7
	s_delay_alu instid0(VALU_DEP_1)
	s_mul_hi_u32 s36, s21, s17
	s_mul_i32 s25, s25, s17
	s_add_i32 s33, s36, s33
	s_mul_i32 s21, s21, s17
	s_add_i32 s33, s33, s25
	s_mul_hi_u32 s36, s7, s21
	s_mul_i32 s37, s7, s21
	s_mul_hi_u32 s21, s17, s21
	s_mul_hi_u32 s38, s17, s33
	s_mul_i32 s17, s17, s33
	s_mul_hi_u32 s25, s7, s33
	s_add_u32 s17, s21, s17
	s_addc_u32 s21, 0, s38
	s_add_u32 s17, s17, s37
	s_mul_i32 s33, s7, s33
	s_addc_u32 s17, s21, s36
	s_addc_u32 s21, s25, 0
	s_add_u32 s17, s17, s33
	s_addc_u32 s21, 0, s21
	v_add_co_u32 v1, s17, v1, s17
	s_delay_alu instid0(VALU_DEP_1) | instskip(SKIP_2) | instid1(VALU_DEP_1)
	s_cmp_lg_u32 s17, 0
	s_addc_u32 s7, s7, s21
	s_ashr_i32 s36, s27, 31
	v_readfirstlane_b32 s17, v1
	s_add_u32 s38, s26, s36
	s_mov_b32 s37, s36
	s_addc_u32 s39, s27, s36
	s_delay_alu instid0(SALU_CYCLE_1) | instskip(NEXT) | instid1(SALU_CYCLE_1)
	s_xor_b64 s[38:39], s[38:39], s[36:37]
	s_mul_i32 s25, s38, s7
	s_mul_hi_u32 s33, s38, s17
	s_mul_hi_u32 s21, s38, s7
	;; [unrolled: 1-line block ×3, first 2 shown]
	s_mul_i32 s17, s39, s17
	s_add_u32 s25, s33, s25
	s_addc_u32 s21, 0, s21
	s_mul_hi_u32 s40, s39, s7
	s_add_u32 s17, s25, s17
	s_mul_i32 s7, s39, s7
	s_addc_u32 s17, s21, s41
	s_addc_u32 s21, s40, 0
	s_add_u32 s7, s17, s7
	s_addc_u32 s17, 0, s21
	s_mul_hi_u32 s21, s34, s7
	s_mul_i32 s33, s34, s17
	s_mul_i32 s40, s34, s7
	s_add_i32 s21, s21, s33
	v_sub_co_u32 v1, s33, s38, s40
	s_mul_i32 s25, s35, s7
	s_delay_alu instid0(SALU_CYCLE_1) | instskip(NEXT) | instid1(VALU_DEP_1)
	s_add_i32 s21, s21, s25
	v_sub_co_u32 v2, s38, v1, s34
	s_sub_i32 s25, s39, s21
	s_cmp_lg_u32 s33, 0
	s_subb_u32 s25, s25, s35
	s_cmp_lg_u32 s38, 0
	v_readfirstlane_b32 s38, v2
	s_subb_u32 s25, s25, 0
	s_delay_alu instid0(SALU_CYCLE_1) | instskip(SKIP_1) | instid1(VALU_DEP_1)
	s_cmp_ge_u32 s25, s35
	s_cselect_b32 s40, -1, 0
	s_cmp_ge_u32 s38, s34
	s_cselect_b32 s38, -1, 0
	s_cmp_eq_u32 s25, s35
	s_cselect_b32 s25, s38, s40
	s_add_u32 s38, s7, 1
	s_addc_u32 s40, s17, 0
	s_add_u32 s41, s7, 2
	s_addc_u32 s42, s17, 0
	s_cmp_lg_u32 s25, 0
	s_cselect_b32 s25, s41, s38
	s_cselect_b32 s38, s42, s40
	s_cmp_lg_u32 s33, 0
	v_readfirstlane_b32 s33, v1
	s_subb_u32 s21, s39, s21
	s_delay_alu instid0(SALU_CYCLE_1) | instskip(SKIP_1) | instid1(VALU_DEP_1)
	s_cmp_ge_u32 s21, s35
	s_cselect_b32 s39, -1, 0
	s_cmp_ge_u32 s33, s34
	s_cselect_b32 s33, -1, 0
	s_cmp_eq_u32 s21, s35
	s_cselect_b32 s21, s33, s39
	s_delay_alu instid0(SALU_CYCLE_1) | instskip(SKIP_3) | instid1(SALU_CYCLE_1)
	s_cmp_lg_u32 s21, 0
	s_cselect_b32 s35, s38, s17
	s_cselect_b32 s34, s25, s7
	s_xor_b64 s[22:23], s[36:37], s[22:23]
	s_xor_b64 s[34:35], s[34:35], s[22:23]
	s_delay_alu instid0(SALU_CYCLE_1)
	s_sub_u32 s22, s34, s22
	s_subb_u32 s23, s35, s23
	s_and_not1_b32 vcc_lo, exec_lo, s24
	s_cbranch_vccnz .LBB73_7
.LBB73_6:
	v_cvt_f32_u32_e32 v1, s30
	s_sub_i32 s17, 0, s30
	s_mov_b32 s23, 0
	s_delay_alu instid0(VALU_DEP_1) | instskip(SKIP_2) | instid1(VALU_DEP_1)
	v_rcp_iflag_f32_e32 v1, v1
	s_waitcnt_depctr 0xfff
	v_mul_f32_e32 v1, 0x4f7ffffe, v1
	v_cvt_u32_f32_e32 v1, v1
	s_delay_alu instid0(VALU_DEP_1) | instskip(NEXT) | instid1(VALU_DEP_1)
	v_readfirstlane_b32 s7, v1
	s_mul_i32 s17, s17, s7
	s_delay_alu instid0(SALU_CYCLE_1) | instskip(NEXT) | instid1(SALU_CYCLE_1)
	s_mul_hi_u32 s17, s7, s17
	s_add_i32 s7, s7, s17
	s_delay_alu instid0(SALU_CYCLE_1) | instskip(NEXT) | instid1(SALU_CYCLE_1)
	s_mul_hi_u32 s7, s26, s7
	s_mul_i32 s17, s7, s30
	s_add_i32 s21, s7, 1
	s_sub_i32 s17, s26, s17
	s_delay_alu instid0(SALU_CYCLE_1)
	s_sub_i32 s22, s17, s30
	s_cmp_ge_u32 s17, s30
	s_cselect_b32 s7, s21, s7
	s_cselect_b32 s17, s22, s17
	s_add_i32 s21, s7, 1
	s_cmp_ge_u32 s17, s30
	s_cselect_b32 s22, s21, s7
.LBB73_7:
	s_load_b64 s[24:25], s[0:1], 0x78
	s_mul_i32 s7, s22, s31
	s_mul_hi_u32 s17, s22, s30
	s_mul_i32 s21, s22, s30
	s_add_i32 s7, s17, s7
	s_mul_i32 s17, s23, s30
	s_mul_hi_u32 s31, s22, s4
	s_add_i32 s17, s7, s17
	s_sub_u32 s7, s26, s21
	s_subb_u32 s17, s27, s17
	s_mul_i32 s33, s23, s4
	s_mul_i32 s34, s22, s4
	s_mul_hi_u32 s30, s7, s5
	s_mul_i32 s17, s17, s5
	s_mul_i32 s23, s7, s5
	s_mov_b32 s35, exec_lo
	v_cmpx_gt_i32_e64 s20, v0
	s_cbranch_execz .LBB73_46
; %bb.8:
	s_load_b32 s37, s[0:1], 0x8c
	s_ashr_i32 s38, s4, 31
	s_ashr_i32 s39, s5, 31
	s_lshl_b64 s[26:27], s[28:29], 2
	s_mul_i32 s28, s22, s38
	s_mul_i32 s29, s7, s39
	v_dual_mov_b32 v8, 0 :: v_dual_lshlrev_b32 v1, 2, v0
	s_add_i32 s28, s31, s28
	s_add_i32 s29, s30, s29
	s_ashr_i32 s21, s20, 31
	s_ashr_i32 s40, s6, 31
	s_add_i32 s38, s28, s33
	s_add_i32 s29, s29, s17
	s_waitcnt lgkmcnt(0)
	s_load_b32 s36, s[24:25], 0x0
	s_mul_i32 s9, s9, s16
	v_lshlrev_b32_e32 v5, 3, v0
	v_mov_b32_e32 v15, v0
	s_and_b32 s28, s37, 0xffff
	s_add_u32 s2, s2, s26
	s_addc_u32 s37, s3, s27
	s_lshl_b32 s3, s28, 2
	s_lshl_b64 s[26:27], s[20:21], 2
	v_add_co_u32 v1, s2, s2, v1
	s_add_u32 s21, s34, s23
	v_add_co_ci_u32_e64 v2, null, s37, 0, s2
	s_addc_u32 s2, s38, s29
	s_add_u32 s29, s18, s6
	s_addc_u32 s37, s19, s40
	s_add_u32 s21, s29, s21
	s_mul_hi_u32 s29, s8, s16
	s_addc_u32 s2, s37, s2
	s_add_i32 s9, s29, s9
	s_mul_i32 s8, s8, s16
	v_add_co_u32 v3, s21, s21, v3
	s_lshl_b64 s[38:39], s[8:9], 2
	s_lshl_b32 s8, s28, 1
	v_add_co_ci_u32_e64 v4, null, s2, 0, s21
	s_add_u32 s2, s12, s38
	s_addc_u32 s9, s13, s39
	v_add_co_u32 v5, s2, s2, v5
	s_delay_alu instid0(VALU_DEP_1) | instskip(SKIP_2) | instid1(VALU_DEP_4)
	v_add_co_ci_u32_e64 v6, null, s9, 0, s2
	v_add_co_u32 v3, vcc_lo, v3, 1
	v_add_co_ci_u32_e32 v4, vcc_lo, 0, v4, vcc_lo
	v_add_co_u32 v5, vcc_lo, v5, 4
	s_delay_alu instid0(VALU_DEP_4)
	v_add_co_ci_u32_e32 v6, vcc_lo, 0, v6, vcc_lo
	s_mov_b32 s9, 0
	s_lshl_b32 s12, s28, 3
	s_branch .LBB73_10
.LBB73_9:                               ;   in Loop: Header=BB73_10 Depth=1
	s_or_b32 exec_lo, exec_lo, s2
	v_add_co_u32 v1, vcc_lo, v1, s3
	v_add_nc_u32_e32 v15, s28, v15
	v_add_co_ci_u32_e32 v2, vcc_lo, 0, v2, vcc_lo
	global_store_b8 v[3:4], v10, off
	v_add_co_u32 v3, vcc_lo, v3, s8
	v_add_co_ci_u32_e32 v4, vcc_lo, 0, v4, vcc_lo
	v_cmp_le_i32_e32 vcc_lo, s20, v15
	v_add_co_u32 v5, s2, v5, s12
	s_delay_alu instid0(VALU_DEP_1) | instskip(SKIP_1) | instid1(SALU_CYCLE_1)
	v_add_co_ci_u32_e64 v6, s2, 0, v6, s2
	s_or_b32 s9, vcc_lo, s9
	s_and_not1_b32 exec_lo, exec_lo, s9
	s_cbranch_execz .LBB73_46
.LBB73_10:                              ; =>This Inner Loop Header: Depth=1
	v_add_co_u32 v9, vcc_lo, v1, s26
	v_add_co_ci_u32_e32 v10, vcc_lo, s27, v2, vcc_lo
	s_mov_b32 s2, exec_lo
	global_load_b64 v[17:18], v[5:6], off offset:-4
	s_clause 0x1
	global_load_b32 v7, v[9:10], off
	global_load_b32 v10, v[1:2], off
	s_waitcnt vmcnt(1)
	v_mul_f32_e32 v9, v7, v18
	s_waitcnt vmcnt(0)
	s_delay_alu instid0(VALU_DEP_1) | instskip(NEXT) | instid1(VALU_DEP_1)
	v_fma_f32 v9, v10, v17, -v9
	v_cvt_f32_f16_e32 v11, v9
	s_waitcnt lgkmcnt(0)
	s_delay_alu instid0(VALU_DEP_1) | instskip(NEXT) | instid1(VALU_DEP_1)
	v_div_scale_f32 v12, null, s36, s36, v11
	v_rcp_f32_e32 v13, v12
	s_waitcnt_depctr 0xfff
	v_fma_f32 v14, -v12, v13, 1.0
	s_delay_alu instid0(VALU_DEP_1) | instskip(SKIP_1) | instid1(VALU_DEP_1)
	v_fmac_f32_e32 v13, v14, v13
	v_div_scale_f32 v14, vcc_lo, v11, s36, v11
	v_mul_f32_e32 v16, v14, v13
	s_delay_alu instid0(VALU_DEP_1) | instskip(NEXT) | instid1(VALU_DEP_1)
	v_fma_f32 v19, -v12, v16, v14
	v_dual_fmac_f32 v16, v19, v13 :: v_dual_mov_b32 v19, v8
	s_delay_alu instid0(VALU_DEP_1) | instskip(NEXT) | instid1(VALU_DEP_1)
	v_fma_f32 v12, -v12, v16, v14
	v_div_fmas_f32 v12, v12, v13, v16
	s_delay_alu instid0(VALU_DEP_1) | instskip(NEXT) | instid1(VALU_DEP_1)
	v_div_fixup_f32 v11, v12, s36, v11
	v_cvt_f16_f32_e32 v11, v11
	s_delay_alu instid0(VALU_DEP_1) | instskip(SKIP_1) | instid1(VALU_DEP_2)
	v_cvt_f32_f16_e32 v11, v11
	v_mul_f32_e32 v10, v10, v18
	v_lshrrev_b32_e32 v13, 24, v11
	v_and_b32_e32 v18, 0x7f800000, v11
	s_delay_alu instid0(VALU_DEP_3) | instskip(NEXT) | instid1(VALU_DEP_3)
	v_dual_fmac_f32 v10, v7, v17 :: v_dual_and_b32 v7, 0x7fffff, v11
	v_and_b32_e32 v16, 0x80, v13
	global_store_b64 v[5:6], v[9:10], off offset:-4
	v_or_b32_e32 v12, 0x7e, v16
	v_cmpx_ne_u64_e32 0x7f800000, v[18:19]
	s_xor_b32 s13, exec_lo, s2
	s_cbranch_execz .LBB73_26
; %bb.11:                               ;   in Loop: Header=BB73_10 Depth=1
	v_dual_mov_b32 v14, v8 :: v_dual_and_b32 v13, 0x7fffffff, v11
	s_mov_b32 s2, exec_lo
	s_delay_alu instid0(VALU_DEP_1)
	v_cmpx_gt_u64_e32 0x43e00001, v[13:14]
	s_xor_b32 s21, exec_lo, s2
	s_cbranch_execz .LBB73_25
; %bb.12:                               ;   in Loop: Header=BB73_10 Depth=1
	v_mov_b32_e32 v12, 0
	s_mov_b32 s29, exec_lo
	v_cmpx_ne_u32_e32 0, v11
	s_cbranch_execz .LBB73_24
; %bb.13:                               ;   in Loop: Header=BB73_10 Depth=1
	v_bfe_u32 v9, v11, 23, 8
	v_or_b32_e32 v13, 0x800000, v7
	s_delay_alu instid0(VALU_DEP_2) | instskip(SKIP_1) | instid1(VALU_DEP_2)
	v_sub_nc_u32_e32 v11, 0x79, v9
	v_cmp_gt_u32_e32 vcc_lo, 0x7a, v9
	v_cndmask_b32_e32 v11, 0, v11, vcc_lo
	v_cmp_eq_u32_e32 vcc_lo, 0, v9
	s_delay_alu instid0(VALU_DEP_2) | instskip(SKIP_1) | instid1(VALU_DEP_2)
	v_cndmask_b32_e64 v17, v11, 0x78, vcc_lo
	v_cndmask_b32_e32 v7, v13, v7, vcc_lo
	v_add_nc_u32_e32 v11, 20, v17
	v_add_nc_u32_e32 v13, 19, v17
	s_delay_alu instid0(VALU_DEP_2) | instskip(NEXT) | instid1(VALU_DEP_2)
	v_lshlrev_b64 v[11:12], v11, -1
	v_lshlrev_b64 v[13:14], v13, 1
	s_delay_alu instid0(VALU_DEP_2) | instskip(NEXT) | instid1(VALU_DEP_3)
	v_not_b32_e32 v12, v12
	v_not_b32_e32 v11, v11
	s_delay_alu instid0(VALU_DEP_2) | instskip(NEXT) | instid1(VALU_DEP_2)
	v_and_b32_e32 v19, 0, v12
	v_and_b32_e32 v18, v7, v11
	v_lshrrev_b64 v[11:12], v17, v[7:8]
	s_delay_alu instid0(VALU_DEP_2) | instskip(NEXT) | instid1(VALU_DEP_2)
	v_cmp_eq_u64_e64 s2, v[18:19], v[13:14]
	v_dual_mov_b32 v14, v12 :: v_dual_mov_b32 v13, v11
	s_delay_alu instid0(VALU_DEP_2)
	s_and_saveexec_b32 s37, s2
; %bb.14:                               ;   in Loop: Header=BB73_10 Depth=1
	v_bfe_u32 v7, v11, 20, 1
	s_delay_alu instid0(VALU_DEP_1) | instskip(NEXT) | instid1(VALU_DEP_1)
	v_add_co_u32 v7, s2, v11, v7
	v_add_co_u32 v13, s2, v7, -1
; %bb.15:                               ;   in Loop: Header=BB73_10 Depth=1
	s_or_b32 exec_lo, exec_lo, s37
	v_add_nc_u32_e32 v7, 0xffffff81, v9
	v_lshrrev_b32_e32 v9, 23, v11
	s_mov_b32 s2, exec_lo
	s_delay_alu instid0(VALU_DEP_2) | instskip(NEXT) | instid1(VALU_DEP_1)
	v_cndmask_b32_e64 v7, v7, 0xffffff82, vcc_lo
	v_add3_u32 v9, v17, v7, v9
	v_and_b32_e32 v7, 0xfffff, v13
	s_delay_alu instid0(VALU_DEP_2) | instskip(NEXT) | instid1(VALU_DEP_2)
	v_add_nc_u32_e32 v13, 6, v9
	v_add_co_u32 v11, vcc_lo, v7, v11
	v_add_co_ci_u32_e32 v12, vcc_lo, 0, v12, vcc_lo
                                        ; implicit-def: $vgpr7
	s_delay_alu instid0(VALU_DEP_3)
	v_cmpx_ne_u32_e32 0, v13
	s_xor_b32 s2, exec_lo, s2
; %bb.16:                               ;   in Loop: Header=BB73_10 Depth=1
	s_delay_alu instid0(VALU_DEP_2) | instskip(SKIP_2) | instid1(VALU_DEP_2)
	v_cmp_lt_u64_e32 vcc_lo, 0xffffff, v[11:12]
	v_add_nc_u32_e32 v7, 7, v9
	v_cndmask_b32_e64 v9, 0, 1, vcc_lo
	v_cndmask_b32_e32 v7, v13, v7, vcc_lo
	s_delay_alu instid0(VALU_DEP_2)
	v_lshrrev_b64 v[11:12], v9, v[11:12]
; %bb.17:                               ;   in Loop: Header=BB73_10 Depth=1
	s_and_not1_saveexec_b32 s2, s2
; %bb.18:                               ;   in Loop: Header=BB73_10 Depth=1
	s_delay_alu instid0(VALU_DEP_1)
	v_bfe_u32 v7, v11, 23, 1
; %bb.19:                               ;   in Loop: Header=BB73_10 Depth=1
	s_or_b32 exec_lo, exec_lo, s2
	s_delay_alu instid0(VALU_DEP_2) | instskip(NEXT) | instid1(VALU_DEP_2)
	v_lshrrev_b64 v[11:12], 20, v[11:12]
	v_cmp_gt_i32_e32 vcc_lo, 16, v7
	v_cmp_ne_u32_e64 s2, 0, v7
	s_delay_alu instid0(VALU_DEP_3) | instskip(NEXT) | instid1(VALU_DEP_1)
	v_dual_cndmask_b32 v12, 0, v12 :: v_dual_cndmask_b32 v11, 7, v11
	v_cmp_ne_u64_e32 vcc_lo, 0, v[11:12]
                                        ; implicit-def: $vgpr12
	s_delay_alu instid0(VALU_DEP_3) | instskip(NEXT) | instid1(SALU_CYCLE_1)
	s_or_b32 s2, s2, vcc_lo
	s_and_saveexec_b32 s37, s2
	s_delay_alu instid0(SALU_CYCLE_1)
	s_xor_b32 s2, exec_lo, s37
; %bb.20:                               ;   in Loop: Header=BB73_10 Depth=1
	v_min_i32_e32 v7, 15, v7
	s_delay_alu instid0(VALU_DEP_1) | instskip(NEXT) | instid1(VALU_DEP_1)
	v_lshl_or_b32 v7, v7, 3, v16
                                        ; implicit-def: $vgpr16
	v_and_or_b32 v12, v11, 7, v7
; %bb.21:                               ;   in Loop: Header=BB73_10 Depth=1
	s_and_not1_saveexec_b32 s2, s2
; %bb.22:                               ;   in Loop: Header=BB73_10 Depth=1
	v_mov_b32_e32 v12, v16
; %bb.23:                               ;   in Loop: Header=BB73_10 Depth=1
	s_or_b32 exec_lo, exec_lo, s2
.LBB73_24:                              ;   in Loop: Header=BB73_10 Depth=1
	s_delay_alu instid0(SALU_CYCLE_1)
	s_or_b32 exec_lo, exec_lo, s29
.LBB73_25:                              ;   in Loop: Header=BB73_10 Depth=1
	s_and_not1_saveexec_b32 s2, s21
	s_delay_alu instid0(SALU_CYCLE_1)
	s_or_b32 exec_lo, exec_lo, s2
                                        ; implicit-def: $vgpr13
.LBB73_26:                              ;   in Loop: Header=BB73_10 Depth=1
	s_and_not1_saveexec_b32 s2, s13
; %bb.27:                               ;   in Loop: Header=BB73_10 Depth=1
	v_cmp_eq_u64_e32 vcc_lo, 0, v[7:8]
	v_or_b32_e32 v9, 0x7f, v13
	s_delay_alu instid0(VALU_DEP_1)
	v_cndmask_b32_e32 v12, v9, v12, vcc_lo
; %bb.28:                               ;   in Loop: Header=BB73_10 Depth=1
	s_or_b32 exec_lo, exec_lo, s2
	v_cvt_f32_f16_e32 v7, v10
	global_store_b8 v[3:4], v12, off offset:-1
	s_mov_b32 s2, exec_lo
	v_mov_b32_e32 v17, v8
	v_div_scale_f32 v9, null, s36, s36, v7
	s_delay_alu instid0(VALU_DEP_1) | instskip(SKIP_2) | instid1(VALU_DEP_1)
	v_rcp_f32_e32 v10, v9
	s_waitcnt_depctr 0xfff
	v_fma_f32 v11, -v9, v10, 1.0
	v_fmac_f32_e32 v10, v11, v10
	v_div_scale_f32 v11, vcc_lo, v7, s36, v7
	s_delay_alu instid0(VALU_DEP_1) | instskip(NEXT) | instid1(VALU_DEP_1)
	v_mul_f32_e32 v13, v11, v10
	v_fma_f32 v14, -v9, v13, v11
	s_delay_alu instid0(VALU_DEP_1) | instskip(NEXT) | instid1(VALU_DEP_1)
	v_fmac_f32_e32 v13, v14, v10
	v_fma_f32 v9, -v9, v13, v11
	s_delay_alu instid0(VALU_DEP_1) | instskip(NEXT) | instid1(VALU_DEP_1)
	v_div_fmas_f32 v9, v9, v10, v13
	v_div_fixup_f32 v7, v9, s36, v7
	s_delay_alu instid0(VALU_DEP_1) | instskip(NEXT) | instid1(VALU_DEP_1)
	v_cvt_f16_f32_e32 v7, v7
	v_cvt_f32_f16_e32 v9, v7
	s_delay_alu instid0(VALU_DEP_1) | instskip(SKIP_2) | instid1(VALU_DEP_2)
	v_and_b32_e32 v16, 0x7f800000, v9
	v_lshrrev_b32_e32 v11, 24, v9
	v_and_b32_e32 v7, 0x7fffff, v9
	v_and_b32_e32 v13, 0x80, v11
	s_delay_alu instid0(VALU_DEP_1)
	v_or_b32_e32 v10, 0x7e, v13
	v_cmpx_ne_u64_e32 0x7f800000, v[16:17]
	s_xor_b32 s13, exec_lo, s2
	s_cbranch_execz .LBB73_44
; %bb.29:                               ;   in Loop: Header=BB73_10 Depth=1
	v_dual_mov_b32 v12, v8 :: v_dual_and_b32 v11, 0x7fffffff, v9
	s_mov_b32 s2, exec_lo
	s_delay_alu instid0(VALU_DEP_1)
	v_cmpx_gt_u64_e32 0x43e00001, v[11:12]
	s_xor_b32 s21, exec_lo, s2
	s_cbranch_execz .LBB73_43
; %bb.30:                               ;   in Loop: Header=BB73_10 Depth=1
	v_mov_b32_e32 v10, 0
	s_mov_b32 s29, exec_lo
	v_cmpx_ne_u32_e32 0, v9
	s_cbranch_execz .LBB73_42
; %bb.31:                               ;   in Loop: Header=BB73_10 Depth=1
	v_bfe_u32 v14, v9, 23, 8
	v_or_b32_e32 v11, 0x800000, v7
	s_delay_alu instid0(VALU_DEP_2) | instskip(SKIP_1) | instid1(VALU_DEP_2)
	v_sub_nc_u32_e32 v9, 0x79, v14
	v_cmp_gt_u32_e32 vcc_lo, 0x7a, v14
	v_cndmask_b32_e32 v9, 0, v9, vcc_lo
	v_cmp_eq_u32_e32 vcc_lo, 0, v14
	s_delay_alu instid0(VALU_DEP_2) | instskip(SKIP_1) | instid1(VALU_DEP_2)
	v_cndmask_b32_e64 v16, v9, 0x78, vcc_lo
	v_cndmask_b32_e32 v7, v11, v7, vcc_lo
	v_add_nc_u32_e32 v9, 20, v16
	v_add_nc_u32_e32 v11, 19, v16
	s_delay_alu instid0(VALU_DEP_2) | instskip(NEXT) | instid1(VALU_DEP_2)
	v_lshlrev_b64 v[9:10], v9, -1
	v_lshlrev_b64 v[11:12], v11, 1
	s_delay_alu instid0(VALU_DEP_2) | instskip(NEXT) | instid1(VALU_DEP_3)
	v_not_b32_e32 v10, v10
	v_not_b32_e32 v9, v9
	s_delay_alu instid0(VALU_DEP_2) | instskip(NEXT) | instid1(VALU_DEP_2)
	v_and_b32_e32 v18, 0, v10
	v_and_b32_e32 v17, v7, v9
	v_lshrrev_b64 v[9:10], v16, v[7:8]
	s_delay_alu instid0(VALU_DEP_2) | instskip(NEXT) | instid1(VALU_DEP_2)
	v_cmp_eq_u64_e64 s2, v[17:18], v[11:12]
	v_dual_mov_b32 v12, v10 :: v_dual_mov_b32 v11, v9
	s_delay_alu instid0(VALU_DEP_2)
	s_and_saveexec_b32 s37, s2
; %bb.32:                               ;   in Loop: Header=BB73_10 Depth=1
	v_bfe_u32 v7, v9, 20, 1
	s_delay_alu instid0(VALU_DEP_1) | instskip(NEXT) | instid1(VALU_DEP_1)
	v_add_co_u32 v7, s2, v9, v7
	v_add_co_u32 v11, s2, v7, -1
; %bb.33:                               ;   in Loop: Header=BB73_10 Depth=1
	s_or_b32 exec_lo, exec_lo, s37
	v_add_nc_u32_e32 v7, 0xffffff81, v14
	v_lshrrev_b32_e32 v12, 23, v9
	s_mov_b32 s2, exec_lo
	s_delay_alu instid0(VALU_DEP_2) | instskip(NEXT) | instid1(VALU_DEP_1)
	v_cndmask_b32_e64 v7, v7, 0xffffff82, vcc_lo
	v_add3_u32 v12, v16, v7, v12
	v_and_b32_e32 v7, 0xfffff, v11
	s_delay_alu instid0(VALU_DEP_2) | instskip(NEXT) | instid1(VALU_DEP_2)
	v_add_nc_u32_e32 v11, 6, v12
	v_add_co_u32 v9, vcc_lo, v7, v9
	v_add_co_ci_u32_e32 v10, vcc_lo, 0, v10, vcc_lo
                                        ; implicit-def: $vgpr7
	s_delay_alu instid0(VALU_DEP_3)
	v_cmpx_ne_u32_e32 0, v11
	s_xor_b32 s2, exec_lo, s2
; %bb.34:                               ;   in Loop: Header=BB73_10 Depth=1
	s_delay_alu instid0(VALU_DEP_2) | instskip(SKIP_1) | instid1(VALU_DEP_1)
	v_cmp_lt_u64_e32 vcc_lo, 0xffffff, v[9:10]
	v_add_nc_u32_e32 v7, 7, v12
	v_cndmask_b32_e32 v7, v11, v7, vcc_lo
	v_cndmask_b32_e64 v11, 0, 1, vcc_lo
	s_delay_alu instid0(VALU_DEP_1)
	v_lshrrev_b64 v[9:10], v11, v[9:10]
; %bb.35:                               ;   in Loop: Header=BB73_10 Depth=1
	s_and_not1_saveexec_b32 s2, s2
; %bb.36:                               ;   in Loop: Header=BB73_10 Depth=1
	s_delay_alu instid0(VALU_DEP_1)
	v_bfe_u32 v7, v9, 23, 1
; %bb.37:                               ;   in Loop: Header=BB73_10 Depth=1
	s_or_b32 exec_lo, exec_lo, s2
	s_delay_alu instid0(VALU_DEP_2) | instskip(NEXT) | instid1(VALU_DEP_2)
	v_lshrrev_b64 v[9:10], 20, v[9:10]
	v_cmp_gt_i32_e32 vcc_lo, 16, v7
	v_cmp_ne_u32_e64 s2, 0, v7
	s_delay_alu instid0(VALU_DEP_3) | instskip(NEXT) | instid1(VALU_DEP_1)
	v_dual_cndmask_b32 v10, 0, v10 :: v_dual_cndmask_b32 v9, 7, v9
	v_cmp_ne_u64_e32 vcc_lo, 0, v[9:10]
                                        ; implicit-def: $vgpr10
	s_delay_alu instid0(VALU_DEP_3) | instskip(NEXT) | instid1(SALU_CYCLE_1)
	s_or_b32 s2, s2, vcc_lo
	s_and_saveexec_b32 s37, s2
	s_delay_alu instid0(SALU_CYCLE_1)
	s_xor_b32 s2, exec_lo, s37
; %bb.38:                               ;   in Loop: Header=BB73_10 Depth=1
	v_min_i32_e32 v7, 15, v7
	s_delay_alu instid0(VALU_DEP_1) | instskip(NEXT) | instid1(VALU_DEP_1)
	v_lshl_or_b32 v7, v7, 3, v13
                                        ; implicit-def: $vgpr13
	v_and_or_b32 v10, v9, 7, v7
; %bb.39:                               ;   in Loop: Header=BB73_10 Depth=1
	s_and_not1_saveexec_b32 s2, s2
; %bb.40:                               ;   in Loop: Header=BB73_10 Depth=1
	v_mov_b32_e32 v10, v13
; %bb.41:                               ;   in Loop: Header=BB73_10 Depth=1
	s_or_b32 exec_lo, exec_lo, s2
.LBB73_42:                              ;   in Loop: Header=BB73_10 Depth=1
	s_delay_alu instid0(SALU_CYCLE_1)
	s_or_b32 exec_lo, exec_lo, s29
.LBB73_43:                              ;   in Loop: Header=BB73_10 Depth=1
	s_and_not1_saveexec_b32 s2, s21
	s_delay_alu instid0(SALU_CYCLE_1)
	s_or_b32 exec_lo, exec_lo, s2
                                        ; implicit-def: $vgpr11
.LBB73_44:                              ;   in Loop: Header=BB73_10 Depth=1
	s_and_not1_saveexec_b32 s2, s13
	s_cbranch_execz .LBB73_9
; %bb.45:                               ;   in Loop: Header=BB73_10 Depth=1
	v_cmp_eq_u64_e32 vcc_lo, 0, v[7:8]
	v_or_b32_e32 v9, 0x7f, v11
	s_delay_alu instid0(VALU_DEP_1)
	v_cndmask_b32_e32 v10, v9, v10, vcc_lo
	s_branch .LBB73_9
.LBB73_46:
	s_or_b32 exec_lo, exec_lo, s35
	s_delay_alu instid0(SALU_CYCLE_1)
	s_mov_b32 s2, exec_lo
	v_cmpx_gt_i32_e64 s6, v0
	s_cbranch_execz .LBB73_67
; %bb.47:
	s_mul_i32 s3, s16, s11
	s_mul_hi_u32 s8, s16, s10
	s_mul_i32 s2, s16, s10
	s_add_i32 s3, s8, s3
	s_load_b32 s0, s[0:1], 0x8c
	s_lshl_b64 s[2:3], s[2:3], 2
	v_mov_b32_e32 v3, 0
	s_add_u32 s1, s14, s2
	s_addc_u32 s2, s15, s3
	s_waitcnt lgkmcnt(0)
	s_load_b32 s3, s[24:25], 0x0
	s_ashr_i32 s4, s4, 31
	s_delay_alu instid0(SALU_CYCLE_1) | instskip(NEXT) | instid1(SALU_CYCLE_1)
	s_mul_i32 s4, s22, s4
	s_add_i32 s4, s31, s4
	s_delay_alu instid0(SALU_CYCLE_1) | instskip(SKIP_3) | instid1(SALU_CYCLE_1)
	s_add_i32 s4, s4, s33
	s_add_u32 s8, s18, s34
	s_addc_u32 s9, s19, s4
	s_ashr_i32 s4, s5, 31
	s_mul_i32 s7, s7, s4
	s_delay_alu instid0(SALU_CYCLE_1) | instskip(NEXT) | instid1(SALU_CYCLE_1)
	s_add_i32 s4, s30, s7
	s_add_i32 s5, s4, s17
	s_add_u32 s4, s8, s23
	s_addc_u32 s5, s9, s5
	s_and_b32 s7, s0, 0xffff
	s_mov_b32 s8, 0
	s_branch .LBB73_49
.LBB73_48:                              ;   in Loop: Header=BB73_49 Depth=1
	s_or_b32 exec_lo, exec_lo, s0
	v_add_co_u32 v6, vcc_lo, s4, v0
	v_add_nc_u32_e32 v0, s7, v0
	v_add_co_ci_u32_e32 v7, vcc_lo, s5, v1, vcc_lo
	s_delay_alu instid0(VALU_DEP_2) | instskip(SKIP_2) | instid1(SALU_CYCLE_1)
	v_cmp_le_i32_e32 vcc_lo, s6, v0
	global_store_b8 v[6:7], v5, off
	s_or_b32 s8, vcc_lo, s8
	s_and_not1_b32 exec_lo, exec_lo, s8
	s_cbranch_execz .LBB73_67
.LBB73_49:                              ; =>This Inner Loop Header: Depth=1
	v_ashrrev_i32_e32 v1, 31, v0
	s_mov_b32 s0, exec_lo
	v_mov_b32_e32 v10, v3
	s_delay_alu instid0(VALU_DEP_2) | instskip(NEXT) | instid1(VALU_DEP_1)
	v_lshlrev_b64 v[4:5], 2, v[0:1]
	v_add_co_u32 v4, vcc_lo, s1, v4
	s_delay_alu instid0(VALU_DEP_2) | instskip(SKIP_4) | instid1(VALU_DEP_1)
	v_add_co_ci_u32_e32 v5, vcc_lo, s2, v5, vcc_lo
	global_load_u16 v2, v[4:5], off
	s_waitcnt vmcnt(0)
	v_cvt_f32_f16_e32 v2, v2
	s_waitcnt lgkmcnt(0)
	v_div_scale_f32 v4, null, s3, s3, v2
	s_delay_alu instid0(VALU_DEP_1) | instskip(SKIP_2) | instid1(VALU_DEP_1)
	v_rcp_f32_e32 v5, v4
	s_waitcnt_depctr 0xfff
	v_fma_f32 v6, -v4, v5, 1.0
	v_fmac_f32_e32 v5, v6, v5
	v_div_scale_f32 v6, vcc_lo, v2, s3, v2
	s_delay_alu instid0(VALU_DEP_1) | instskip(NEXT) | instid1(VALU_DEP_1)
	v_mul_f32_e32 v7, v6, v5
	v_fma_f32 v8, -v4, v7, v6
	s_delay_alu instid0(VALU_DEP_1) | instskip(NEXT) | instid1(VALU_DEP_1)
	v_fmac_f32_e32 v7, v8, v5
	v_fma_f32 v4, -v4, v7, v6
	s_delay_alu instid0(VALU_DEP_1) | instskip(NEXT) | instid1(VALU_DEP_1)
	v_div_fmas_f32 v4, v4, v5, v7
	v_div_fixup_f32 v2, v4, s3, v2
	s_delay_alu instid0(VALU_DEP_1) | instskip(NEXT) | instid1(VALU_DEP_1)
	v_cvt_f16_f32_e32 v2, v2
	v_cvt_f32_f16_e32 v4, v2
	s_delay_alu instid0(VALU_DEP_1) | instskip(SKIP_2) | instid1(VALU_DEP_2)
	v_and_b32_e32 v2, 0x7fffff, v4
	v_lshrrev_b32_e32 v6, 24, v4
	v_and_b32_e32 v9, 0x7f800000, v4
	v_and_b32_e32 v8, 0x80, v6
	s_delay_alu instid0(VALU_DEP_1) | instskip(NEXT) | instid1(VALU_DEP_3)
	v_or_b32_e32 v5, 0x7e, v8
	v_cmpx_ne_u64_e32 0x7f800000, v[9:10]
	s_xor_b32 s9, exec_lo, s0
	s_cbranch_execz .LBB73_65
; %bb.50:                               ;   in Loop: Header=BB73_49 Depth=1
	v_dual_mov_b32 v7, v3 :: v_dual_and_b32 v6, 0x7fffffff, v4
	s_mov_b32 s0, exec_lo
	s_delay_alu instid0(VALU_DEP_1)
	v_cmpx_gt_u64_e32 0x43e00001, v[6:7]
	s_xor_b32 s10, exec_lo, s0
	s_cbranch_execz .LBB73_64
; %bb.51:                               ;   in Loop: Header=BB73_49 Depth=1
	v_mov_b32_e32 v5, 0
	s_mov_b32 s11, exec_lo
	v_cmpx_ne_u32_e32 0, v4
	s_cbranch_execz .LBB73_63
; %bb.52:                               ;   in Loop: Header=BB73_49 Depth=1
	v_bfe_u32 v9, v4, 23, 8
	v_or_b32_e32 v6, 0x800000, v2
	s_delay_alu instid0(VALU_DEP_2) | instskip(SKIP_1) | instid1(VALU_DEP_2)
	v_sub_nc_u32_e32 v4, 0x79, v9
	v_cmp_gt_u32_e32 vcc_lo, 0x7a, v9
	v_cndmask_b32_e32 v4, 0, v4, vcc_lo
	v_cmp_eq_u32_e32 vcc_lo, 0, v9
	s_delay_alu instid0(VALU_DEP_2) | instskip(SKIP_1) | instid1(VALU_DEP_2)
	v_cndmask_b32_e64 v10, v4, 0x78, vcc_lo
	v_cndmask_b32_e32 v2, v6, v2, vcc_lo
	v_add_nc_u32_e32 v4, 20, v10
	v_add_nc_u32_e32 v6, 19, v10
	s_delay_alu instid0(VALU_DEP_2) | instskip(NEXT) | instid1(VALU_DEP_2)
	v_lshlrev_b64 v[4:5], v4, -1
	v_lshlrev_b64 v[6:7], v6, 1
	s_delay_alu instid0(VALU_DEP_2) | instskip(NEXT) | instid1(VALU_DEP_3)
	v_not_b32_e32 v5, v5
	v_not_b32_e32 v4, v4
	s_delay_alu instid0(VALU_DEP_2) | instskip(NEXT) | instid1(VALU_DEP_2)
	v_and_b32_e32 v12, 0, v5
	v_and_b32_e32 v11, v2, v4
	v_lshrrev_b64 v[4:5], v10, v[2:3]
	s_delay_alu instid0(VALU_DEP_2) | instskip(NEXT) | instid1(VALU_DEP_2)
	v_cmp_eq_u64_e64 s0, v[11:12], v[6:7]
	v_dual_mov_b32 v7, v5 :: v_dual_mov_b32 v6, v4
	s_delay_alu instid0(VALU_DEP_2)
	s_and_saveexec_b32 s12, s0
; %bb.53:                               ;   in Loop: Header=BB73_49 Depth=1
	v_bfe_u32 v2, v4, 20, 1
	s_delay_alu instid0(VALU_DEP_1) | instskip(NEXT) | instid1(VALU_DEP_1)
	v_add_co_u32 v2, s0, v4, v2
	v_add_co_u32 v6, s0, v2, -1
; %bb.54:                               ;   in Loop: Header=BB73_49 Depth=1
	s_or_b32 exec_lo, exec_lo, s12
	v_add_nc_u32_e32 v2, 0xffffff81, v9
	v_lshrrev_b32_e32 v7, 23, v4
	s_mov_b32 s0, exec_lo
	s_delay_alu instid0(VALU_DEP_2) | instskip(NEXT) | instid1(VALU_DEP_1)
	v_cndmask_b32_e64 v2, v2, 0xffffff82, vcc_lo
	v_add3_u32 v7, v10, v2, v7
	v_and_b32_e32 v2, 0xfffff, v6
	s_delay_alu instid0(VALU_DEP_2) | instskip(NEXT) | instid1(VALU_DEP_2)
	v_add_nc_u32_e32 v6, 6, v7
	v_add_co_u32 v4, vcc_lo, v2, v4
	v_add_co_ci_u32_e32 v5, vcc_lo, 0, v5, vcc_lo
                                        ; implicit-def: $vgpr2
	s_delay_alu instid0(VALU_DEP_3)
	v_cmpx_ne_u32_e32 0, v6
	s_xor_b32 s0, exec_lo, s0
; %bb.55:                               ;   in Loop: Header=BB73_49 Depth=1
	s_delay_alu instid0(VALU_DEP_2) | instskip(SKIP_1) | instid1(VALU_DEP_1)
	v_cmp_lt_u64_e32 vcc_lo, 0xffffff, v[4:5]
	v_add_nc_u32_e32 v2, 7, v7
	v_cndmask_b32_e32 v2, v6, v2, vcc_lo
	v_cndmask_b32_e64 v6, 0, 1, vcc_lo
	s_delay_alu instid0(VALU_DEP_1)
	v_lshrrev_b64 v[4:5], v6, v[4:5]
; %bb.56:                               ;   in Loop: Header=BB73_49 Depth=1
	s_and_not1_saveexec_b32 s0, s0
; %bb.57:                               ;   in Loop: Header=BB73_49 Depth=1
	s_delay_alu instid0(VALU_DEP_1)
	v_bfe_u32 v2, v4, 23, 1
; %bb.58:                               ;   in Loop: Header=BB73_49 Depth=1
	s_or_b32 exec_lo, exec_lo, s0
	s_delay_alu instid0(VALU_DEP_2) | instskip(NEXT) | instid1(VALU_DEP_2)
	v_lshrrev_b64 v[4:5], 20, v[4:5]
	v_cmp_gt_i32_e32 vcc_lo, 16, v2
	v_cmp_ne_u32_e64 s0, 0, v2
	s_delay_alu instid0(VALU_DEP_3) | instskip(NEXT) | instid1(VALU_DEP_1)
	v_dual_cndmask_b32 v5, 0, v5 :: v_dual_cndmask_b32 v4, 7, v4
	v_cmp_ne_u64_e32 vcc_lo, 0, v[4:5]
                                        ; implicit-def: $vgpr5
	s_delay_alu instid0(VALU_DEP_3) | instskip(NEXT) | instid1(SALU_CYCLE_1)
	s_or_b32 s0, s0, vcc_lo
	s_and_saveexec_b32 s12, s0
	s_delay_alu instid0(SALU_CYCLE_1)
	s_xor_b32 s0, exec_lo, s12
; %bb.59:                               ;   in Loop: Header=BB73_49 Depth=1
	v_min_i32_e32 v2, 15, v2
	s_delay_alu instid0(VALU_DEP_1) | instskip(NEXT) | instid1(VALU_DEP_1)
	v_lshl_or_b32 v2, v2, 3, v8
                                        ; implicit-def: $vgpr8
	v_and_or_b32 v5, v4, 7, v2
; %bb.60:                               ;   in Loop: Header=BB73_49 Depth=1
	s_and_not1_saveexec_b32 s0, s0
; %bb.61:                               ;   in Loop: Header=BB73_49 Depth=1
	v_mov_b32_e32 v5, v8
; %bb.62:                               ;   in Loop: Header=BB73_49 Depth=1
	s_or_b32 exec_lo, exec_lo, s0
.LBB73_63:                              ;   in Loop: Header=BB73_49 Depth=1
	s_delay_alu instid0(SALU_CYCLE_1)
	s_or_b32 exec_lo, exec_lo, s11
.LBB73_64:                              ;   in Loop: Header=BB73_49 Depth=1
	s_and_not1_saveexec_b32 s0, s10
	s_delay_alu instid0(SALU_CYCLE_1)
	s_or_b32 exec_lo, exec_lo, s0
                                        ; implicit-def: $vgpr6
.LBB73_65:                              ;   in Loop: Header=BB73_49 Depth=1
	s_and_not1_saveexec_b32 s0, s9
	s_cbranch_execz .LBB73_48
; %bb.66:                               ;   in Loop: Header=BB73_49 Depth=1
	v_cmp_eq_u64_e32 vcc_lo, 0, v[2:3]
	v_or_b32_e32 v4, 0x7f, v6
	s_delay_alu instid0(VALU_DEP_1)
	v_cndmask_b32_e32 v5, v4, v5, vcc_lo
	s_branch .LBB73_48
.LBB73_67:
	s_nop 0
	s_sendmsg sendmsg(MSG_DEALLOC_VGPRS)
	s_endpgm
.LBB73_68:
                                        ; implicit-def: $sgpr22_sgpr23
	s_branch .LBB73_6
	.section	.rodata,"a",@progbits
	.p2align	6, 0x0
	.amdhsa_kernel _ZN4vllm38concat_and_cache_mla_rope_fused_kernelIffLb0EthLNS_18Fp8KVCacheDataTypeE1EEEvPKlPT_S5_PKS4_PKT0_illlliPT3_S3_iiiiPKf
		.amdhsa_group_segment_fixed_size 0
		.amdhsa_private_segment_fixed_size 0
		.amdhsa_kernarg_size 384
		.amdhsa_user_sgpr_count 15
		.amdhsa_user_sgpr_dispatch_ptr 0
		.amdhsa_user_sgpr_queue_ptr 0
		.amdhsa_user_sgpr_kernarg_segment_ptr 1
		.amdhsa_user_sgpr_dispatch_id 0
		.amdhsa_user_sgpr_private_segment_size 0
		.amdhsa_wavefront_size32 1
		.amdhsa_uses_dynamic_stack 0
		.amdhsa_enable_private_segment 0
		.amdhsa_system_sgpr_workgroup_id_x 1
		.amdhsa_system_sgpr_workgroup_id_y 0
		.amdhsa_system_sgpr_workgroup_id_z 0
		.amdhsa_system_sgpr_workgroup_info 0
		.amdhsa_system_vgpr_workitem_id 0
		.amdhsa_next_free_vgpr 20
		.amdhsa_next_free_sgpr 43
		.amdhsa_reserve_vcc 1
		.amdhsa_float_round_mode_32 0
		.amdhsa_float_round_mode_16_64 0
		.amdhsa_float_denorm_mode_32 3
		.amdhsa_float_denorm_mode_16_64 3
		.amdhsa_dx10_clamp 1
		.amdhsa_ieee_mode 1
		.amdhsa_fp16_overflow 0
		.amdhsa_workgroup_processor_mode 1
		.amdhsa_memory_ordered 1
		.amdhsa_forward_progress 0
		.amdhsa_shared_vgpr_count 0
		.amdhsa_exception_fp_ieee_invalid_op 0
		.amdhsa_exception_fp_denorm_src 0
		.amdhsa_exception_fp_ieee_div_zero 0
		.amdhsa_exception_fp_ieee_overflow 0
		.amdhsa_exception_fp_ieee_underflow 0
		.amdhsa_exception_fp_ieee_inexact 0
		.amdhsa_exception_int_div_zero 0
	.end_amdhsa_kernel
	.section	.text._ZN4vllm38concat_and_cache_mla_rope_fused_kernelIffLb0EthLNS_18Fp8KVCacheDataTypeE1EEEvPKlPT_S5_PKS4_PKT0_illlliPT3_S3_iiiiPKf,"axG",@progbits,_ZN4vllm38concat_and_cache_mla_rope_fused_kernelIffLb0EthLNS_18Fp8KVCacheDataTypeE1EEEvPKlPT_S5_PKS4_PKT0_illlliPT3_S3_iiiiPKf,comdat
.Lfunc_end73:
	.size	_ZN4vllm38concat_and_cache_mla_rope_fused_kernelIffLb0EthLNS_18Fp8KVCacheDataTypeE1EEEvPKlPT_S5_PKS4_PKT0_illlliPT3_S3_iiiiPKf, .Lfunc_end73-_ZN4vllm38concat_and_cache_mla_rope_fused_kernelIffLb0EthLNS_18Fp8KVCacheDataTypeE1EEEvPKlPT_S5_PKS4_PKT0_illlliPT3_S3_iiiiPKf
                                        ; -- End function
	.section	.AMDGPU.csdata,"",@progbits
; Kernel info:
; codeLenInByte = 4372
; NumSgprs: 45
; NumVgprs: 20
; ScratchSize: 0
; MemoryBound: 0
; FloatMode: 240
; IeeeMode: 1
; LDSByteSize: 0 bytes/workgroup (compile time only)
; SGPRBlocks: 5
; VGPRBlocks: 2
; NumSGPRsForWavesPerEU: 45
; NumVGPRsForWavesPerEU: 20
; Occupancy: 16
; WaveLimiterHint : 1
; COMPUTE_PGM_RSRC2:SCRATCH_EN: 0
; COMPUTE_PGM_RSRC2:USER_SGPR: 15
; COMPUTE_PGM_RSRC2:TRAP_HANDLER: 0
; COMPUTE_PGM_RSRC2:TGID_X_EN: 1
; COMPUTE_PGM_RSRC2:TGID_Y_EN: 0
; COMPUTE_PGM_RSRC2:TGID_Z_EN: 0
; COMPUTE_PGM_RSRC2:TIDIG_COMP_CNT: 0
	.section	.text._ZN4vllm38concat_and_cache_mla_rope_fused_kernelIfN3c104HalfELb1EthLNS_18Fp8KVCacheDataTypeE1EEEvPKlPT_S7_PKS6_PKT0_illlliPT3_S5_iiiiPKf,"axG",@progbits,_ZN4vllm38concat_and_cache_mla_rope_fused_kernelIfN3c104HalfELb1EthLNS_18Fp8KVCacheDataTypeE1EEEvPKlPT_S7_PKS6_PKT0_illlliPT3_S5_iiiiPKf,comdat
	.protected	_ZN4vllm38concat_and_cache_mla_rope_fused_kernelIfN3c104HalfELb1EthLNS_18Fp8KVCacheDataTypeE1EEEvPKlPT_S7_PKS6_PKT0_illlliPT3_S5_iiiiPKf ; -- Begin function _ZN4vllm38concat_and_cache_mla_rope_fused_kernelIfN3c104HalfELb1EthLNS_18Fp8KVCacheDataTypeE1EEEvPKlPT_S7_PKS6_PKT0_illlliPT3_S5_iiiiPKf
	.globl	_ZN4vllm38concat_and_cache_mla_rope_fused_kernelIfN3c104HalfELb1EthLNS_18Fp8KVCacheDataTypeE1EEEvPKlPT_S7_PKS6_PKT0_illlliPT3_S5_iiiiPKf
	.p2align	8
	.type	_ZN4vllm38concat_and_cache_mla_rope_fused_kernelIfN3c104HalfELb1EthLNS_18Fp8KVCacheDataTypeE1EEEvPKlPT_S7_PKS6_PKT0_illlliPT3_S5_iiiiPKf,@function
_ZN4vllm38concat_and_cache_mla_rope_fused_kernelIfN3c104HalfELb1EthLNS_18Fp8KVCacheDataTypeE1EEEvPKlPT_S7_PKS6_PKT0_illlliPT3_S5_iiiiPKf: ; @_ZN4vllm38concat_and_cache_mla_rope_fused_kernelIfN3c104HalfELb1EthLNS_18Fp8KVCacheDataTypeE1EEEvPKlPT_S7_PKS6_PKT0_illlliPT3_S5_iiiiPKf
; %bb.0:
	s_load_b64 s[4:5], s[0:1], 0x60
	s_mov_b32 s16, s15
	s_mov_b32 s17, 0
	s_delay_alu instid0(SALU_CYCLE_1)
	s_lshl_b64 s[2:3], s[16:17], 3
	s_waitcnt lgkmcnt(0)
	s_add_u32 s4, s4, s2
	s_addc_u32 s5, s5, s3
	s_load_b64 s[28:29], s[4:5], 0x0
	s_waitcnt lgkmcnt(0)
	v_cmp_lt_i64_e64 s4, s[28:29], 0
	s_delay_alu instid0(VALU_DEP_1)
	s_and_b32 vcc_lo, exec_lo, s4
	s_cbranch_vccnz .LBB74_67
; %bb.1:
	s_clause 0x3
	s_load_b32 s21, s[0:1], 0x28
	s_load_b64 s[4:5], s[0:1], 0x0
	s_load_b128 s[12:15], s[0:1], 0x10
	s_load_b32 s17, s[0:1], 0x50
	s_waitcnt lgkmcnt(0)
	s_ashr_i32 s24, s21, 31
	s_add_u32 s2, s4, s2
	s_addc_u32 s3, s5, s3
	s_lshr_b32 s20, s21, 31
	s_load_b64 s[22:23], s[2:3], 0x0
	s_clause 0x2
	s_load_b64 s[2:3], s[0:1], 0x20
	s_load_b64 s[18:19], s[0:1], 0x58
	s_load_b256 s[4:11], s[0:1], 0x30
	s_add_i32 s20, s21, s20
	s_delay_alu instid0(SALU_CYCLE_1) | instskip(NEXT) | instid1(SALU_CYCLE_1)
	s_ashr_i32 s20, s20, 1
	s_mul_i32 s17, s20, s17
	s_waitcnt lgkmcnt(0)
	s_mul_i32 s24, s22, s24
	s_mul_hi_u32 s25, s22, s21
	s_mul_i32 s23, s23, s21
	s_add_i32 s24, s25, s24
	s_mul_i32 s26, s22, s21
	s_add_i32 s27, s24, s23
	s_mov_b32 s24, exec_lo
	v_cmpx_gt_i32_e64 s17, v0
	s_cbranch_execz .LBB74_4
; %bb.2:
	s_clause 0x1
	s_load_b64 s[22:23], s[0:1], 0x8
	s_load_b32 s36, s[0:1], 0x8c
	s_lshl_b64 s[30:31], s[26:27], 1
	s_mul_i32 s5, s16, s5
	s_mul_hi_u32 s21, s16, s4
	s_add_u32 s25, s2, s30
	s_mul_i32 s4, s16, s4
	s_addc_u32 s30, s3, s31
	s_add_i32 s5, s21, s5
	s_ashr_i32 s21, s20, 31
	s_lshl_b64 s[4:5], s[4:5], 2
	s_mov_b32 s35, 0
	s_waitcnt lgkmcnt(0)
	s_add_u32 s31, s22, s4
	s_addc_u32 s33, s23, s5
	s_abs_i32 s34, s20
	s_and_b32 s36, s36, 0xffff
	v_cvt_f32_u32_e32 v1, s34
	s_sub_i32 s4, 0, s34
	s_sub_i32 s37, 0, s20
	s_lshl_b64 s[22:23], s[20:21], 2
	s_delay_alu instid0(VALU_DEP_1) | instskip(SKIP_2) | instid1(VALU_DEP_1)
	v_rcp_iflag_f32_e32 v1, v1
	s_waitcnt_depctr 0xfff
	v_mul_f32_e32 v1, 0x4f7ffffe, v1
	v_cvt_u32_f32_e32 v1, v1
	s_delay_alu instid0(VALU_DEP_1) | instskip(SKIP_1) | instid1(VALU_DEP_1)
	v_mul_lo_u32 v2, s4, v1
	s_lshl_b64 s[4:5], s[20:21], 1
	v_mul_hi_u32 v2, v1, v2
	s_delay_alu instid0(VALU_DEP_1)
	v_dual_mov_b32 v1, v0 :: v_dual_add_nc_u32 v2, v1, v2
.LBB74_3:                               ; =>This Inner Loop Header: Depth=1
	s_delay_alu instid0(VALU_DEP_1) | instskip(SKIP_1) | instid1(VALU_DEP_2)
	v_sub_nc_u32_e32 v3, 0, v1
	v_ashrrev_i32_e32 v4, 31, v1
	v_max_i32_e32 v3, v1, v3
	s_delay_alu instid0(VALU_DEP_2) | instskip(NEXT) | instid1(VALU_DEP_2)
	v_xor_b32_e32 v4, s21, v4
	v_mul_hi_u32 v5, v3, v2
	s_delay_alu instid0(VALU_DEP_1) | instskip(SKIP_1) | instid1(VALU_DEP_2)
	v_mul_lo_u32 v6, v5, s34
	v_add_nc_u32_e32 v7, 1, v5
	v_sub_nc_u32_e32 v3, v3, v6
	s_delay_alu instid0(VALU_DEP_1) | instskip(SKIP_1) | instid1(VALU_DEP_4)
	v_subrev_nc_u32_e32 v6, s34, v3
	v_cmp_le_u32_e32 vcc_lo, s34, v3
	v_cndmask_b32_e32 v5, v5, v7, vcc_lo
	s_delay_alu instid0(VALU_DEP_1) | instskip(NEXT) | instid1(VALU_DEP_1)
	v_dual_cndmask_b32 v3, v3, v6 :: v_dual_add_nc_u32 v6, 1, v5
	v_cmp_le_u32_e32 vcc_lo, s34, v3
	s_delay_alu instid0(VALU_DEP_2) | instskip(NEXT) | instid1(VALU_DEP_1)
	v_cndmask_b32_e32 v3, v5, v6, vcc_lo
	v_xor_b32_e32 v3, v3, v4
	s_delay_alu instid0(VALU_DEP_1) | instskip(NEXT) | instid1(VALU_DEP_1)
	v_sub_nc_u32_e32 v7, v3, v4
	v_ashrrev_i32_e32 v8, 31, v7
	v_mad_u64_u32 v[3:4], null, s37, v7, v[1:2]
	v_mul_lo_u32 v9, v7, s7
	v_mad_u64_u32 v[5:6], null, v7, s6, 0
	s_delay_alu instid0(VALU_DEP_4) | instskip(SKIP_2) | instid1(VALU_DEP_3)
	v_mul_lo_u32 v7, v8, s6
	v_add_nc_u32_e32 v1, s36, v1
	v_ashrrev_i32_e32 v4, 31, v3
	v_add3_u32 v6, v6, v9, v7
	s_delay_alu instid0(VALU_DEP_2) | instskip(SKIP_1) | instid1(VALU_DEP_3)
	v_lshlrev_b64 v[7:8], 1, v[3:4]
	v_lshlrev_b64 v[3:4], 2, v[3:4]
	;; [unrolled: 1-line block ×3, first 2 shown]
	s_delay_alu instid0(VALU_DEP_3) | instskip(NEXT) | instid1(VALU_DEP_4)
	v_add_co_u32 v7, vcc_lo, s25, v7
	v_add_co_ci_u32_e32 v8, vcc_lo, s30, v8, vcc_lo
	s_delay_alu instid0(VALU_DEP_3) | instskip(NEXT) | instid1(VALU_DEP_4)
	v_add_co_u32 v10, vcc_lo, s31, v5
	v_add_co_ci_u32_e32 v11, vcc_lo, s33, v6, vcc_lo
	s_delay_alu instid0(VALU_DEP_4) | instskip(NEXT) | instid1(VALU_DEP_4)
	v_add_co_u32 v5, vcc_lo, v7, s4
	v_add_co_ci_u32_e32 v6, vcc_lo, s5, v8, vcc_lo
	s_delay_alu instid0(VALU_DEP_4) | instskip(NEXT) | instid1(VALU_DEP_4)
	v_add_co_u32 v3, vcc_lo, v10, v3
	v_add_co_ci_u32_e32 v4, vcc_lo, v11, v4, vcc_lo
	s_clause 0x1
	global_load_u16 v9, v[7:8], off
	global_load_u16 v7, v[5:6], off
	v_add_co_u32 v5, vcc_lo, v3, s22
	v_add_co_ci_u32_e32 v6, vcc_lo, s23, v4, vcc_lo
	s_clause 0x1
	global_load_b32 v8, v[3:4], off
	global_load_b32 v10, v[5:6], off
	v_cmp_le_i32_e32 vcc_lo, s17, v1
	s_or_b32 s35, vcc_lo, s35
	s_waitcnt vmcnt(3)
	v_cvt_f32_f16_e32 v11, v9
	s_waitcnt vmcnt(2)
	v_cvt_f32_f16_e32 v12, v7
	s_waitcnt vmcnt(0)
	s_delay_alu instid0(VALU_DEP_1) | instskip(SKIP_1) | instid1(VALU_DEP_2)
	v_mul_f32_e32 v12, v10, v12
	v_mul_f32_e32 v10, v10, v11
	v_fma_mix_f32 v9, v8, v9, -v12 op_sel_hi:[0,1,0]
	s_delay_alu instid0(VALU_DEP_2)
	v_fma_mix_f32 v7, v8, v7, v10 op_sel_hi:[0,1,0]
	s_clause 0x1
	global_store_b32 v[3:4], v9, off
	global_store_b32 v[5:6], v7, off
	s_and_not1_b32 exec_lo, exec_lo, s35
	s_cbranch_execnz .LBB74_3
.LBB74_4:
	s_or_b32 exec_lo, exec_lo, s24
	s_load_b128 s[4:7], s[0:1], 0x68
	s_waitcnt lgkmcnt(0)
	s_ashr_i32 s31, s7, 31
	s_mov_b32 s30, s7
	s_delay_alu instid0(SALU_CYCLE_1) | instskip(SKIP_1) | instid1(SALU_CYCLE_1)
	s_or_b64 s[24:25], s[28:29], s[30:31]
	s_mov_b32 s24, 0
	s_cmp_lg_u64 s[24:25], 0
	s_cbranch_scc0 .LBB74_68
; %bb.5:
	s_add_u32 s34, s30, s31
	s_mov_b32 s22, s31
	s_mov_b32 s23, s31
	s_addc_u32 s35, s31, s31
	s_delay_alu instid0(SALU_CYCLE_1) | instskip(NEXT) | instid1(SALU_CYCLE_1)
	s_xor_b64 s[34:35], s[34:35], s[22:23]
	v_cvt_f32_u32_e32 v1, s34
	v_cvt_f32_u32_e32 v2, s35
	s_sub_u32 s21, 0, s34
	s_subb_u32 s25, 0, s35
	s_delay_alu instid0(VALU_DEP_1) | instskip(NEXT) | instid1(VALU_DEP_1)
	v_fmamk_f32 v1, v2, 0x4f800000, v1
	v_rcp_f32_e32 v1, v1
	s_waitcnt_depctr 0xfff
	v_mul_f32_e32 v1, 0x5f7ffffc, v1
	s_delay_alu instid0(VALU_DEP_1) | instskip(NEXT) | instid1(VALU_DEP_1)
	v_mul_f32_e32 v2, 0x2f800000, v1
	v_trunc_f32_e32 v2, v2
	s_delay_alu instid0(VALU_DEP_1) | instskip(SKIP_1) | instid1(VALU_DEP_2)
	v_fmamk_f32 v1, v2, 0xcf800000, v1
	v_cvt_u32_f32_e32 v2, v2
	v_cvt_u32_f32_e32 v1, v1
	s_delay_alu instid0(VALU_DEP_2) | instskip(NEXT) | instid1(VALU_DEP_2)
	v_readfirstlane_b32 s7, v2
	v_readfirstlane_b32 s17, v1
	s_delay_alu instid0(VALU_DEP_2) | instskip(NEXT) | instid1(VALU_DEP_1)
	s_mul_i32 s33, s21, s7
	s_mul_hi_u32 s37, s21, s17
	s_mul_i32 s36, s25, s17
	s_add_i32 s33, s37, s33
	s_mul_i32 s38, s21, s17
	s_add_i32 s33, s33, s36
	s_mul_hi_u32 s37, s17, s38
	s_mul_hi_u32 s39, s7, s38
	s_mul_i32 s36, s7, s38
	s_mul_hi_u32 s38, s17, s33
	s_mul_i32 s17, s17, s33
	s_mul_hi_u32 s40, s7, s33
	s_add_u32 s17, s37, s17
	s_addc_u32 s37, 0, s38
	s_add_u32 s17, s17, s36
	s_mul_i32 s33, s7, s33
	s_addc_u32 s17, s37, s39
	s_addc_u32 s36, s40, 0
	s_add_u32 s17, s17, s33
	s_addc_u32 s33, 0, s36
	v_add_co_u32 v1, s17, v1, s17
	s_delay_alu instid0(VALU_DEP_1) | instskip(SKIP_1) | instid1(VALU_DEP_1)
	s_cmp_lg_u32 s17, 0
	s_addc_u32 s7, s7, s33
	v_readfirstlane_b32 s17, v1
	s_mul_i32 s33, s21, s7
	s_delay_alu instid0(VALU_DEP_1)
	s_mul_hi_u32 s36, s21, s17
	s_mul_i32 s25, s25, s17
	s_add_i32 s33, s36, s33
	s_mul_i32 s21, s21, s17
	s_add_i32 s33, s33, s25
	s_mul_hi_u32 s36, s7, s21
	s_mul_i32 s37, s7, s21
	s_mul_hi_u32 s21, s17, s21
	s_mul_hi_u32 s38, s17, s33
	s_mul_i32 s17, s17, s33
	s_mul_hi_u32 s25, s7, s33
	s_add_u32 s17, s21, s17
	s_addc_u32 s21, 0, s38
	s_add_u32 s17, s17, s37
	s_mul_i32 s33, s7, s33
	s_addc_u32 s17, s21, s36
	s_addc_u32 s21, s25, 0
	s_add_u32 s17, s17, s33
	s_addc_u32 s21, 0, s21
	v_add_co_u32 v1, s17, v1, s17
	s_delay_alu instid0(VALU_DEP_1) | instskip(SKIP_2) | instid1(VALU_DEP_1)
	s_cmp_lg_u32 s17, 0
	s_addc_u32 s7, s7, s21
	s_ashr_i32 s36, s29, 31
	v_readfirstlane_b32 s17, v1
	s_add_u32 s38, s28, s36
	s_mov_b32 s37, s36
	s_addc_u32 s39, s29, s36
	s_delay_alu instid0(SALU_CYCLE_1) | instskip(NEXT) | instid1(SALU_CYCLE_1)
	s_xor_b64 s[38:39], s[38:39], s[36:37]
	s_mul_i32 s25, s38, s7
	s_mul_hi_u32 s33, s38, s17
	s_mul_hi_u32 s21, s38, s7
	;; [unrolled: 1-line block ×3, first 2 shown]
	s_mul_i32 s17, s39, s17
	s_add_u32 s25, s33, s25
	s_addc_u32 s21, 0, s21
	s_mul_hi_u32 s40, s39, s7
	s_add_u32 s17, s25, s17
	s_mul_i32 s7, s39, s7
	s_addc_u32 s17, s21, s41
	s_addc_u32 s21, s40, 0
	s_add_u32 s7, s17, s7
	s_addc_u32 s17, 0, s21
	s_mul_hi_u32 s21, s34, s7
	s_mul_i32 s33, s34, s17
	s_mul_i32 s40, s34, s7
	s_add_i32 s21, s21, s33
	v_sub_co_u32 v1, s33, s38, s40
	s_mul_i32 s25, s35, s7
	s_delay_alu instid0(SALU_CYCLE_1) | instskip(NEXT) | instid1(VALU_DEP_1)
	s_add_i32 s21, s21, s25
	v_sub_co_u32 v2, s38, v1, s34
	s_sub_i32 s25, s39, s21
	s_cmp_lg_u32 s33, 0
	s_subb_u32 s25, s25, s35
	s_cmp_lg_u32 s38, 0
	v_readfirstlane_b32 s38, v2
	s_subb_u32 s25, s25, 0
	s_delay_alu instid0(SALU_CYCLE_1) | instskip(SKIP_1) | instid1(VALU_DEP_1)
	s_cmp_ge_u32 s25, s35
	s_cselect_b32 s40, -1, 0
	s_cmp_ge_u32 s38, s34
	s_cselect_b32 s38, -1, 0
	s_cmp_eq_u32 s25, s35
	s_cselect_b32 s25, s38, s40
	s_add_u32 s38, s7, 1
	s_addc_u32 s40, s17, 0
	s_add_u32 s41, s7, 2
	s_addc_u32 s42, s17, 0
	s_cmp_lg_u32 s25, 0
	s_cselect_b32 s25, s41, s38
	s_cselect_b32 s38, s42, s40
	s_cmp_lg_u32 s33, 0
	v_readfirstlane_b32 s33, v1
	s_subb_u32 s21, s39, s21
	s_delay_alu instid0(SALU_CYCLE_1) | instskip(SKIP_1) | instid1(VALU_DEP_1)
	s_cmp_ge_u32 s21, s35
	s_cselect_b32 s39, -1, 0
	s_cmp_ge_u32 s33, s34
	s_cselect_b32 s33, -1, 0
	s_cmp_eq_u32 s21, s35
	s_cselect_b32 s21, s33, s39
	s_delay_alu instid0(SALU_CYCLE_1) | instskip(SKIP_3) | instid1(SALU_CYCLE_1)
	s_cmp_lg_u32 s21, 0
	s_cselect_b32 s35, s38, s17
	s_cselect_b32 s34, s25, s7
	s_xor_b64 s[22:23], s[36:37], s[22:23]
	s_xor_b64 s[34:35], s[34:35], s[22:23]
	s_delay_alu instid0(SALU_CYCLE_1)
	s_sub_u32 s22, s34, s22
	s_subb_u32 s23, s35, s23
	s_and_not1_b32 vcc_lo, exec_lo, s24
	s_cbranch_vccnz .LBB74_7
.LBB74_6:
	v_cvt_f32_u32_e32 v1, s30
	s_sub_i32 s17, 0, s30
	s_mov_b32 s23, 0
	s_delay_alu instid0(VALU_DEP_1) | instskip(SKIP_2) | instid1(VALU_DEP_1)
	v_rcp_iflag_f32_e32 v1, v1
	s_waitcnt_depctr 0xfff
	v_mul_f32_e32 v1, 0x4f7ffffe, v1
	v_cvt_u32_f32_e32 v1, v1
	s_delay_alu instid0(VALU_DEP_1) | instskip(NEXT) | instid1(VALU_DEP_1)
	v_readfirstlane_b32 s7, v1
	s_mul_i32 s17, s17, s7
	s_delay_alu instid0(SALU_CYCLE_1) | instskip(NEXT) | instid1(SALU_CYCLE_1)
	s_mul_hi_u32 s17, s7, s17
	s_add_i32 s7, s7, s17
	s_delay_alu instid0(SALU_CYCLE_1) | instskip(NEXT) | instid1(SALU_CYCLE_1)
	s_mul_hi_u32 s7, s28, s7
	s_mul_i32 s17, s7, s30
	s_add_i32 s21, s7, 1
	s_sub_i32 s17, s28, s17
	s_delay_alu instid0(SALU_CYCLE_1)
	s_sub_i32 s22, s17, s30
	s_cmp_ge_u32 s17, s30
	s_cselect_b32 s7, s21, s7
	s_cselect_b32 s17, s22, s17
	s_add_i32 s21, s7, 1
	s_cmp_ge_u32 s17, s30
	s_cselect_b32 s22, s21, s7
.LBB74_7:
	s_load_b64 s[24:25], s[0:1], 0x78
	s_mul_i32 s7, s22, s31
	s_mul_hi_u32 s17, s22, s30
	s_mul_i32 s21, s22, s30
	s_add_i32 s7, s17, s7
	s_mul_i32 s17, s23, s30
	s_mul_i32 s30, s23, s4
	s_add_i32 s17, s7, s17
	s_sub_u32 s7, s28, s21
	s_subb_u32 s17, s29, s17
	s_mul_hi_u32 s29, s22, s4
	s_mul_i32 s31, s22, s4
	s_mul_hi_u32 s28, s7, s5
	s_mul_i32 s17, s17, s5
	s_mul_i32 s23, s7, s5
	s_mov_b32 s33, exec_lo
	v_cmpx_gt_i32_e64 s20, v0
	s_cbranch_execz .LBB74_46
; %bb.8:
	s_load_b32 s38, s[0:1], 0x8c
	s_ashr_i32 s36, s4, 31
	s_ashr_i32 s37, s5, 31
	s_mul_i32 s36, s22, s36
	s_mul_i32 s37, s7, s37
	s_add_i32 s36, s29, s36
	s_add_i32 s37, s28, s37
	s_ashr_i32 s21, s20, 31
	s_add_i32 s36, s36, s30
	s_add_i32 s37, s37, s17
	s_add_u32 s42, s31, s23
	s_addc_u32 s43, s36, s37
	s_add_u32 s36, s42, s18
	s_addc_u32 s37, s43, s19
	s_ashr_i32 s44, s6, 31
	s_add_u32 s36, s36, s6
	v_dual_mov_b32 v2, 0 :: v_dual_lshlrev_b32 v1, 1, v0
	s_addc_u32 s37, s37, s44
	s_lshl_b64 s[26:27], s[26:27], 1
	s_waitcnt lgkmcnt(0)
	s_and_b32 s38, s38, 0xffff
	s_add_u32 s2, s2, s26
	s_load_b32 s34, s[24:25], 0x0
	s_addc_u32 s3, s3, s27
	v_add_co_u32 v3, s2, s2, v1
	s_delay_alu instid0(VALU_DEP_1)
	v_add_co_ci_u32_e64 v4, null, s3, 0, s2
	s_mul_i32 s2, s9, s16
	s_mul_hi_u32 s9, s8, s16
	s_mul_i32 s26, s8, s16
	s_add_i32 s27, s9, s2
	v_lshlrev_b32_e32 v1, 2, v0
	s_lshl_b64 s[40:41], s[26:27], 2
	s_lshl_b32 s3, s38, 1
	s_lshl_b64 s[8:9], s[20:21], 1
	s_lshl_b64 s[26:27], s[20:21], 2
	s_add_u32 s2, s12, s40
	s_addc_u32 s12, s13, s41
	v_add_co_u32 v5, s2, s2, v1
	s_lshl_b32 s39, s38, 2
	v_add_co_ci_u32_e64 v6, null, s12, 0, s2
	s_add_u32 s2, s42, s20
	s_addc_u32 s12, s43, s21
	s_add_u32 s2, s2, s6
	s_addc_u32 s12, s12, s44
	s_add_u32 s21, s18, s2
	s_mov_b32 s35, 0
	s_addc_u32 s40, s19, s12
	s_mov_b64 s[12:13], 0
	s_branch .LBB74_10
.LBB74_9:                               ;   in Loop: Header=BB74_10 Depth=1
	s_or_b32 exec_lo, exec_lo, s2
	s_add_u32 s12, s12, s38
	v_add_co_u32 v3, vcc_lo, v3, s3
	v_add_nc_u32_e32 v1, s12, v0
	v_add_co_ci_u32_e32 v4, vcc_lo, 0, v4, vcc_lo
	v_add_co_u32 v5, vcc_lo, v5, s39
	v_add_co_ci_u32_e32 v6, vcc_lo, 0, v6, vcc_lo
	v_add_co_u32 v7, s2, s21, v0
	s_addc_u32 s13, s13, 0
	v_cmp_le_i32_e32 vcc_lo, s20, v1
	s_add_u32 s21, s21, s38
	v_add_co_ci_u32_e64 v8, null, s40, 0, s2
	s_addc_u32 s40, s40, 0
	s_add_u32 s36, s36, s38
	s_addc_u32 s37, s37, 0
	s_or_b32 s35, vcc_lo, s35
	global_store_b8 v[7:8], v9, off
	s_and_not1_b32 exec_lo, exec_lo, s35
	s_cbranch_execz .LBB74_46
.LBB74_10:                              ; =>This Inner Loop Header: Depth=1
	v_add_co_u32 v7, vcc_lo, v3, s8
	v_add_co_ci_u32_e32 v8, vcc_lo, s9, v4, vcc_lo
	v_add_co_u32 v13, vcc_lo, v5, s26
	v_add_co_ci_u32_e32 v14, vcc_lo, s27, v6, vcc_lo
	s_mov_b32 s2, exec_lo
	global_load_u16 v1, v[7:8], off
	s_clause 0x1
	global_load_b32 v8, v[13:14], off
	global_load_b32 v10, v[5:6], off
	global_load_u16 v9, v[3:4], off
	s_waitcnt vmcnt(3)
	v_cvt_f32_f16_e32 v7, v1
	s_waitcnt vmcnt(2)
	s_delay_alu instid0(VALU_DEP_1) | instskip(SKIP_1) | instid1(VALU_DEP_1)
	v_mul_f32_e32 v7, v8, v7
	s_waitcnt vmcnt(0)
	v_fma_mix_f32 v17, v10, v9, -v7 op_sel_hi:[0,1,0]
	s_delay_alu instid0(VALU_DEP_1) | instskip(SKIP_1) | instid1(VALU_DEP_1)
	v_cvt_f32_f16_e32 v7, v17
	s_waitcnt lgkmcnt(0)
	v_div_scale_f32 v11, null, s34, s34, v7
	s_delay_alu instid0(VALU_DEP_1) | instskip(SKIP_2) | instid1(VALU_DEP_1)
	v_rcp_f32_e32 v12, v11
	s_waitcnt_depctr 0xfff
	v_fma_f32 v15, -v11, v12, 1.0
	v_fmac_f32_e32 v12, v15, v12
	v_div_scale_f32 v15, vcc_lo, v7, s34, v7
	s_delay_alu instid0(VALU_DEP_1) | instskip(NEXT) | instid1(VALU_DEP_1)
	v_mul_f32_e32 v16, v15, v12
	v_fma_f32 v18, -v11, v16, v15
	s_delay_alu instid0(VALU_DEP_1) | instskip(NEXT) | instid1(VALU_DEP_1)
	v_fmac_f32_e32 v16, v18, v12
	v_fma_f32 v11, -v11, v16, v15
	s_delay_alu instid0(VALU_DEP_1) | instskip(SKIP_1) | instid1(VALU_DEP_2)
	v_div_fmas_f32 v11, v11, v12, v16
	v_mov_b32_e32 v16, v2
	v_div_fixup_f32 v7, v11, s34, v7
	v_cvt_f32_f16_e32 v11, v9
	s_delay_alu instid0(VALU_DEP_2) | instskip(NEXT) | instid1(VALU_DEP_2)
	v_cvt_f16_f32_e32 v7, v7
	v_mul_f32_e32 v8, v8, v11
	s_delay_alu instid0(VALU_DEP_2) | instskip(NEXT) | instid1(VALU_DEP_2)
	v_cvt_f32_f16_e32 v7, v7
	v_fma_mix_f32 v11, v10, v1, v8 op_sel_hi:[0,1,0]
	s_clause 0x1
	global_store_b32 v[5:6], v17, off
	global_store_b32 v[13:14], v11, off
	v_and_b32_e32 v1, 0x7fffff, v7
	v_lshrrev_b32_e32 v9, 24, v7
	v_and_b32_e32 v15, 0x7f800000, v7
	s_delay_alu instid0(VALU_DEP_2) | instskip(NEXT) | instid1(VALU_DEP_1)
	v_and_b32_e32 v12, 0x80, v9
	v_or_b32_e32 v8, 0x7e, v12
	s_delay_alu instid0(VALU_DEP_3)
	v_cmpx_ne_u64_e32 0x7f800000, v[15:16]
	s_xor_b32 s41, exec_lo, s2
	s_cbranch_execz .LBB74_26
; %bb.11:                               ;   in Loop: Header=BB74_10 Depth=1
	v_dual_mov_b32 v10, v2 :: v_dual_and_b32 v9, 0x7fffffff, v7
	s_mov_b32 s2, exec_lo
	s_delay_alu instid0(VALU_DEP_1)
	v_cmpx_gt_u64_e32 0x43e00001, v[9:10]
	s_xor_b32 s42, exec_lo, s2
	s_cbranch_execz .LBB74_25
; %bb.12:                               ;   in Loop: Header=BB74_10 Depth=1
	v_mov_b32_e32 v8, 0
	s_mov_b32 s43, exec_lo
	v_cmpx_ne_u32_e32 0, v7
	s_cbranch_execz .LBB74_24
; %bb.13:                               ;   in Loop: Header=BB74_10 Depth=1
	v_bfe_u32 v13, v7, 23, 8
	v_or_b32_e32 v9, 0x800000, v1
	s_delay_alu instid0(VALU_DEP_2) | instskip(SKIP_1) | instid1(VALU_DEP_2)
	v_sub_nc_u32_e32 v7, 0x79, v13
	v_cmp_gt_u32_e32 vcc_lo, 0x7a, v13
	v_cndmask_b32_e32 v7, 0, v7, vcc_lo
	v_cmp_eq_u32_e32 vcc_lo, 0, v13
	s_delay_alu instid0(VALU_DEP_2) | instskip(SKIP_1) | instid1(VALU_DEP_2)
	v_cndmask_b32_e64 v14, v7, 0x78, vcc_lo
	v_cndmask_b32_e32 v1, v9, v1, vcc_lo
	v_add_nc_u32_e32 v7, 20, v14
	v_add_nc_u32_e32 v9, 19, v14
	s_delay_alu instid0(VALU_DEP_2) | instskip(NEXT) | instid1(VALU_DEP_2)
	v_lshlrev_b64 v[7:8], v7, -1
	v_lshlrev_b64 v[9:10], v9, 1
	s_delay_alu instid0(VALU_DEP_2) | instskip(NEXT) | instid1(VALU_DEP_3)
	v_not_b32_e32 v8, v8
	v_not_b32_e32 v7, v7
	s_delay_alu instid0(VALU_DEP_2) | instskip(NEXT) | instid1(VALU_DEP_2)
	v_and_b32_e32 v16, 0, v8
	v_and_b32_e32 v15, v1, v7
	v_lshrrev_b64 v[7:8], v14, v[1:2]
	s_delay_alu instid0(VALU_DEP_2) | instskip(NEXT) | instid1(VALU_DEP_2)
	v_cmp_eq_u64_e64 s2, v[15:16], v[9:10]
	v_dual_mov_b32 v10, v8 :: v_dual_mov_b32 v9, v7
	s_delay_alu instid0(VALU_DEP_2)
	s_and_saveexec_b32 s44, s2
; %bb.14:                               ;   in Loop: Header=BB74_10 Depth=1
	v_bfe_u32 v1, v7, 20, 1
	s_delay_alu instid0(VALU_DEP_1) | instskip(NEXT) | instid1(VALU_DEP_1)
	v_add_co_u32 v1, s2, v7, v1
	v_add_co_u32 v9, s2, v1, -1
; %bb.15:                               ;   in Loop: Header=BB74_10 Depth=1
	s_or_b32 exec_lo, exec_lo, s44
	v_add_nc_u32_e32 v1, 0xffffff81, v13
	v_lshrrev_b32_e32 v10, 23, v7
	s_mov_b32 s2, exec_lo
	s_delay_alu instid0(VALU_DEP_2) | instskip(NEXT) | instid1(VALU_DEP_1)
	v_cndmask_b32_e64 v1, v1, 0xffffff82, vcc_lo
	v_add3_u32 v10, v14, v1, v10
	v_and_b32_e32 v1, 0xfffff, v9
	s_delay_alu instid0(VALU_DEP_2) | instskip(NEXT) | instid1(VALU_DEP_2)
	v_add_nc_u32_e32 v9, 6, v10
	v_add_co_u32 v7, vcc_lo, v1, v7
	v_add_co_ci_u32_e32 v8, vcc_lo, 0, v8, vcc_lo
                                        ; implicit-def: $vgpr1
	s_delay_alu instid0(VALU_DEP_3)
	v_cmpx_ne_u32_e32 0, v9
	s_xor_b32 s2, exec_lo, s2
; %bb.16:                               ;   in Loop: Header=BB74_10 Depth=1
	s_delay_alu instid0(VALU_DEP_2) | instskip(SKIP_1) | instid1(VALU_DEP_1)
	v_cmp_lt_u64_e32 vcc_lo, 0xffffff, v[7:8]
	v_add_nc_u32_e32 v1, 7, v10
	v_cndmask_b32_e32 v1, v9, v1, vcc_lo
	v_cndmask_b32_e64 v9, 0, 1, vcc_lo
	s_delay_alu instid0(VALU_DEP_1)
	v_lshrrev_b64 v[7:8], v9, v[7:8]
; %bb.17:                               ;   in Loop: Header=BB74_10 Depth=1
	s_and_not1_saveexec_b32 s2, s2
; %bb.18:                               ;   in Loop: Header=BB74_10 Depth=1
	s_delay_alu instid0(VALU_DEP_1)
	v_bfe_u32 v1, v7, 23, 1
; %bb.19:                               ;   in Loop: Header=BB74_10 Depth=1
	s_or_b32 exec_lo, exec_lo, s2
	s_delay_alu instid0(VALU_DEP_2) | instskip(NEXT) | instid1(VALU_DEP_2)
	v_lshrrev_b64 v[7:8], 20, v[7:8]
	v_cmp_gt_i32_e32 vcc_lo, 16, v1
	v_cmp_ne_u32_e64 s2, 0, v1
	s_delay_alu instid0(VALU_DEP_3) | instskip(NEXT) | instid1(VALU_DEP_1)
	v_dual_cndmask_b32 v8, 0, v8 :: v_dual_cndmask_b32 v7, 7, v7
	v_cmp_ne_u64_e32 vcc_lo, 0, v[7:8]
                                        ; implicit-def: $vgpr8
	s_delay_alu instid0(VALU_DEP_3) | instskip(NEXT) | instid1(SALU_CYCLE_1)
	s_or_b32 s2, s2, vcc_lo
	s_and_saveexec_b32 s44, s2
	s_delay_alu instid0(SALU_CYCLE_1)
	s_xor_b32 s2, exec_lo, s44
; %bb.20:                               ;   in Loop: Header=BB74_10 Depth=1
	v_min_i32_e32 v1, 15, v1
	s_delay_alu instid0(VALU_DEP_1) | instskip(NEXT) | instid1(VALU_DEP_1)
	v_lshl_or_b32 v1, v1, 3, v12
                                        ; implicit-def: $vgpr12
	v_and_or_b32 v8, v7, 7, v1
; %bb.21:                               ;   in Loop: Header=BB74_10 Depth=1
	s_and_not1_saveexec_b32 s2, s2
; %bb.22:                               ;   in Loop: Header=BB74_10 Depth=1
	v_mov_b32_e32 v8, v12
; %bb.23:                               ;   in Loop: Header=BB74_10 Depth=1
	s_or_b32 exec_lo, exec_lo, s2
.LBB74_24:                              ;   in Loop: Header=BB74_10 Depth=1
	s_delay_alu instid0(SALU_CYCLE_1)
	s_or_b32 exec_lo, exec_lo, s43
.LBB74_25:                              ;   in Loop: Header=BB74_10 Depth=1
	s_and_not1_saveexec_b32 s2, s42
	s_delay_alu instid0(SALU_CYCLE_1)
	s_or_b32 exec_lo, exec_lo, s2
                                        ; implicit-def: $vgpr9
.LBB74_26:                              ;   in Loop: Header=BB74_10 Depth=1
	s_and_not1_saveexec_b32 s2, s41
; %bb.27:                               ;   in Loop: Header=BB74_10 Depth=1
	v_cmp_eq_u64_e32 vcc_lo, 0, v[1:2]
	v_or_b32_e32 v7, 0x7f, v9
	s_delay_alu instid0(VALU_DEP_1)
	v_cndmask_b32_e32 v8, v7, v8, vcc_lo
; %bb.28:                               ;   in Loop: Header=BB74_10 Depth=1
	s_or_b32 exec_lo, exec_lo, s2
	v_cvt_f32_f16_e32 v1, v11
	v_add_co_u32 v14, s2, s36, v0
	s_delay_alu instid0(VALU_DEP_1) | instskip(NEXT) | instid1(VALU_DEP_3)
	v_add_co_ci_u32_e64 v15, null, s37, 0, s2
	v_div_scale_f32 v7, null, s34, s34, v1
	v_div_scale_f32 v11, vcc_lo, v1, s34, v1
	global_store_b8 v[14:15], v8, off
	v_rcp_f32_e32 v9, v7
	s_mov_b32 s2, exec_lo
	v_mov_b32_e32 v13, v2
	s_waitcnt_depctr 0xfff
	v_fma_f32 v10, -v7, v9, 1.0
	s_delay_alu instid0(VALU_DEP_1) | instskip(NEXT) | instid1(VALU_DEP_1)
	v_fmac_f32_e32 v9, v10, v9
	v_mul_f32_e32 v10, v11, v9
	s_delay_alu instid0(VALU_DEP_1) | instskip(NEXT) | instid1(VALU_DEP_1)
	v_fma_f32 v12, -v7, v10, v11
	v_fmac_f32_e32 v10, v12, v9
	s_delay_alu instid0(VALU_DEP_1) | instskip(NEXT) | instid1(VALU_DEP_1)
	v_fma_f32 v7, -v7, v10, v11
	v_div_fmas_f32 v7, v7, v9, v10
	s_delay_alu instid0(VALU_DEP_1) | instskip(NEXT) | instid1(VALU_DEP_1)
	v_div_fixup_f32 v1, v7, s34, v1
	v_cvt_f16_f32_e32 v1, v1
	s_delay_alu instid0(VALU_DEP_1) | instskip(NEXT) | instid1(VALU_DEP_1)
	v_cvt_f32_f16_e32 v7, v1
	v_and_b32_e32 v1, 0x7fffff, v7
	v_lshrrev_b32_e32 v10, 24, v7
	v_and_b32_e32 v12, 0x7f800000, v7
	s_delay_alu instid0(VALU_DEP_2) | instskip(NEXT) | instid1(VALU_DEP_1)
	v_and_b32_e32 v11, 0x80, v10
	v_or_b32_e32 v9, 0x7e, v11
	s_delay_alu instid0(VALU_DEP_3)
	v_cmpx_ne_u64_e32 0x7f800000, v[12:13]
	s_xor_b32 s41, exec_lo, s2
	s_cbranch_execz .LBB74_44
; %bb.29:                               ;   in Loop: Header=BB74_10 Depth=1
	v_dual_mov_b32 v13, v2 :: v_dual_and_b32 v12, 0x7fffffff, v7
	s_mov_b32 s2, exec_lo
	s_delay_alu instid0(VALU_DEP_1)
	v_cmpx_gt_u64_e32 0x43e00001, v[12:13]
	s_xor_b32 s42, exec_lo, s2
	s_cbranch_execz .LBB74_43
; %bb.30:                               ;   in Loop: Header=BB74_10 Depth=1
	v_mov_b32_e32 v9, 0
	s_mov_b32 s43, exec_lo
	v_cmpx_ne_u32_e32 0, v7
	s_cbranch_execz .LBB74_42
; %bb.31:                               ;   in Loop: Header=BB74_10 Depth=1
	v_bfe_u32 v12, v7, 23, 8
	v_or_b32_e32 v9, 0x800000, v1
	s_delay_alu instid0(VALU_DEP_2) | instskip(SKIP_1) | instid1(VALU_DEP_2)
	v_sub_nc_u32_e32 v7, 0x79, v12
	v_cmp_gt_u32_e32 vcc_lo, 0x7a, v12
	v_cndmask_b32_e32 v7, 0, v7, vcc_lo
	v_cmp_eq_u32_e32 vcc_lo, 0, v12
	s_delay_alu instid0(VALU_DEP_2) | instskip(SKIP_1) | instid1(VALU_DEP_2)
	v_cndmask_b32_e64 v13, v7, 0x78, vcc_lo
	v_cndmask_b32_e32 v1, v9, v1, vcc_lo
	v_add_nc_u32_e32 v7, 20, v13
	v_add_nc_u32_e32 v9, 19, v13
	s_delay_alu instid0(VALU_DEP_2) | instskip(NEXT) | instid1(VALU_DEP_2)
	v_lshlrev_b64 v[7:8], v7, -1
	v_lshlrev_b64 v[9:10], v9, 1
	s_delay_alu instid0(VALU_DEP_2) | instskip(NEXT) | instid1(VALU_DEP_3)
	v_not_b32_e32 v8, v8
	v_not_b32_e32 v7, v7
	s_delay_alu instid0(VALU_DEP_2) | instskip(NEXT) | instid1(VALU_DEP_2)
	v_and_b32_e32 v15, 0, v8
	v_and_b32_e32 v14, v1, v7
	v_lshrrev_b64 v[7:8], v13, v[1:2]
	s_delay_alu instid0(VALU_DEP_2) | instskip(NEXT) | instid1(VALU_DEP_2)
	v_cmp_eq_u64_e64 s2, v[14:15], v[9:10]
	v_dual_mov_b32 v10, v8 :: v_dual_mov_b32 v9, v7
	s_delay_alu instid0(VALU_DEP_2)
	s_and_saveexec_b32 s44, s2
; %bb.32:                               ;   in Loop: Header=BB74_10 Depth=1
	v_bfe_u32 v1, v7, 20, 1
	s_delay_alu instid0(VALU_DEP_1) | instskip(NEXT) | instid1(VALU_DEP_1)
	v_add_co_u32 v1, s2, v7, v1
	v_add_co_u32 v9, s2, v1, -1
; %bb.33:                               ;   in Loop: Header=BB74_10 Depth=1
	s_or_b32 exec_lo, exec_lo, s44
	v_add_nc_u32_e32 v1, 0xffffff81, v12
	v_lshrrev_b32_e32 v10, 23, v7
	s_mov_b32 s2, exec_lo
	s_delay_alu instid0(VALU_DEP_2) | instskip(NEXT) | instid1(VALU_DEP_1)
	v_cndmask_b32_e64 v1, v1, 0xffffff82, vcc_lo
	v_add3_u32 v10, v13, v1, v10
	v_and_b32_e32 v1, 0xfffff, v9
	s_delay_alu instid0(VALU_DEP_2) | instskip(NEXT) | instid1(VALU_DEP_2)
	v_add_nc_u32_e32 v9, 6, v10
	v_add_co_u32 v7, vcc_lo, v1, v7
	v_add_co_ci_u32_e32 v8, vcc_lo, 0, v8, vcc_lo
                                        ; implicit-def: $vgpr1
	s_delay_alu instid0(VALU_DEP_3)
	v_cmpx_ne_u32_e32 0, v9
	s_xor_b32 s2, exec_lo, s2
; %bb.34:                               ;   in Loop: Header=BB74_10 Depth=1
	s_delay_alu instid0(VALU_DEP_2) | instskip(SKIP_1) | instid1(VALU_DEP_1)
	v_cmp_lt_u64_e32 vcc_lo, 0xffffff, v[7:8]
	v_add_nc_u32_e32 v1, 7, v10
	v_cndmask_b32_e32 v1, v9, v1, vcc_lo
	v_cndmask_b32_e64 v9, 0, 1, vcc_lo
	s_delay_alu instid0(VALU_DEP_1)
	v_lshrrev_b64 v[7:8], v9, v[7:8]
; %bb.35:                               ;   in Loop: Header=BB74_10 Depth=1
	s_and_not1_saveexec_b32 s2, s2
; %bb.36:                               ;   in Loop: Header=BB74_10 Depth=1
	s_delay_alu instid0(VALU_DEP_1)
	v_bfe_u32 v1, v7, 23, 1
; %bb.37:                               ;   in Loop: Header=BB74_10 Depth=1
	s_or_b32 exec_lo, exec_lo, s2
	s_delay_alu instid0(VALU_DEP_2) | instskip(NEXT) | instid1(VALU_DEP_2)
	v_lshrrev_b64 v[7:8], 20, v[7:8]
	v_cmp_gt_i32_e32 vcc_lo, 16, v1
	v_cmp_ne_u32_e64 s2, 0, v1
                                        ; implicit-def: $vgpr9
	s_delay_alu instid0(VALU_DEP_3) | instskip(NEXT) | instid1(VALU_DEP_1)
	v_dual_cndmask_b32 v8, 0, v8 :: v_dual_cndmask_b32 v7, 7, v7
	v_cmp_ne_u64_e32 vcc_lo, 0, v[7:8]
	s_delay_alu instid0(VALU_DEP_3) | instskip(NEXT) | instid1(SALU_CYCLE_1)
	s_or_b32 s2, s2, vcc_lo
	s_and_saveexec_b32 s44, s2
	s_delay_alu instid0(SALU_CYCLE_1)
	s_xor_b32 s2, exec_lo, s44
; %bb.38:                               ;   in Loop: Header=BB74_10 Depth=1
	v_min_i32_e32 v1, 15, v1
	s_delay_alu instid0(VALU_DEP_1) | instskip(NEXT) | instid1(VALU_DEP_1)
	v_lshl_or_b32 v1, v1, 3, v11
                                        ; implicit-def: $vgpr11
	v_and_or_b32 v9, v7, 7, v1
; %bb.39:                               ;   in Loop: Header=BB74_10 Depth=1
	s_and_not1_saveexec_b32 s2, s2
; %bb.40:                               ;   in Loop: Header=BB74_10 Depth=1
	v_mov_b32_e32 v9, v11
; %bb.41:                               ;   in Loop: Header=BB74_10 Depth=1
	s_or_b32 exec_lo, exec_lo, s2
.LBB74_42:                              ;   in Loop: Header=BB74_10 Depth=1
	s_delay_alu instid0(SALU_CYCLE_1)
	s_or_b32 exec_lo, exec_lo, s43
.LBB74_43:                              ;   in Loop: Header=BB74_10 Depth=1
	s_and_not1_saveexec_b32 s2, s42
	s_delay_alu instid0(SALU_CYCLE_1)
	s_or_b32 exec_lo, exec_lo, s2
                                        ; implicit-def: $vgpr10
.LBB74_44:                              ;   in Loop: Header=BB74_10 Depth=1
	s_and_not1_saveexec_b32 s2, s41
	s_cbranch_execz .LBB74_9
; %bb.45:                               ;   in Loop: Header=BB74_10 Depth=1
	v_cmp_eq_u64_e32 vcc_lo, 0, v[1:2]
	v_or_b32_e32 v7, 0x7f, v10
	s_delay_alu instid0(VALU_DEP_1)
	v_cndmask_b32_e32 v9, v7, v9, vcc_lo
	s_branch .LBB74_9
.LBB74_46:
	s_or_b32 exec_lo, exec_lo, s33
	s_delay_alu instid0(SALU_CYCLE_1)
	s_mov_b32 s2, exec_lo
	v_cmpx_gt_i32_e64 s6, v0
	s_cbranch_execz .LBB74_67
; %bb.47:
	s_mul_i32 s3, s16, s11
	s_mul_hi_u32 s8, s16, s10
	s_mul_i32 s2, s16, s10
	s_add_i32 s3, s8, s3
	s_load_b32 s0, s[0:1], 0x8c
	s_lshl_b64 s[2:3], s[2:3], 2
	v_mov_b32_e32 v3, 0
	s_add_u32 s1, s14, s2
	s_addc_u32 s2, s15, s3
	s_waitcnt lgkmcnt(0)
	s_load_b32 s3, s[24:25], 0x0
	s_ashr_i32 s4, s4, 31
	s_delay_alu instid0(SALU_CYCLE_1) | instskip(NEXT) | instid1(SALU_CYCLE_1)
	s_mul_i32 s4, s22, s4
	s_add_i32 s4, s29, s4
	s_delay_alu instid0(SALU_CYCLE_1) | instskip(SKIP_3) | instid1(SALU_CYCLE_1)
	s_add_i32 s4, s4, s30
	s_add_u32 s8, s18, s31
	s_addc_u32 s9, s19, s4
	s_ashr_i32 s4, s5, 31
	s_mul_i32 s7, s7, s4
	s_delay_alu instid0(SALU_CYCLE_1) | instskip(NEXT) | instid1(SALU_CYCLE_1)
	s_add_i32 s4, s28, s7
	s_add_i32 s5, s4, s17
	s_add_u32 s4, s8, s23
	s_addc_u32 s5, s9, s5
	s_and_b32 s7, s0, 0xffff
	s_mov_b32 s8, 0
	s_branch .LBB74_49
.LBB74_48:                              ;   in Loop: Header=BB74_49 Depth=1
	s_or_b32 exec_lo, exec_lo, s0
	v_add_co_u32 v6, vcc_lo, s4, v0
	v_add_nc_u32_e32 v0, s7, v0
	v_add_co_ci_u32_e32 v7, vcc_lo, s5, v1, vcc_lo
	s_delay_alu instid0(VALU_DEP_2) | instskip(SKIP_2) | instid1(SALU_CYCLE_1)
	v_cmp_le_i32_e32 vcc_lo, s6, v0
	global_store_b8 v[6:7], v5, off
	s_or_b32 s8, vcc_lo, s8
	s_and_not1_b32 exec_lo, exec_lo, s8
	s_cbranch_execz .LBB74_67
.LBB74_49:                              ; =>This Inner Loop Header: Depth=1
	v_ashrrev_i32_e32 v1, 31, v0
	s_mov_b32 s0, exec_lo
	v_mov_b32_e32 v10, v3
	s_delay_alu instid0(VALU_DEP_2) | instskip(NEXT) | instid1(VALU_DEP_1)
	v_lshlrev_b64 v[4:5], 2, v[0:1]
	v_add_co_u32 v4, vcc_lo, s1, v4
	s_delay_alu instid0(VALU_DEP_2) | instskip(SKIP_4) | instid1(VALU_DEP_1)
	v_add_co_ci_u32_e32 v5, vcc_lo, s2, v5, vcc_lo
	global_load_u16 v2, v[4:5], off
	s_waitcnt vmcnt(0)
	v_cvt_f32_f16_e32 v2, v2
	s_waitcnt lgkmcnt(0)
	v_div_scale_f32 v4, null, s3, s3, v2
	s_delay_alu instid0(VALU_DEP_1) | instskip(SKIP_2) | instid1(VALU_DEP_1)
	v_rcp_f32_e32 v5, v4
	s_waitcnt_depctr 0xfff
	v_fma_f32 v6, -v4, v5, 1.0
	v_fmac_f32_e32 v5, v6, v5
	v_div_scale_f32 v6, vcc_lo, v2, s3, v2
	s_delay_alu instid0(VALU_DEP_1) | instskip(NEXT) | instid1(VALU_DEP_1)
	v_mul_f32_e32 v7, v6, v5
	v_fma_f32 v8, -v4, v7, v6
	s_delay_alu instid0(VALU_DEP_1) | instskip(NEXT) | instid1(VALU_DEP_1)
	v_fmac_f32_e32 v7, v8, v5
	v_fma_f32 v4, -v4, v7, v6
	s_delay_alu instid0(VALU_DEP_1) | instskip(NEXT) | instid1(VALU_DEP_1)
	v_div_fmas_f32 v4, v4, v5, v7
	v_div_fixup_f32 v2, v4, s3, v2
	s_delay_alu instid0(VALU_DEP_1) | instskip(NEXT) | instid1(VALU_DEP_1)
	v_cvt_f16_f32_e32 v2, v2
	v_cvt_f32_f16_e32 v4, v2
	s_delay_alu instid0(VALU_DEP_1) | instskip(SKIP_2) | instid1(VALU_DEP_2)
	v_and_b32_e32 v2, 0x7fffff, v4
	v_lshrrev_b32_e32 v6, 24, v4
	v_and_b32_e32 v9, 0x7f800000, v4
	v_and_b32_e32 v8, 0x80, v6
	s_delay_alu instid0(VALU_DEP_1) | instskip(NEXT) | instid1(VALU_DEP_3)
	v_or_b32_e32 v5, 0x7e, v8
	v_cmpx_ne_u64_e32 0x7f800000, v[9:10]
	s_xor_b32 s9, exec_lo, s0
	s_cbranch_execz .LBB74_65
; %bb.50:                               ;   in Loop: Header=BB74_49 Depth=1
	v_dual_mov_b32 v7, v3 :: v_dual_and_b32 v6, 0x7fffffff, v4
	s_mov_b32 s0, exec_lo
	s_delay_alu instid0(VALU_DEP_1)
	v_cmpx_gt_u64_e32 0x43e00001, v[6:7]
	s_xor_b32 s10, exec_lo, s0
	s_cbranch_execz .LBB74_64
; %bb.51:                               ;   in Loop: Header=BB74_49 Depth=1
	v_mov_b32_e32 v5, 0
	s_mov_b32 s11, exec_lo
	v_cmpx_ne_u32_e32 0, v4
	s_cbranch_execz .LBB74_63
; %bb.52:                               ;   in Loop: Header=BB74_49 Depth=1
	v_bfe_u32 v9, v4, 23, 8
	v_or_b32_e32 v6, 0x800000, v2
	s_delay_alu instid0(VALU_DEP_2) | instskip(SKIP_1) | instid1(VALU_DEP_2)
	v_sub_nc_u32_e32 v4, 0x79, v9
	v_cmp_gt_u32_e32 vcc_lo, 0x7a, v9
	v_cndmask_b32_e32 v4, 0, v4, vcc_lo
	v_cmp_eq_u32_e32 vcc_lo, 0, v9
	s_delay_alu instid0(VALU_DEP_2) | instskip(SKIP_1) | instid1(VALU_DEP_2)
	v_cndmask_b32_e64 v10, v4, 0x78, vcc_lo
	v_cndmask_b32_e32 v2, v6, v2, vcc_lo
	v_add_nc_u32_e32 v4, 20, v10
	v_add_nc_u32_e32 v6, 19, v10
	s_delay_alu instid0(VALU_DEP_2) | instskip(NEXT) | instid1(VALU_DEP_2)
	v_lshlrev_b64 v[4:5], v4, -1
	v_lshlrev_b64 v[6:7], v6, 1
	s_delay_alu instid0(VALU_DEP_2) | instskip(NEXT) | instid1(VALU_DEP_3)
	v_not_b32_e32 v5, v5
	v_not_b32_e32 v4, v4
	s_delay_alu instid0(VALU_DEP_2) | instskip(NEXT) | instid1(VALU_DEP_2)
	v_and_b32_e32 v12, 0, v5
	v_and_b32_e32 v11, v2, v4
	v_lshrrev_b64 v[4:5], v10, v[2:3]
	s_delay_alu instid0(VALU_DEP_2) | instskip(NEXT) | instid1(VALU_DEP_2)
	v_cmp_eq_u64_e64 s0, v[11:12], v[6:7]
	v_dual_mov_b32 v7, v5 :: v_dual_mov_b32 v6, v4
	s_delay_alu instid0(VALU_DEP_2)
	s_and_saveexec_b32 s12, s0
; %bb.53:                               ;   in Loop: Header=BB74_49 Depth=1
	v_bfe_u32 v2, v4, 20, 1
	s_delay_alu instid0(VALU_DEP_1) | instskip(NEXT) | instid1(VALU_DEP_1)
	v_add_co_u32 v2, s0, v4, v2
	v_add_co_u32 v6, s0, v2, -1
; %bb.54:                               ;   in Loop: Header=BB74_49 Depth=1
	s_or_b32 exec_lo, exec_lo, s12
	v_add_nc_u32_e32 v2, 0xffffff81, v9
	v_lshrrev_b32_e32 v7, 23, v4
	s_mov_b32 s0, exec_lo
	s_delay_alu instid0(VALU_DEP_2) | instskip(NEXT) | instid1(VALU_DEP_1)
	v_cndmask_b32_e64 v2, v2, 0xffffff82, vcc_lo
	v_add3_u32 v7, v10, v2, v7
	v_and_b32_e32 v2, 0xfffff, v6
	s_delay_alu instid0(VALU_DEP_2) | instskip(NEXT) | instid1(VALU_DEP_2)
	v_add_nc_u32_e32 v6, 6, v7
	v_add_co_u32 v4, vcc_lo, v2, v4
	v_add_co_ci_u32_e32 v5, vcc_lo, 0, v5, vcc_lo
                                        ; implicit-def: $vgpr2
	s_delay_alu instid0(VALU_DEP_3)
	v_cmpx_ne_u32_e32 0, v6
	s_xor_b32 s0, exec_lo, s0
; %bb.55:                               ;   in Loop: Header=BB74_49 Depth=1
	s_delay_alu instid0(VALU_DEP_2) | instskip(SKIP_1) | instid1(VALU_DEP_1)
	v_cmp_lt_u64_e32 vcc_lo, 0xffffff, v[4:5]
	v_add_nc_u32_e32 v2, 7, v7
	v_cndmask_b32_e32 v2, v6, v2, vcc_lo
	v_cndmask_b32_e64 v6, 0, 1, vcc_lo
	s_delay_alu instid0(VALU_DEP_1)
	v_lshrrev_b64 v[4:5], v6, v[4:5]
; %bb.56:                               ;   in Loop: Header=BB74_49 Depth=1
	s_and_not1_saveexec_b32 s0, s0
; %bb.57:                               ;   in Loop: Header=BB74_49 Depth=1
	s_delay_alu instid0(VALU_DEP_1)
	v_bfe_u32 v2, v4, 23, 1
; %bb.58:                               ;   in Loop: Header=BB74_49 Depth=1
	s_or_b32 exec_lo, exec_lo, s0
	s_delay_alu instid0(VALU_DEP_2) | instskip(NEXT) | instid1(VALU_DEP_2)
	v_lshrrev_b64 v[4:5], 20, v[4:5]
	v_cmp_gt_i32_e32 vcc_lo, 16, v2
	v_cmp_ne_u32_e64 s0, 0, v2
	s_delay_alu instid0(VALU_DEP_3) | instskip(NEXT) | instid1(VALU_DEP_1)
	v_dual_cndmask_b32 v5, 0, v5 :: v_dual_cndmask_b32 v4, 7, v4
	v_cmp_ne_u64_e32 vcc_lo, 0, v[4:5]
                                        ; implicit-def: $vgpr5
	s_delay_alu instid0(VALU_DEP_3) | instskip(NEXT) | instid1(SALU_CYCLE_1)
	s_or_b32 s0, s0, vcc_lo
	s_and_saveexec_b32 s12, s0
	s_delay_alu instid0(SALU_CYCLE_1)
	s_xor_b32 s0, exec_lo, s12
; %bb.59:                               ;   in Loop: Header=BB74_49 Depth=1
	v_min_i32_e32 v2, 15, v2
	s_delay_alu instid0(VALU_DEP_1) | instskip(NEXT) | instid1(VALU_DEP_1)
	v_lshl_or_b32 v2, v2, 3, v8
                                        ; implicit-def: $vgpr8
	v_and_or_b32 v5, v4, 7, v2
; %bb.60:                               ;   in Loop: Header=BB74_49 Depth=1
	s_and_not1_saveexec_b32 s0, s0
; %bb.61:                               ;   in Loop: Header=BB74_49 Depth=1
	v_mov_b32_e32 v5, v8
; %bb.62:                               ;   in Loop: Header=BB74_49 Depth=1
	s_or_b32 exec_lo, exec_lo, s0
.LBB74_63:                              ;   in Loop: Header=BB74_49 Depth=1
	s_delay_alu instid0(SALU_CYCLE_1)
	s_or_b32 exec_lo, exec_lo, s11
.LBB74_64:                              ;   in Loop: Header=BB74_49 Depth=1
	s_and_not1_saveexec_b32 s0, s10
	s_delay_alu instid0(SALU_CYCLE_1)
	s_or_b32 exec_lo, exec_lo, s0
                                        ; implicit-def: $vgpr6
.LBB74_65:                              ;   in Loop: Header=BB74_49 Depth=1
	s_and_not1_saveexec_b32 s0, s9
	s_cbranch_execz .LBB74_48
; %bb.66:                               ;   in Loop: Header=BB74_49 Depth=1
	v_cmp_eq_u64_e32 vcc_lo, 0, v[2:3]
	v_or_b32_e32 v4, 0x7f, v6
	s_delay_alu instid0(VALU_DEP_1)
	v_cndmask_b32_e32 v5, v4, v5, vcc_lo
	s_branch .LBB74_48
.LBB74_67:
	s_nop 0
	s_sendmsg sendmsg(MSG_DEALLOC_VGPRS)
	s_endpgm
.LBB74_68:
                                        ; implicit-def: $sgpr22_sgpr23
	s_branch .LBB74_6
	.section	.rodata,"a",@progbits
	.p2align	6, 0x0
	.amdhsa_kernel _ZN4vllm38concat_and_cache_mla_rope_fused_kernelIfN3c104HalfELb1EthLNS_18Fp8KVCacheDataTypeE1EEEvPKlPT_S7_PKS6_PKT0_illlliPT3_S5_iiiiPKf
		.amdhsa_group_segment_fixed_size 0
		.amdhsa_private_segment_fixed_size 0
		.amdhsa_kernarg_size 384
		.amdhsa_user_sgpr_count 15
		.amdhsa_user_sgpr_dispatch_ptr 0
		.amdhsa_user_sgpr_queue_ptr 0
		.amdhsa_user_sgpr_kernarg_segment_ptr 1
		.amdhsa_user_sgpr_dispatch_id 0
		.amdhsa_user_sgpr_private_segment_size 0
		.amdhsa_wavefront_size32 1
		.amdhsa_uses_dynamic_stack 0
		.amdhsa_enable_private_segment 0
		.amdhsa_system_sgpr_workgroup_id_x 1
		.amdhsa_system_sgpr_workgroup_id_y 0
		.amdhsa_system_sgpr_workgroup_id_z 0
		.amdhsa_system_sgpr_workgroup_info 0
		.amdhsa_system_vgpr_workitem_id 0
		.amdhsa_next_free_vgpr 19
		.amdhsa_next_free_sgpr 45
		.amdhsa_reserve_vcc 1
		.amdhsa_float_round_mode_32 0
		.amdhsa_float_round_mode_16_64 0
		.amdhsa_float_denorm_mode_32 3
		.amdhsa_float_denorm_mode_16_64 3
		.amdhsa_dx10_clamp 1
		.amdhsa_ieee_mode 1
		.amdhsa_fp16_overflow 0
		.amdhsa_workgroup_processor_mode 1
		.amdhsa_memory_ordered 1
		.amdhsa_forward_progress 0
		.amdhsa_shared_vgpr_count 0
		.amdhsa_exception_fp_ieee_invalid_op 0
		.amdhsa_exception_fp_denorm_src 0
		.amdhsa_exception_fp_ieee_div_zero 0
		.amdhsa_exception_fp_ieee_overflow 0
		.amdhsa_exception_fp_ieee_underflow 0
		.amdhsa_exception_fp_ieee_inexact 0
		.amdhsa_exception_int_div_zero 0
	.end_amdhsa_kernel
	.section	.text._ZN4vllm38concat_and_cache_mla_rope_fused_kernelIfN3c104HalfELb1EthLNS_18Fp8KVCacheDataTypeE1EEEvPKlPT_S7_PKS6_PKT0_illlliPT3_S5_iiiiPKf,"axG",@progbits,_ZN4vllm38concat_and_cache_mla_rope_fused_kernelIfN3c104HalfELb1EthLNS_18Fp8KVCacheDataTypeE1EEEvPKlPT_S7_PKS6_PKT0_illlliPT3_S5_iiiiPKf,comdat
.Lfunc_end74:
	.size	_ZN4vllm38concat_and_cache_mla_rope_fused_kernelIfN3c104HalfELb1EthLNS_18Fp8KVCacheDataTypeE1EEEvPKlPT_S7_PKS6_PKT0_illlliPT3_S5_iiiiPKf, .Lfunc_end74-_ZN4vllm38concat_and_cache_mla_rope_fused_kernelIfN3c104HalfELb1EthLNS_18Fp8KVCacheDataTypeE1EEEvPKlPT_S7_PKS6_PKT0_illlliPT3_S5_iiiiPKf
                                        ; -- End function
	.section	.AMDGPU.csdata,"",@progbits
; Kernel info:
; codeLenInByte = 4484
; NumSgprs: 47
; NumVgprs: 19
; ScratchSize: 0
; MemoryBound: 0
; FloatMode: 240
; IeeeMode: 1
; LDSByteSize: 0 bytes/workgroup (compile time only)
; SGPRBlocks: 5
; VGPRBlocks: 2
; NumSGPRsForWavesPerEU: 47
; NumVGPRsForWavesPerEU: 19
; Occupancy: 16
; WaveLimiterHint : 1
; COMPUTE_PGM_RSRC2:SCRATCH_EN: 0
; COMPUTE_PGM_RSRC2:USER_SGPR: 15
; COMPUTE_PGM_RSRC2:TRAP_HANDLER: 0
; COMPUTE_PGM_RSRC2:TGID_X_EN: 1
; COMPUTE_PGM_RSRC2:TGID_Y_EN: 0
; COMPUTE_PGM_RSRC2:TGID_Z_EN: 0
; COMPUTE_PGM_RSRC2:TIDIG_COMP_CNT: 0
	.section	.text._ZN4vllm38concat_and_cache_mla_rope_fused_kernelIfN3c104HalfELb0EthLNS_18Fp8KVCacheDataTypeE1EEEvPKlPT_S7_PKS6_PKT0_illlliPT3_S5_iiiiPKf,"axG",@progbits,_ZN4vllm38concat_and_cache_mla_rope_fused_kernelIfN3c104HalfELb0EthLNS_18Fp8KVCacheDataTypeE1EEEvPKlPT_S7_PKS6_PKT0_illlliPT3_S5_iiiiPKf,comdat
	.protected	_ZN4vllm38concat_and_cache_mla_rope_fused_kernelIfN3c104HalfELb0EthLNS_18Fp8KVCacheDataTypeE1EEEvPKlPT_S7_PKS6_PKT0_illlliPT3_S5_iiiiPKf ; -- Begin function _ZN4vllm38concat_and_cache_mla_rope_fused_kernelIfN3c104HalfELb0EthLNS_18Fp8KVCacheDataTypeE1EEEvPKlPT_S7_PKS6_PKT0_illlliPT3_S5_iiiiPKf
	.globl	_ZN4vllm38concat_and_cache_mla_rope_fused_kernelIfN3c104HalfELb0EthLNS_18Fp8KVCacheDataTypeE1EEEvPKlPT_S7_PKS6_PKT0_illlliPT3_S5_iiiiPKf
	.p2align	8
	.type	_ZN4vllm38concat_and_cache_mla_rope_fused_kernelIfN3c104HalfELb0EthLNS_18Fp8KVCacheDataTypeE1EEEvPKlPT_S7_PKS6_PKT0_illlliPT3_S5_iiiiPKf,@function
_ZN4vllm38concat_and_cache_mla_rope_fused_kernelIfN3c104HalfELb0EthLNS_18Fp8KVCacheDataTypeE1EEEvPKlPT_S7_PKS6_PKT0_illlliPT3_S5_iiiiPKf: ; @_ZN4vllm38concat_and_cache_mla_rope_fused_kernelIfN3c104HalfELb0EthLNS_18Fp8KVCacheDataTypeE1EEEvPKlPT_S7_PKS6_PKT0_illlliPT3_S5_iiiiPKf
; %bb.0:
	s_load_b64 s[4:5], s[0:1], 0x60
	s_mov_b32 s16, s15
	s_mov_b32 s17, 0
	s_delay_alu instid0(SALU_CYCLE_1)
	s_lshl_b64 s[2:3], s[16:17], 3
	s_waitcnt lgkmcnt(0)
	s_add_u32 s4, s4, s2
	s_addc_u32 s5, s5, s3
	s_load_b64 s[26:27], s[4:5], 0x0
	s_waitcnt lgkmcnt(0)
	v_cmp_lt_i64_e64 s4, s[26:27], 0
	s_delay_alu instid0(VALU_DEP_1)
	s_and_b32 vcc_lo, exec_lo, s4
	s_cbranch_vccnz .LBB75_67
; %bb.1:
	s_clause 0x3
	s_load_b32 s21, s[0:1], 0x28
	s_load_b64 s[4:5], s[0:1], 0x0
	s_load_b128 s[12:15], s[0:1], 0x10
	s_load_b32 s17, s[0:1], 0x50
	v_lshlrev_b32_e32 v3, 1, v0
	s_waitcnt lgkmcnt(0)
	s_ashr_i32 s24, s21, 31
	s_add_u32 s2, s4, s2
	s_addc_u32 s3, s5, s3
	s_lshr_b32 s20, s21, 31
	s_load_b64 s[22:23], s[2:3], 0x0
	s_clause 0x2
	s_load_b64 s[2:3], s[0:1], 0x20
	s_load_b64 s[18:19], s[0:1], 0x58
	s_load_b256 s[4:11], s[0:1], 0x30
	s_add_i32 s20, s21, s20
	s_delay_alu instid0(SALU_CYCLE_1) | instskip(NEXT) | instid1(SALU_CYCLE_1)
	s_ashr_i32 s20, s20, 1
	s_mul_i32 s17, s20, s17
	s_waitcnt lgkmcnt(0)
	s_mul_i32 s24, s22, s24
	s_mul_hi_u32 s25, s22, s21
	s_mul_i32 s23, s23, s21
	s_add_i32 s24, s25, s24
	s_mul_i32 s28, s22, s21
	s_add_i32 s29, s24, s23
	s_mov_b32 s22, exec_lo
	v_cmpx_gt_i32_e64 s17, v0
	s_cbranch_execz .LBB75_4
; %bb.2:
	s_clause 0x1
	s_load_b64 s[30:31], s[0:1], 0x8
	s_load_b32 s34, s[0:1], 0x8c
	s_lshl_b64 s[24:25], s[28:29], 1
	s_mul_i32 s5, s16, s5
	s_mul_hi_u32 s21, s16, s4
	s_add_u32 s23, s2, s24
	s_mul_i32 s4, s16, s4
	s_addc_u32 s24, s3, s25
	s_add_i32 s5, s21, s5
	s_ashr_i32 s21, s20, 31
	s_lshl_b64 s[4:5], s[4:5], 2
	s_mov_b32 s33, 0
	s_waitcnt lgkmcnt(0)
	s_add_u32 s25, s30, s4
	s_addc_u32 s30, s31, s5
	s_abs_i32 s31, s20
	s_and_b32 s34, s34, 0xffff
	v_cvt_f32_u32_e32 v1, s31
	s_sub_i32 s4, 0, s31
	s_sub_i32 s35, 0, s20
	s_lshl_b32 s37, s34, 1
	s_delay_alu instid0(VALU_DEP_1) | instskip(SKIP_2) | instid1(VALU_DEP_1)
	v_rcp_iflag_f32_e32 v1, v1
	s_waitcnt_depctr 0xfff
	v_mul_f32_e32 v1, 0x4f7ffffe, v1
	v_cvt_u32_f32_e32 v2, v1
	s_delay_alu instid0(VALU_DEP_1) | instskip(SKIP_1) | instid1(SALU_CYCLE_1)
	v_mul_lo_u32 v1, s4, v2
	s_lshl_b32 s4, s20, 1
	s_sub_i32 s36, 0, s4
	s_lshl_b64 s[4:5], s[20:21], 1
	s_delay_alu instid0(VALU_DEP_1) | instskip(NEXT) | instid1(VALU_DEP_1)
	v_mul_hi_u32 v4, v2, v1
	v_dual_mov_b32 v1, v3 :: v_dual_add_nc_u32 v4, v2, v4
	v_mov_b32_e32 v2, v0
.LBB75_3:                               ; =>This Inner Loop Header: Depth=1
	s_delay_alu instid0(VALU_DEP_1) | instskip(SKIP_1) | instid1(VALU_DEP_2)
	v_sub_nc_u32_e32 v5, 0, v2
	v_ashrrev_i32_e32 v6, 31, v2
	v_max_i32_e32 v5, v2, v5
	s_delay_alu instid0(VALU_DEP_2) | instskip(NEXT) | instid1(VALU_DEP_2)
	v_xor_b32_e32 v6, s21, v6
	v_mul_hi_u32 v7, v5, v4
	s_delay_alu instid0(VALU_DEP_1) | instskip(SKIP_1) | instid1(VALU_DEP_2)
	v_mul_lo_u32 v8, v7, s31
	v_add_nc_u32_e32 v9, 1, v7
	v_sub_nc_u32_e32 v5, v5, v8
	s_delay_alu instid0(VALU_DEP_1) | instskip(SKIP_1) | instid1(VALU_DEP_4)
	v_subrev_nc_u32_e32 v8, s31, v5
	v_cmp_le_u32_e32 vcc_lo, s31, v5
	v_cndmask_b32_e32 v7, v7, v9, vcc_lo
	s_delay_alu instid0(VALU_DEP_1) | instskip(NEXT) | instid1(VALU_DEP_1)
	v_dual_cndmask_b32 v5, v5, v8 :: v_dual_add_nc_u32 v8, 1, v7
	v_cmp_le_u32_e32 vcc_lo, s31, v5
	s_delay_alu instid0(VALU_DEP_2) | instskip(NEXT) | instid1(VALU_DEP_1)
	v_cndmask_b32_e32 v5, v7, v8, vcc_lo
	v_xor_b32_e32 v5, v5, v6
	s_delay_alu instid0(VALU_DEP_1) | instskip(NEXT) | instid1(VALU_DEP_1)
	v_sub_nc_u32_e32 v11, v5, v6
	v_mad_u64_u32 v[5:6], null, s35, v11, v[2:3]
	v_ashrrev_i32_e32 v6, 31, v11
	v_mul_lo_u32 v12, v11, s7
	v_mad_u64_u32 v[7:8], null, v11, s6, 0
	v_mad_u64_u32 v[9:10], null, s36, v11, v[1:2]
	s_delay_alu instid0(VALU_DEP_4) | instskip(SKIP_3) | instid1(VALU_DEP_3)
	v_mul_lo_u32 v11, v6, s6
	v_ashrrev_i32_e32 v6, 31, v5
	v_add_nc_u32_e32 v2, s34, v2
	v_add_nc_u32_e32 v1, s37, v1
	v_lshlrev_b64 v[5:6], 1, v[5:6]
	v_ashrrev_i32_e32 v10, 31, v9
	v_add3_u32 v8, v8, v12, v11
	s_delay_alu instid0(VALU_DEP_3) | instskip(NEXT) | instid1(VALU_DEP_2)
	v_add_co_u32 v5, vcc_lo, s23, v5
	v_lshlrev_b64 v[7:8], 2, v[7:8]
	v_add_co_ci_u32_e32 v6, vcc_lo, s24, v6, vcc_lo
	s_delay_alu instid0(VALU_DEP_3) | instskip(SKIP_1) | instid1(VALU_DEP_3)
	v_add_co_u32 v11, vcc_lo, v5, s4
	v_lshlrev_b64 v[9:10], 2, v[9:10]
	v_add_co_ci_u32_e32 v12, vcc_lo, s5, v6, vcc_lo
	v_add_co_u32 v7, vcc_lo, s25, v7
	v_add_co_ci_u32_e32 v8, vcc_lo, s30, v8, vcc_lo
	s_clause 0x1
	global_load_u16 v13, v[5:6], off
	global_load_u16 v11, v[11:12], off
	v_add_co_u32 v5, vcc_lo, v7, v9
	v_add_co_ci_u32_e32 v6, vcc_lo, v8, v10, vcc_lo
	v_cmp_le_i32_e32 vcc_lo, s17, v2
	global_load_b64 v[7:8], v[5:6], off
	s_or_b32 s33, vcc_lo, s33
	s_waitcnt vmcnt(2)
	v_cvt_f32_f16_e32 v9, v13
	s_waitcnt vmcnt(1)
	v_cvt_f32_f16_e32 v10, v11
	s_waitcnt vmcnt(0)
	s_delay_alu instid0(VALU_DEP_1) | instskip(SKIP_1) | instid1(VALU_DEP_2)
	v_mul_f32_e32 v10, v8, v10
	v_mul_f32_e32 v9, v8, v9
	v_fma_mix_f32 v8, v7, v13, -v10 op_sel_hi:[0,1,0]
	s_delay_alu instid0(VALU_DEP_2)
	v_fma_mix_f32 v9, v7, v11, v9 op_sel_hi:[0,1,0]
	global_store_b64 v[5:6], v[8:9], off
	s_and_not1_b32 exec_lo, exec_lo, s33
	s_cbranch_execnz .LBB75_3
.LBB75_4:
	s_or_b32 exec_lo, exec_lo, s22
	s_load_b128 s[4:7], s[0:1], 0x68
	s_waitcnt lgkmcnt(0)
	s_ashr_i32 s31, s7, 31
	s_mov_b32 s30, s7
	s_delay_alu instid0(SALU_CYCLE_1) | instskip(SKIP_1) | instid1(SALU_CYCLE_1)
	s_or_b64 s[24:25], s[26:27], s[30:31]
	s_mov_b32 s24, 0
	s_cmp_lg_u64 s[24:25], 0
	s_cbranch_scc0 .LBB75_68
; %bb.5:
	s_add_u32 s34, s30, s31
	s_mov_b32 s22, s31
	s_mov_b32 s23, s31
	s_addc_u32 s35, s31, s31
	s_delay_alu instid0(SALU_CYCLE_1) | instskip(NEXT) | instid1(SALU_CYCLE_1)
	s_xor_b64 s[34:35], s[34:35], s[22:23]
	v_cvt_f32_u32_e32 v1, s34
	v_cvt_f32_u32_e32 v2, s35
	s_sub_u32 s21, 0, s34
	s_subb_u32 s25, 0, s35
	s_delay_alu instid0(VALU_DEP_1) | instskip(NEXT) | instid1(VALU_DEP_1)
	v_fmamk_f32 v1, v2, 0x4f800000, v1
	v_rcp_f32_e32 v1, v1
	s_waitcnt_depctr 0xfff
	v_mul_f32_e32 v1, 0x5f7ffffc, v1
	s_delay_alu instid0(VALU_DEP_1) | instskip(NEXT) | instid1(VALU_DEP_1)
	v_mul_f32_e32 v2, 0x2f800000, v1
	v_trunc_f32_e32 v2, v2
	s_delay_alu instid0(VALU_DEP_1) | instskip(SKIP_1) | instid1(VALU_DEP_2)
	v_fmamk_f32 v1, v2, 0xcf800000, v1
	v_cvt_u32_f32_e32 v2, v2
	v_cvt_u32_f32_e32 v1, v1
	s_delay_alu instid0(VALU_DEP_2) | instskip(NEXT) | instid1(VALU_DEP_2)
	v_readfirstlane_b32 s7, v2
	v_readfirstlane_b32 s17, v1
	s_delay_alu instid0(VALU_DEP_2) | instskip(NEXT) | instid1(VALU_DEP_1)
	s_mul_i32 s33, s21, s7
	s_mul_hi_u32 s37, s21, s17
	s_mul_i32 s36, s25, s17
	s_add_i32 s33, s37, s33
	s_mul_i32 s38, s21, s17
	s_add_i32 s33, s33, s36
	s_mul_hi_u32 s37, s17, s38
	s_mul_hi_u32 s39, s7, s38
	s_mul_i32 s36, s7, s38
	s_mul_hi_u32 s38, s17, s33
	s_mul_i32 s17, s17, s33
	s_mul_hi_u32 s40, s7, s33
	s_add_u32 s17, s37, s17
	s_addc_u32 s37, 0, s38
	s_add_u32 s17, s17, s36
	s_mul_i32 s33, s7, s33
	s_addc_u32 s17, s37, s39
	s_addc_u32 s36, s40, 0
	s_add_u32 s17, s17, s33
	s_addc_u32 s33, 0, s36
	v_add_co_u32 v1, s17, v1, s17
	s_delay_alu instid0(VALU_DEP_1) | instskip(SKIP_1) | instid1(VALU_DEP_1)
	s_cmp_lg_u32 s17, 0
	s_addc_u32 s7, s7, s33
	v_readfirstlane_b32 s17, v1
	s_mul_i32 s33, s21, s7
	s_delay_alu instid0(VALU_DEP_1)
	s_mul_hi_u32 s36, s21, s17
	s_mul_i32 s25, s25, s17
	s_add_i32 s33, s36, s33
	s_mul_i32 s21, s21, s17
	s_add_i32 s33, s33, s25
	s_mul_hi_u32 s36, s7, s21
	s_mul_i32 s37, s7, s21
	s_mul_hi_u32 s21, s17, s21
	s_mul_hi_u32 s38, s17, s33
	s_mul_i32 s17, s17, s33
	s_mul_hi_u32 s25, s7, s33
	s_add_u32 s17, s21, s17
	s_addc_u32 s21, 0, s38
	s_add_u32 s17, s17, s37
	s_mul_i32 s33, s7, s33
	s_addc_u32 s17, s21, s36
	s_addc_u32 s21, s25, 0
	s_add_u32 s17, s17, s33
	s_addc_u32 s21, 0, s21
	v_add_co_u32 v1, s17, v1, s17
	s_delay_alu instid0(VALU_DEP_1) | instskip(SKIP_2) | instid1(VALU_DEP_1)
	s_cmp_lg_u32 s17, 0
	s_addc_u32 s7, s7, s21
	s_ashr_i32 s36, s27, 31
	v_readfirstlane_b32 s17, v1
	s_add_u32 s38, s26, s36
	s_mov_b32 s37, s36
	s_addc_u32 s39, s27, s36
	s_delay_alu instid0(SALU_CYCLE_1) | instskip(NEXT) | instid1(SALU_CYCLE_1)
	s_xor_b64 s[38:39], s[38:39], s[36:37]
	s_mul_i32 s25, s38, s7
	s_mul_hi_u32 s33, s38, s17
	s_mul_hi_u32 s21, s38, s7
	;; [unrolled: 1-line block ×3, first 2 shown]
	s_mul_i32 s17, s39, s17
	s_add_u32 s25, s33, s25
	s_addc_u32 s21, 0, s21
	s_mul_hi_u32 s40, s39, s7
	s_add_u32 s17, s25, s17
	s_mul_i32 s7, s39, s7
	s_addc_u32 s17, s21, s41
	s_addc_u32 s21, s40, 0
	s_add_u32 s7, s17, s7
	s_addc_u32 s17, 0, s21
	s_mul_hi_u32 s21, s34, s7
	s_mul_i32 s33, s34, s17
	s_mul_i32 s40, s34, s7
	s_add_i32 s21, s21, s33
	v_sub_co_u32 v1, s33, s38, s40
	s_mul_i32 s25, s35, s7
	s_delay_alu instid0(SALU_CYCLE_1) | instskip(NEXT) | instid1(VALU_DEP_1)
	s_add_i32 s21, s21, s25
	v_sub_co_u32 v2, s38, v1, s34
	s_sub_i32 s25, s39, s21
	s_cmp_lg_u32 s33, 0
	s_subb_u32 s25, s25, s35
	s_cmp_lg_u32 s38, 0
	v_readfirstlane_b32 s38, v2
	s_subb_u32 s25, s25, 0
	s_delay_alu instid0(SALU_CYCLE_1) | instskip(SKIP_1) | instid1(VALU_DEP_1)
	s_cmp_ge_u32 s25, s35
	s_cselect_b32 s40, -1, 0
	s_cmp_ge_u32 s38, s34
	s_cselect_b32 s38, -1, 0
	s_cmp_eq_u32 s25, s35
	s_cselect_b32 s25, s38, s40
	s_add_u32 s38, s7, 1
	s_addc_u32 s40, s17, 0
	s_add_u32 s41, s7, 2
	s_addc_u32 s42, s17, 0
	s_cmp_lg_u32 s25, 0
	s_cselect_b32 s25, s41, s38
	s_cselect_b32 s38, s42, s40
	s_cmp_lg_u32 s33, 0
	v_readfirstlane_b32 s33, v1
	s_subb_u32 s21, s39, s21
	s_delay_alu instid0(SALU_CYCLE_1) | instskip(SKIP_1) | instid1(VALU_DEP_1)
	s_cmp_ge_u32 s21, s35
	s_cselect_b32 s39, -1, 0
	s_cmp_ge_u32 s33, s34
	s_cselect_b32 s33, -1, 0
	s_cmp_eq_u32 s21, s35
	s_cselect_b32 s21, s33, s39
	s_delay_alu instid0(SALU_CYCLE_1) | instskip(SKIP_3) | instid1(SALU_CYCLE_1)
	s_cmp_lg_u32 s21, 0
	s_cselect_b32 s35, s38, s17
	s_cselect_b32 s34, s25, s7
	s_xor_b64 s[22:23], s[36:37], s[22:23]
	s_xor_b64 s[34:35], s[34:35], s[22:23]
	s_delay_alu instid0(SALU_CYCLE_1)
	s_sub_u32 s22, s34, s22
	s_subb_u32 s23, s35, s23
	s_and_not1_b32 vcc_lo, exec_lo, s24
	s_cbranch_vccnz .LBB75_7
.LBB75_6:
	v_cvt_f32_u32_e32 v1, s30
	s_sub_i32 s17, 0, s30
	s_mov_b32 s23, 0
	s_delay_alu instid0(VALU_DEP_1) | instskip(SKIP_2) | instid1(VALU_DEP_1)
	v_rcp_iflag_f32_e32 v1, v1
	s_waitcnt_depctr 0xfff
	v_mul_f32_e32 v1, 0x4f7ffffe, v1
	v_cvt_u32_f32_e32 v1, v1
	s_delay_alu instid0(VALU_DEP_1) | instskip(NEXT) | instid1(VALU_DEP_1)
	v_readfirstlane_b32 s7, v1
	s_mul_i32 s17, s17, s7
	s_delay_alu instid0(SALU_CYCLE_1) | instskip(NEXT) | instid1(SALU_CYCLE_1)
	s_mul_hi_u32 s17, s7, s17
	s_add_i32 s7, s7, s17
	s_delay_alu instid0(SALU_CYCLE_1) | instskip(NEXT) | instid1(SALU_CYCLE_1)
	s_mul_hi_u32 s7, s26, s7
	s_mul_i32 s17, s7, s30
	s_add_i32 s21, s7, 1
	s_sub_i32 s17, s26, s17
	s_delay_alu instid0(SALU_CYCLE_1)
	s_sub_i32 s22, s17, s30
	s_cmp_ge_u32 s17, s30
	s_cselect_b32 s7, s21, s7
	s_cselect_b32 s17, s22, s17
	s_add_i32 s21, s7, 1
	s_cmp_ge_u32 s17, s30
	s_cselect_b32 s22, s21, s7
.LBB75_7:
	s_load_b64 s[24:25], s[0:1], 0x78
	s_mul_i32 s7, s22, s31
	s_mul_hi_u32 s17, s22, s30
	s_mul_i32 s21, s22, s30
	s_add_i32 s7, s17, s7
	s_mul_i32 s17, s23, s30
	s_mul_i32 s30, s23, s4
	s_add_i32 s17, s7, s17
	s_sub_u32 s7, s26, s21
	s_subb_u32 s17, s27, s17
	s_mul_hi_u32 s27, s22, s4
	s_mul_i32 s31, s22, s4
	s_mul_hi_u32 s26, s7, s5
	s_mul_i32 s17, s17, s5
	s_mul_i32 s23, s7, s5
	s_mov_b32 s33, exec_lo
	v_cmpx_gt_i32_e64 s20, v0
	s_cbranch_execz .LBB75_46
; %bb.8:
	s_load_b32 s35, s[0:1], 0x8c
	s_ashr_i32 s38, s4, 31
	s_ashr_i32 s39, s5, 31
	s_lshl_b64 s[36:37], s[28:29], 1
	s_mul_i32 s28, s22, s38
	s_mul_i32 s29, s7, s39
	s_add_i32 s28, s27, s28
	s_add_i32 s29, s26, s29
	s_ashr_i32 s21, s20, 31
	s_ashr_i32 s40, s6, 31
	s_add_i32 s38, s28, s30
	s_add_i32 s29, s29, s17
	s_waitcnt lgkmcnt(0)
	s_load_b32 s34, s[24:25], 0x0
	s_mul_i32 s9, s9, s16
	v_lshlrev_b32_e32 v1, 3, v0
	v_mov_b32_e32 v17, v0
	s_and_b32 s28, s35, 0xffff
	s_add_u32 s2, s2, s36
	s_addc_u32 s35, s3, s37
	s_lshl_b32 s3, s28, 1
	s_lshl_b64 s[36:37], s[20:21], 1
	v_add_co_u32 v11, s2, s2, v3
	s_add_u32 s21, s31, s23
	v_add_co_ci_u32_e64 v12, null, s35, 0, s2
	s_addc_u32 s2, s38, s29
	s_add_u32 s29, s18, s6
	s_addc_u32 s35, s19, s40
	s_add_u32 s21, s29, s21
	s_mul_hi_u32 s29, s8, s16
	s_addc_u32 s2, s35, s2
	s_add_i32 s9, s29, s9
	s_mul_i32 s8, s8, s16
	v_add_co_u32 v2, s21, s21, v3
	s_lshl_b64 s[8:9], s[8:9], 2
	v_add_co_ci_u32_e64 v3, null, s2, 0, s21
	s_add_u32 s2, s12, s8
	v_add_co_u32 v13, vcc_lo, v11, s36
	s_addc_u32 s8, s13, s9
	v_add_co_u32 v1, s2, s2, v1
	v_add_co_ci_u32_e32 v14, vcc_lo, s37, v12, vcc_lo
	v_add_co_ci_u32_e64 v4, null, s8, 0, s2
	v_add_co_u32 v15, vcc_lo, v2, 1
	v_add_co_ci_u32_e32 v16, vcc_lo, 0, v3, vcc_lo
	v_add_co_u32 v1, vcc_lo, v1, 4
	s_delay_alu instid0(VALU_DEP_4)
	v_add_co_ci_u32_e32 v2, vcc_lo, 0, v4, vcc_lo
	v_mov_b32_e32 v4, 0
	s_mov_b32 s12, 0
	s_lshl_b32 s13, s28, 3
	s_mov_b64 s[8:9], 0
	s_branch .LBB75_10
.LBB75_9:                               ;   in Loop: Header=BB75_10 Depth=1
	s_or_b32 exec_lo, exec_lo, s2
	v_add_nc_u32_e32 v17, s28, v17
	v_add_co_u32 v1, s2, v1, s13
	s_delay_alu instid0(VALU_DEP_1) | instskip(NEXT) | instid1(VALU_DEP_3)
	v_add_co_ci_u32_e64 v2, s2, 0, v2, s2
	v_cmp_le_i32_e32 vcc_lo, s20, v17
	s_add_u32 s8, s8, s3
	s_addc_u32 s9, s9, 0
	global_store_b8 v[5:6], v9, off
	s_or_b32 s12, vcc_lo, s12
	s_delay_alu instid0(SALU_CYCLE_1)
	s_and_not1_b32 exec_lo, exec_lo, s12
	s_cbranch_execz .LBB75_46
.LBB75_10:                              ; =>This Inner Loop Header: Depth=1
	v_add_co_u32 v5, vcc_lo, v13, s8
	v_add_co_ci_u32_e32 v6, vcc_lo, s9, v14, vcc_lo
	s_mov_b32 s2, exec_lo
	global_load_u16 v3, v[5:6], off
	v_add_co_u32 v5, vcc_lo, v11, s8
	v_add_co_ci_u32_e32 v6, vcc_lo, s9, v12, vcc_lo
	global_load_b64 v[19:20], v[1:2], off offset:-4
	global_load_u16 v6, v[5:6], off
	s_waitcnt vmcnt(2)
	v_cvt_f32_f16_e32 v5, v3
	s_waitcnt vmcnt(1)
	s_delay_alu instid0(VALU_DEP_1) | instskip(SKIP_1) | instid1(VALU_DEP_1)
	v_mul_f32_e32 v5, v20, v5
	s_waitcnt vmcnt(0)
	v_fma_mix_f32 v5, v19, v6, -v5 op_sel_hi:[0,1,0]
	v_cvt_f32_f16_e32 v6, v6
	s_delay_alu instid0(VALU_DEP_2) | instskip(NEXT) | instid1(VALU_DEP_2)
	v_cvt_f32_f16_e32 v7, v5
	v_mul_f32_e32 v6, v20, v6
	s_waitcnt lgkmcnt(0)
	s_delay_alu instid0(VALU_DEP_2) | instskip(NEXT) | instid1(VALU_DEP_2)
	v_div_scale_f32 v8, null, s34, s34, v7
	v_fma_mix_f32 v6, v19, v3, v6 op_sel_hi:[0,1,0]
	s_delay_alu instid0(VALU_DEP_2) | instskip(SKIP_2) | instid1(VALU_DEP_1)
	v_rcp_f32_e32 v9, v8
	global_store_b64 v[1:2], v[5:6], off offset:-4
	v_fma_f32 v10, -v8, v9, 1.0
	v_fmac_f32_e32 v9, v10, v9
	v_div_scale_f32 v10, vcc_lo, v7, s34, v7
	s_delay_alu instid0(VALU_DEP_1) | instskip(NEXT) | instid1(VALU_DEP_1)
	v_mul_f32_e32 v18, v10, v9
	v_fma_f32 v21, -v8, v18, v10
	s_delay_alu instid0(VALU_DEP_1) | instskip(NEXT) | instid1(VALU_DEP_1)
	v_dual_fmac_f32 v18, v21, v9 :: v_dual_mov_b32 v21, v4
	v_fma_f32 v8, -v8, v18, v10
	s_delay_alu instid0(VALU_DEP_1) | instskip(NEXT) | instid1(VALU_DEP_1)
	v_div_fmas_f32 v8, v8, v9, v18
	v_div_fixup_f32 v7, v8, s34, v7
	s_delay_alu instid0(VALU_DEP_1) | instskip(NEXT) | instid1(VALU_DEP_1)
	v_cvt_f16_f32_e32 v7, v7
	v_cvt_f32_f16_e32 v7, v7
	s_delay_alu instid0(VALU_DEP_1) | instskip(SKIP_2) | instid1(VALU_DEP_2)
	v_and_b32_e32 v3, 0x7fffff, v7
	v_lshrrev_b32_e32 v9, 24, v7
	v_and_b32_e32 v20, 0x7f800000, v7
	v_and_b32_e32 v18, 0x80, v9
	s_delay_alu instid0(VALU_DEP_1) | instskip(NEXT) | instid1(VALU_DEP_3)
	v_or_b32_e32 v8, 0x7e, v18
	v_cmpx_ne_u64_e32 0x7f800000, v[20:21]
	s_xor_b32 s21, exec_lo, s2
	s_cbranch_execz .LBB75_26
; %bb.11:                               ;   in Loop: Header=BB75_10 Depth=1
	v_dual_mov_b32 v10, v4 :: v_dual_and_b32 v9, 0x7fffffff, v7
	s_mov_b32 s2, exec_lo
	s_delay_alu instid0(VALU_DEP_1)
	v_cmpx_gt_u64_e32 0x43e00001, v[9:10]
	s_xor_b32 s29, exec_lo, s2
	s_cbranch_execz .LBB75_25
; %bb.12:                               ;   in Loop: Header=BB75_10 Depth=1
	v_mov_b32_e32 v8, 0
	s_mov_b32 s35, exec_lo
	v_cmpx_ne_u32_e32 0, v7
	s_cbranch_execz .LBB75_24
; %bb.13:                               ;   in Loop: Header=BB75_10 Depth=1
	v_bfe_u32 v5, v7, 23, 8
	v_or_b32_e32 v9, 0x800000, v3
	s_delay_alu instid0(VALU_DEP_2) | instskip(SKIP_1) | instid1(VALU_DEP_2)
	v_sub_nc_u32_e32 v7, 0x79, v5
	v_cmp_gt_u32_e32 vcc_lo, 0x7a, v5
	v_cndmask_b32_e32 v7, 0, v7, vcc_lo
	v_cmp_eq_u32_e32 vcc_lo, 0, v5
	s_delay_alu instid0(VALU_DEP_2) | instskip(SKIP_1) | instid1(VALU_DEP_2)
	v_cndmask_b32_e64 v19, v7, 0x78, vcc_lo
	v_cndmask_b32_e32 v3, v9, v3, vcc_lo
	v_add_nc_u32_e32 v7, 20, v19
	v_add_nc_u32_e32 v9, 19, v19
	s_delay_alu instid0(VALU_DEP_2) | instskip(NEXT) | instid1(VALU_DEP_2)
	v_lshlrev_b64 v[7:8], v7, -1
	v_lshlrev_b64 v[9:10], v9, 1
	s_delay_alu instid0(VALU_DEP_2) | instskip(NEXT) | instid1(VALU_DEP_3)
	v_not_b32_e32 v8, v8
	v_not_b32_e32 v7, v7
	s_delay_alu instid0(VALU_DEP_2) | instskip(NEXT) | instid1(VALU_DEP_2)
	v_and_b32_e32 v21, 0, v8
	v_and_b32_e32 v20, v3, v7
	v_lshrrev_b64 v[7:8], v19, v[3:4]
	s_delay_alu instid0(VALU_DEP_2) | instskip(NEXT) | instid1(VALU_DEP_2)
	v_cmp_eq_u64_e64 s2, v[20:21], v[9:10]
	v_dual_mov_b32 v10, v8 :: v_dual_mov_b32 v9, v7
	s_delay_alu instid0(VALU_DEP_2)
	s_and_saveexec_b32 s36, s2
; %bb.14:                               ;   in Loop: Header=BB75_10 Depth=1
	v_bfe_u32 v3, v7, 20, 1
	s_delay_alu instid0(VALU_DEP_1) | instskip(NEXT) | instid1(VALU_DEP_1)
	v_add_co_u32 v3, s2, v7, v3
	v_add_co_u32 v9, s2, v3, -1
; %bb.15:                               ;   in Loop: Header=BB75_10 Depth=1
	s_or_b32 exec_lo, exec_lo, s36
	v_add_nc_u32_e32 v3, 0xffffff81, v5
	v_lshrrev_b32_e32 v5, 23, v7
	s_mov_b32 s2, exec_lo
	s_delay_alu instid0(VALU_DEP_2) | instskip(NEXT) | instid1(VALU_DEP_1)
	v_cndmask_b32_e64 v3, v3, 0xffffff82, vcc_lo
	v_add3_u32 v5, v19, v3, v5
	v_and_b32_e32 v3, 0xfffff, v9
	s_delay_alu instid0(VALU_DEP_2) | instskip(NEXT) | instid1(VALU_DEP_2)
	v_add_nc_u32_e32 v9, 6, v5
	v_add_co_u32 v7, vcc_lo, v3, v7
	v_add_co_ci_u32_e32 v8, vcc_lo, 0, v8, vcc_lo
                                        ; implicit-def: $vgpr3
	s_delay_alu instid0(VALU_DEP_3)
	v_cmpx_ne_u32_e32 0, v9
	s_xor_b32 s2, exec_lo, s2
; %bb.16:                               ;   in Loop: Header=BB75_10 Depth=1
	s_delay_alu instid0(VALU_DEP_2) | instskip(SKIP_2) | instid1(VALU_DEP_2)
	v_cmp_lt_u64_e32 vcc_lo, 0xffffff, v[7:8]
	v_add_nc_u32_e32 v3, 7, v5
	v_cndmask_b32_e64 v5, 0, 1, vcc_lo
	v_cndmask_b32_e32 v3, v9, v3, vcc_lo
	s_delay_alu instid0(VALU_DEP_2)
	v_lshrrev_b64 v[7:8], v5, v[7:8]
; %bb.17:                               ;   in Loop: Header=BB75_10 Depth=1
	s_and_not1_saveexec_b32 s2, s2
; %bb.18:                               ;   in Loop: Header=BB75_10 Depth=1
	s_delay_alu instid0(VALU_DEP_1)
	v_bfe_u32 v3, v7, 23, 1
; %bb.19:                               ;   in Loop: Header=BB75_10 Depth=1
	s_or_b32 exec_lo, exec_lo, s2
	s_delay_alu instid0(VALU_DEP_2) | instskip(NEXT) | instid1(VALU_DEP_2)
	v_lshrrev_b64 v[7:8], 20, v[7:8]
	v_cmp_gt_i32_e32 vcc_lo, 16, v3
	v_cmp_ne_u32_e64 s2, 0, v3
	s_delay_alu instid0(VALU_DEP_3) | instskip(NEXT) | instid1(VALU_DEP_1)
	v_dual_cndmask_b32 v8, 0, v8 :: v_dual_cndmask_b32 v7, 7, v7
	v_cmp_ne_u64_e32 vcc_lo, 0, v[7:8]
                                        ; implicit-def: $vgpr8
	s_delay_alu instid0(VALU_DEP_3) | instskip(NEXT) | instid1(SALU_CYCLE_1)
	s_or_b32 s2, s2, vcc_lo
	s_and_saveexec_b32 s36, s2
	s_delay_alu instid0(SALU_CYCLE_1)
	s_xor_b32 s2, exec_lo, s36
; %bb.20:                               ;   in Loop: Header=BB75_10 Depth=1
	v_min_i32_e32 v3, 15, v3
	s_delay_alu instid0(VALU_DEP_1) | instskip(NEXT) | instid1(VALU_DEP_1)
	v_lshl_or_b32 v3, v3, 3, v18
                                        ; implicit-def: $vgpr18
	v_and_or_b32 v8, v7, 7, v3
; %bb.21:                               ;   in Loop: Header=BB75_10 Depth=1
	s_and_not1_saveexec_b32 s2, s2
; %bb.22:                               ;   in Loop: Header=BB75_10 Depth=1
	v_mov_b32_e32 v8, v18
; %bb.23:                               ;   in Loop: Header=BB75_10 Depth=1
	s_or_b32 exec_lo, exec_lo, s2
.LBB75_24:                              ;   in Loop: Header=BB75_10 Depth=1
	s_delay_alu instid0(SALU_CYCLE_1)
	s_or_b32 exec_lo, exec_lo, s35
.LBB75_25:                              ;   in Loop: Header=BB75_10 Depth=1
	s_and_not1_saveexec_b32 s2, s29
	s_delay_alu instid0(SALU_CYCLE_1)
	s_or_b32 exec_lo, exec_lo, s2
                                        ; implicit-def: $vgpr9
.LBB75_26:                              ;   in Loop: Header=BB75_10 Depth=1
	s_and_not1_saveexec_b32 s2, s21
; %bb.27:                               ;   in Loop: Header=BB75_10 Depth=1
	v_cmp_eq_u64_e32 vcc_lo, 0, v[3:4]
	v_or_b32_e32 v5, 0x7f, v9
	s_delay_alu instid0(VALU_DEP_1)
	v_cndmask_b32_e32 v8, v5, v8, vcc_lo
; %bb.28:                               ;   in Loop: Header=BB75_10 Depth=1
	s_or_b32 exec_lo, exec_lo, s2
	v_cvt_f32_f16_e32 v3, v6
	s_mov_b32 s2, exec_lo
	v_mov_b32_e32 v20, v4
	s_delay_alu instid0(VALU_DEP_2) | instskip(SKIP_1) | instid1(VALU_DEP_2)
	v_div_scale_f32 v5, null, s34, s34, v3
	v_div_scale_f32 v9, vcc_lo, v3, s34, v3
	v_rcp_f32_e32 v6, v5
	s_waitcnt_depctr 0xfff
	v_fma_f32 v7, -v5, v6, 1.0
	s_delay_alu instid0(VALU_DEP_1) | instskip(NEXT) | instid1(VALU_DEP_1)
	v_fmac_f32_e32 v6, v7, v6
	v_mul_f32_e32 v7, v9, v6
	s_delay_alu instid0(VALU_DEP_1) | instskip(NEXT) | instid1(VALU_DEP_1)
	v_fma_f32 v10, -v5, v7, v9
	v_fmac_f32_e32 v7, v10, v6
	s_delay_alu instid0(VALU_DEP_1) | instskip(NEXT) | instid1(VALU_DEP_1)
	v_fma_f32 v5, -v5, v7, v9
	v_div_fmas_f32 v5, v5, v6, v7
	s_delay_alu instid0(VALU_DEP_1) | instskip(SKIP_2) | instid1(VALU_DEP_3)
	v_div_fixup_f32 v3, v5, s34, v3
	v_add_co_u32 v5, vcc_lo, v15, s8
	v_add_co_ci_u32_e32 v6, vcc_lo, s9, v16, vcc_lo
	v_cvt_f16_f32_e32 v3, v3
	global_store_b8 v[5:6], v8, off offset:-1
	v_cvt_f32_f16_e32 v7, v3
	s_delay_alu instid0(VALU_DEP_1) | instskip(SKIP_2) | instid1(VALU_DEP_3)
	v_lshrrev_b32_e32 v10, 24, v7
	v_and_b32_e32 v19, 0x7f800000, v7
	v_and_b32_e32 v3, 0x7fffff, v7
	;; [unrolled: 1-line block ×3, first 2 shown]
	s_delay_alu instid0(VALU_DEP_1) | instskip(NEXT) | instid1(VALU_DEP_4)
	v_or_b32_e32 v9, 0x7e, v18
	v_cmpx_ne_u64_e32 0x7f800000, v[19:20]
	s_xor_b32 s21, exec_lo, s2
	s_cbranch_execz .LBB75_44
; %bb.29:                               ;   in Loop: Header=BB75_10 Depth=1
	v_dual_mov_b32 v20, v4 :: v_dual_and_b32 v19, 0x7fffffff, v7
	s_mov_b32 s2, exec_lo
	s_delay_alu instid0(VALU_DEP_1)
	v_cmpx_gt_u64_e32 0x43e00001, v[19:20]
	s_xor_b32 s29, exec_lo, s2
	s_cbranch_execz .LBB75_43
; %bb.30:                               ;   in Loop: Header=BB75_10 Depth=1
	v_mov_b32_e32 v9, 0
	s_mov_b32 s35, exec_lo
	v_cmpx_ne_u32_e32 0, v7
	s_cbranch_execz .LBB75_42
; %bb.31:                               ;   in Loop: Header=BB75_10 Depth=1
	v_bfe_u32 v19, v7, 23, 8
	v_or_b32_e32 v9, 0x800000, v3
	s_delay_alu instid0(VALU_DEP_2) | instskip(SKIP_1) | instid1(VALU_DEP_2)
	v_sub_nc_u32_e32 v7, 0x79, v19
	v_cmp_gt_u32_e32 vcc_lo, 0x7a, v19
	v_cndmask_b32_e32 v7, 0, v7, vcc_lo
	v_cmp_eq_u32_e32 vcc_lo, 0, v19
	s_delay_alu instid0(VALU_DEP_2) | instskip(SKIP_1) | instid1(VALU_DEP_2)
	v_cndmask_b32_e64 v20, v7, 0x78, vcc_lo
	v_cndmask_b32_e32 v3, v9, v3, vcc_lo
	v_add_nc_u32_e32 v7, 20, v20
	v_add_nc_u32_e32 v9, 19, v20
	s_delay_alu instid0(VALU_DEP_2) | instskip(NEXT) | instid1(VALU_DEP_2)
	v_lshlrev_b64 v[7:8], v7, -1
	v_lshlrev_b64 v[9:10], v9, 1
	s_delay_alu instid0(VALU_DEP_2) | instskip(NEXT) | instid1(VALU_DEP_3)
	v_not_b32_e32 v8, v8
	v_not_b32_e32 v7, v7
	s_delay_alu instid0(VALU_DEP_2) | instskip(NEXT) | instid1(VALU_DEP_2)
	v_and_b32_e32 v22, 0, v8
	v_and_b32_e32 v21, v3, v7
	v_lshrrev_b64 v[7:8], v20, v[3:4]
	s_delay_alu instid0(VALU_DEP_2) | instskip(NEXT) | instid1(VALU_DEP_2)
	v_cmp_eq_u64_e64 s2, v[21:22], v[9:10]
	v_dual_mov_b32 v10, v8 :: v_dual_mov_b32 v9, v7
	s_delay_alu instid0(VALU_DEP_2)
	s_and_saveexec_b32 s36, s2
; %bb.32:                               ;   in Loop: Header=BB75_10 Depth=1
	v_bfe_u32 v3, v7, 20, 1
	s_delay_alu instid0(VALU_DEP_1) | instskip(NEXT) | instid1(VALU_DEP_1)
	v_add_co_u32 v3, s2, v7, v3
	v_add_co_u32 v9, s2, v3, -1
; %bb.33:                               ;   in Loop: Header=BB75_10 Depth=1
	s_or_b32 exec_lo, exec_lo, s36
	v_add_nc_u32_e32 v3, 0xffffff81, v19
	v_lshrrev_b32_e32 v10, 23, v7
	s_mov_b32 s2, exec_lo
	s_delay_alu instid0(VALU_DEP_2) | instskip(NEXT) | instid1(VALU_DEP_1)
	v_cndmask_b32_e64 v3, v3, 0xffffff82, vcc_lo
	v_add3_u32 v10, v20, v3, v10
	v_and_b32_e32 v3, 0xfffff, v9
	s_delay_alu instid0(VALU_DEP_2) | instskip(NEXT) | instid1(VALU_DEP_2)
	v_add_nc_u32_e32 v9, 6, v10
	v_add_co_u32 v7, vcc_lo, v3, v7
	v_add_co_ci_u32_e32 v8, vcc_lo, 0, v8, vcc_lo
                                        ; implicit-def: $vgpr3
	s_delay_alu instid0(VALU_DEP_3)
	v_cmpx_ne_u32_e32 0, v9
	s_xor_b32 s2, exec_lo, s2
; %bb.34:                               ;   in Loop: Header=BB75_10 Depth=1
	s_delay_alu instid0(VALU_DEP_2) | instskip(SKIP_1) | instid1(VALU_DEP_1)
	v_cmp_lt_u64_e32 vcc_lo, 0xffffff, v[7:8]
	v_add_nc_u32_e32 v3, 7, v10
	v_cndmask_b32_e32 v3, v9, v3, vcc_lo
	v_cndmask_b32_e64 v9, 0, 1, vcc_lo
	s_delay_alu instid0(VALU_DEP_1)
	v_lshrrev_b64 v[7:8], v9, v[7:8]
; %bb.35:                               ;   in Loop: Header=BB75_10 Depth=1
	s_and_not1_saveexec_b32 s2, s2
; %bb.36:                               ;   in Loop: Header=BB75_10 Depth=1
	s_delay_alu instid0(VALU_DEP_1)
	v_bfe_u32 v3, v7, 23, 1
; %bb.37:                               ;   in Loop: Header=BB75_10 Depth=1
	s_or_b32 exec_lo, exec_lo, s2
	s_delay_alu instid0(VALU_DEP_2) | instskip(NEXT) | instid1(VALU_DEP_2)
	v_lshrrev_b64 v[7:8], 20, v[7:8]
	v_cmp_gt_i32_e32 vcc_lo, 16, v3
	v_cmp_ne_u32_e64 s2, 0, v3
                                        ; implicit-def: $vgpr9
	s_delay_alu instid0(VALU_DEP_3) | instskip(NEXT) | instid1(VALU_DEP_1)
	v_dual_cndmask_b32 v8, 0, v8 :: v_dual_cndmask_b32 v7, 7, v7
	v_cmp_ne_u64_e32 vcc_lo, 0, v[7:8]
	s_delay_alu instid0(VALU_DEP_3) | instskip(NEXT) | instid1(SALU_CYCLE_1)
	s_or_b32 s2, s2, vcc_lo
	s_and_saveexec_b32 s36, s2
	s_delay_alu instid0(SALU_CYCLE_1)
	s_xor_b32 s2, exec_lo, s36
; %bb.38:                               ;   in Loop: Header=BB75_10 Depth=1
	v_min_i32_e32 v3, 15, v3
	s_delay_alu instid0(VALU_DEP_1) | instskip(NEXT) | instid1(VALU_DEP_1)
	v_lshl_or_b32 v3, v3, 3, v18
                                        ; implicit-def: $vgpr18
	v_and_or_b32 v9, v7, 7, v3
; %bb.39:                               ;   in Loop: Header=BB75_10 Depth=1
	s_and_not1_saveexec_b32 s2, s2
; %bb.40:                               ;   in Loop: Header=BB75_10 Depth=1
	v_mov_b32_e32 v9, v18
; %bb.41:                               ;   in Loop: Header=BB75_10 Depth=1
	s_or_b32 exec_lo, exec_lo, s2
.LBB75_42:                              ;   in Loop: Header=BB75_10 Depth=1
	s_delay_alu instid0(SALU_CYCLE_1)
	s_or_b32 exec_lo, exec_lo, s35
.LBB75_43:                              ;   in Loop: Header=BB75_10 Depth=1
	s_and_not1_saveexec_b32 s2, s29
	s_delay_alu instid0(SALU_CYCLE_1)
	s_or_b32 exec_lo, exec_lo, s2
                                        ; implicit-def: $vgpr10
.LBB75_44:                              ;   in Loop: Header=BB75_10 Depth=1
	s_and_not1_saveexec_b32 s2, s21
	s_cbranch_execz .LBB75_9
; %bb.45:                               ;   in Loop: Header=BB75_10 Depth=1
	v_cmp_eq_u64_e32 vcc_lo, 0, v[3:4]
	v_or_b32_e32 v7, 0x7f, v10
	s_delay_alu instid0(VALU_DEP_1)
	v_cndmask_b32_e32 v9, v7, v9, vcc_lo
	s_branch .LBB75_9
.LBB75_46:
	s_or_b32 exec_lo, exec_lo, s33
	s_delay_alu instid0(SALU_CYCLE_1)
	s_mov_b32 s2, exec_lo
	v_cmpx_gt_i32_e64 s6, v0
	s_cbranch_execz .LBB75_67
; %bb.47:
	s_mul_i32 s3, s16, s11
	s_mul_hi_u32 s8, s16, s10
	s_mul_i32 s2, s16, s10
	s_add_i32 s3, s8, s3
	s_load_b32 s0, s[0:1], 0x8c
	s_lshl_b64 s[2:3], s[2:3], 2
	v_mov_b32_e32 v3, 0
	s_add_u32 s1, s14, s2
	s_addc_u32 s2, s15, s3
	s_waitcnt lgkmcnt(0)
	s_load_b32 s3, s[24:25], 0x0
	s_ashr_i32 s4, s4, 31
	s_delay_alu instid0(SALU_CYCLE_1) | instskip(NEXT) | instid1(SALU_CYCLE_1)
	s_mul_i32 s4, s22, s4
	s_add_i32 s4, s27, s4
	s_delay_alu instid0(SALU_CYCLE_1) | instskip(SKIP_3) | instid1(SALU_CYCLE_1)
	s_add_i32 s4, s4, s30
	s_add_u32 s8, s18, s31
	s_addc_u32 s9, s19, s4
	s_ashr_i32 s4, s5, 31
	s_mul_i32 s7, s7, s4
	s_delay_alu instid0(SALU_CYCLE_1) | instskip(NEXT) | instid1(SALU_CYCLE_1)
	s_add_i32 s4, s26, s7
	s_add_i32 s5, s4, s17
	s_add_u32 s4, s8, s23
	s_addc_u32 s5, s9, s5
	s_and_b32 s7, s0, 0xffff
	s_mov_b32 s8, 0
	s_branch .LBB75_49
.LBB75_48:                              ;   in Loop: Header=BB75_49 Depth=1
	s_or_b32 exec_lo, exec_lo, s0
	v_add_co_u32 v6, vcc_lo, s4, v0
	v_add_nc_u32_e32 v0, s7, v0
	v_add_co_ci_u32_e32 v7, vcc_lo, s5, v1, vcc_lo
	s_delay_alu instid0(VALU_DEP_2) | instskip(SKIP_2) | instid1(SALU_CYCLE_1)
	v_cmp_le_i32_e32 vcc_lo, s6, v0
	global_store_b8 v[6:7], v5, off
	s_or_b32 s8, vcc_lo, s8
	s_and_not1_b32 exec_lo, exec_lo, s8
	s_cbranch_execz .LBB75_67
.LBB75_49:                              ; =>This Inner Loop Header: Depth=1
	v_ashrrev_i32_e32 v1, 31, v0
	s_mov_b32 s0, exec_lo
	v_mov_b32_e32 v10, v3
	s_delay_alu instid0(VALU_DEP_2) | instskip(NEXT) | instid1(VALU_DEP_1)
	v_lshlrev_b64 v[4:5], 2, v[0:1]
	v_add_co_u32 v4, vcc_lo, s1, v4
	s_delay_alu instid0(VALU_DEP_2) | instskip(SKIP_4) | instid1(VALU_DEP_1)
	v_add_co_ci_u32_e32 v5, vcc_lo, s2, v5, vcc_lo
	global_load_u16 v2, v[4:5], off
	s_waitcnt vmcnt(0)
	v_cvt_f32_f16_e32 v2, v2
	s_waitcnt lgkmcnt(0)
	v_div_scale_f32 v4, null, s3, s3, v2
	s_delay_alu instid0(VALU_DEP_1) | instskip(SKIP_2) | instid1(VALU_DEP_1)
	v_rcp_f32_e32 v5, v4
	s_waitcnt_depctr 0xfff
	v_fma_f32 v6, -v4, v5, 1.0
	v_fmac_f32_e32 v5, v6, v5
	v_div_scale_f32 v6, vcc_lo, v2, s3, v2
	s_delay_alu instid0(VALU_DEP_1) | instskip(NEXT) | instid1(VALU_DEP_1)
	v_mul_f32_e32 v7, v6, v5
	v_fma_f32 v8, -v4, v7, v6
	s_delay_alu instid0(VALU_DEP_1) | instskip(NEXT) | instid1(VALU_DEP_1)
	v_fmac_f32_e32 v7, v8, v5
	v_fma_f32 v4, -v4, v7, v6
	s_delay_alu instid0(VALU_DEP_1) | instskip(NEXT) | instid1(VALU_DEP_1)
	v_div_fmas_f32 v4, v4, v5, v7
	v_div_fixup_f32 v2, v4, s3, v2
	s_delay_alu instid0(VALU_DEP_1) | instskip(NEXT) | instid1(VALU_DEP_1)
	v_cvt_f16_f32_e32 v2, v2
	v_cvt_f32_f16_e32 v4, v2
	s_delay_alu instid0(VALU_DEP_1) | instskip(SKIP_2) | instid1(VALU_DEP_2)
	v_and_b32_e32 v2, 0x7fffff, v4
	v_lshrrev_b32_e32 v6, 24, v4
	v_and_b32_e32 v9, 0x7f800000, v4
	v_and_b32_e32 v8, 0x80, v6
	s_delay_alu instid0(VALU_DEP_1) | instskip(NEXT) | instid1(VALU_DEP_3)
	v_or_b32_e32 v5, 0x7e, v8
	v_cmpx_ne_u64_e32 0x7f800000, v[9:10]
	s_xor_b32 s9, exec_lo, s0
	s_cbranch_execz .LBB75_65
; %bb.50:                               ;   in Loop: Header=BB75_49 Depth=1
	v_dual_mov_b32 v7, v3 :: v_dual_and_b32 v6, 0x7fffffff, v4
	s_mov_b32 s0, exec_lo
	s_delay_alu instid0(VALU_DEP_1)
	v_cmpx_gt_u64_e32 0x43e00001, v[6:7]
	s_xor_b32 s10, exec_lo, s0
	s_cbranch_execz .LBB75_64
; %bb.51:                               ;   in Loop: Header=BB75_49 Depth=1
	v_mov_b32_e32 v5, 0
	s_mov_b32 s11, exec_lo
	v_cmpx_ne_u32_e32 0, v4
	s_cbranch_execz .LBB75_63
; %bb.52:                               ;   in Loop: Header=BB75_49 Depth=1
	v_bfe_u32 v9, v4, 23, 8
	v_or_b32_e32 v6, 0x800000, v2
	s_delay_alu instid0(VALU_DEP_2) | instskip(SKIP_1) | instid1(VALU_DEP_2)
	v_sub_nc_u32_e32 v4, 0x79, v9
	v_cmp_gt_u32_e32 vcc_lo, 0x7a, v9
	v_cndmask_b32_e32 v4, 0, v4, vcc_lo
	v_cmp_eq_u32_e32 vcc_lo, 0, v9
	s_delay_alu instid0(VALU_DEP_2) | instskip(SKIP_1) | instid1(VALU_DEP_2)
	v_cndmask_b32_e64 v10, v4, 0x78, vcc_lo
	v_cndmask_b32_e32 v2, v6, v2, vcc_lo
	v_add_nc_u32_e32 v4, 20, v10
	v_add_nc_u32_e32 v6, 19, v10
	s_delay_alu instid0(VALU_DEP_2) | instskip(NEXT) | instid1(VALU_DEP_2)
	v_lshlrev_b64 v[4:5], v4, -1
	v_lshlrev_b64 v[6:7], v6, 1
	s_delay_alu instid0(VALU_DEP_2) | instskip(NEXT) | instid1(VALU_DEP_3)
	v_not_b32_e32 v5, v5
	v_not_b32_e32 v4, v4
	s_delay_alu instid0(VALU_DEP_2) | instskip(NEXT) | instid1(VALU_DEP_2)
	v_and_b32_e32 v12, 0, v5
	v_and_b32_e32 v11, v2, v4
	v_lshrrev_b64 v[4:5], v10, v[2:3]
	s_delay_alu instid0(VALU_DEP_2) | instskip(NEXT) | instid1(VALU_DEP_2)
	v_cmp_eq_u64_e64 s0, v[11:12], v[6:7]
	v_dual_mov_b32 v7, v5 :: v_dual_mov_b32 v6, v4
	s_delay_alu instid0(VALU_DEP_2)
	s_and_saveexec_b32 s12, s0
; %bb.53:                               ;   in Loop: Header=BB75_49 Depth=1
	v_bfe_u32 v2, v4, 20, 1
	s_delay_alu instid0(VALU_DEP_1) | instskip(NEXT) | instid1(VALU_DEP_1)
	v_add_co_u32 v2, s0, v4, v2
	v_add_co_u32 v6, s0, v2, -1
; %bb.54:                               ;   in Loop: Header=BB75_49 Depth=1
	s_or_b32 exec_lo, exec_lo, s12
	v_add_nc_u32_e32 v2, 0xffffff81, v9
	v_lshrrev_b32_e32 v7, 23, v4
	s_mov_b32 s0, exec_lo
	s_delay_alu instid0(VALU_DEP_2) | instskip(NEXT) | instid1(VALU_DEP_1)
	v_cndmask_b32_e64 v2, v2, 0xffffff82, vcc_lo
	v_add3_u32 v7, v10, v2, v7
	v_and_b32_e32 v2, 0xfffff, v6
	s_delay_alu instid0(VALU_DEP_2) | instskip(NEXT) | instid1(VALU_DEP_2)
	v_add_nc_u32_e32 v6, 6, v7
	v_add_co_u32 v4, vcc_lo, v2, v4
	v_add_co_ci_u32_e32 v5, vcc_lo, 0, v5, vcc_lo
                                        ; implicit-def: $vgpr2
	s_delay_alu instid0(VALU_DEP_3)
	v_cmpx_ne_u32_e32 0, v6
	s_xor_b32 s0, exec_lo, s0
; %bb.55:                               ;   in Loop: Header=BB75_49 Depth=1
	s_delay_alu instid0(VALU_DEP_2) | instskip(SKIP_1) | instid1(VALU_DEP_1)
	v_cmp_lt_u64_e32 vcc_lo, 0xffffff, v[4:5]
	v_add_nc_u32_e32 v2, 7, v7
	v_cndmask_b32_e32 v2, v6, v2, vcc_lo
	v_cndmask_b32_e64 v6, 0, 1, vcc_lo
	s_delay_alu instid0(VALU_DEP_1)
	v_lshrrev_b64 v[4:5], v6, v[4:5]
; %bb.56:                               ;   in Loop: Header=BB75_49 Depth=1
	s_and_not1_saveexec_b32 s0, s0
; %bb.57:                               ;   in Loop: Header=BB75_49 Depth=1
	s_delay_alu instid0(VALU_DEP_1)
	v_bfe_u32 v2, v4, 23, 1
; %bb.58:                               ;   in Loop: Header=BB75_49 Depth=1
	s_or_b32 exec_lo, exec_lo, s0
	s_delay_alu instid0(VALU_DEP_2) | instskip(NEXT) | instid1(VALU_DEP_2)
	v_lshrrev_b64 v[4:5], 20, v[4:5]
	v_cmp_gt_i32_e32 vcc_lo, 16, v2
	v_cmp_ne_u32_e64 s0, 0, v2
	s_delay_alu instid0(VALU_DEP_3) | instskip(NEXT) | instid1(VALU_DEP_1)
	v_dual_cndmask_b32 v5, 0, v5 :: v_dual_cndmask_b32 v4, 7, v4
	v_cmp_ne_u64_e32 vcc_lo, 0, v[4:5]
                                        ; implicit-def: $vgpr5
	s_delay_alu instid0(VALU_DEP_3) | instskip(NEXT) | instid1(SALU_CYCLE_1)
	s_or_b32 s0, s0, vcc_lo
	s_and_saveexec_b32 s12, s0
	s_delay_alu instid0(SALU_CYCLE_1)
	s_xor_b32 s0, exec_lo, s12
; %bb.59:                               ;   in Loop: Header=BB75_49 Depth=1
	v_min_i32_e32 v2, 15, v2
	s_delay_alu instid0(VALU_DEP_1) | instskip(NEXT) | instid1(VALU_DEP_1)
	v_lshl_or_b32 v2, v2, 3, v8
                                        ; implicit-def: $vgpr8
	v_and_or_b32 v5, v4, 7, v2
; %bb.60:                               ;   in Loop: Header=BB75_49 Depth=1
	s_and_not1_saveexec_b32 s0, s0
; %bb.61:                               ;   in Loop: Header=BB75_49 Depth=1
	v_mov_b32_e32 v5, v8
; %bb.62:                               ;   in Loop: Header=BB75_49 Depth=1
	s_or_b32 exec_lo, exec_lo, s0
.LBB75_63:                              ;   in Loop: Header=BB75_49 Depth=1
	s_delay_alu instid0(SALU_CYCLE_1)
	s_or_b32 exec_lo, exec_lo, s11
.LBB75_64:                              ;   in Loop: Header=BB75_49 Depth=1
	s_and_not1_saveexec_b32 s0, s10
	s_delay_alu instid0(SALU_CYCLE_1)
	s_or_b32 exec_lo, exec_lo, s0
                                        ; implicit-def: $vgpr6
.LBB75_65:                              ;   in Loop: Header=BB75_49 Depth=1
	s_and_not1_saveexec_b32 s0, s9
	s_cbranch_execz .LBB75_48
; %bb.66:                               ;   in Loop: Header=BB75_49 Depth=1
	v_cmp_eq_u64_e32 vcc_lo, 0, v[2:3]
	v_or_b32_e32 v4, 0x7f, v6
	s_delay_alu instid0(VALU_DEP_1)
	v_cndmask_b32_e32 v5, v4, v5, vcc_lo
	s_branch .LBB75_48
.LBB75_67:
	s_nop 0
	s_sendmsg sendmsg(MSG_DEALLOC_VGPRS)
	s_endpgm
.LBB75_68:
                                        ; implicit-def: $sgpr22_sgpr23
	s_branch .LBB75_6
	.section	.rodata,"a",@progbits
	.p2align	6, 0x0
	.amdhsa_kernel _ZN4vllm38concat_and_cache_mla_rope_fused_kernelIfN3c104HalfELb0EthLNS_18Fp8KVCacheDataTypeE1EEEvPKlPT_S7_PKS6_PKT0_illlliPT3_S5_iiiiPKf
		.amdhsa_group_segment_fixed_size 0
		.amdhsa_private_segment_fixed_size 0
		.amdhsa_kernarg_size 384
		.amdhsa_user_sgpr_count 15
		.amdhsa_user_sgpr_dispatch_ptr 0
		.amdhsa_user_sgpr_queue_ptr 0
		.amdhsa_user_sgpr_kernarg_segment_ptr 1
		.amdhsa_user_sgpr_dispatch_id 0
		.amdhsa_user_sgpr_private_segment_size 0
		.amdhsa_wavefront_size32 1
		.amdhsa_uses_dynamic_stack 0
		.amdhsa_enable_private_segment 0
		.amdhsa_system_sgpr_workgroup_id_x 1
		.amdhsa_system_sgpr_workgroup_id_y 0
		.amdhsa_system_sgpr_workgroup_id_z 0
		.amdhsa_system_sgpr_workgroup_info 0
		.amdhsa_system_vgpr_workitem_id 0
		.amdhsa_next_free_vgpr 23
		.amdhsa_next_free_sgpr 43
		.amdhsa_reserve_vcc 1
		.amdhsa_float_round_mode_32 0
		.amdhsa_float_round_mode_16_64 0
		.amdhsa_float_denorm_mode_32 3
		.amdhsa_float_denorm_mode_16_64 3
		.amdhsa_dx10_clamp 1
		.amdhsa_ieee_mode 1
		.amdhsa_fp16_overflow 0
		.amdhsa_workgroup_processor_mode 1
		.amdhsa_memory_ordered 1
		.amdhsa_forward_progress 0
		.amdhsa_shared_vgpr_count 0
		.amdhsa_exception_fp_ieee_invalid_op 0
		.amdhsa_exception_fp_denorm_src 0
		.amdhsa_exception_fp_ieee_div_zero 0
		.amdhsa_exception_fp_ieee_overflow 0
		.amdhsa_exception_fp_ieee_underflow 0
		.amdhsa_exception_fp_ieee_inexact 0
		.amdhsa_exception_int_div_zero 0
	.end_amdhsa_kernel
	.section	.text._ZN4vllm38concat_and_cache_mla_rope_fused_kernelIfN3c104HalfELb0EthLNS_18Fp8KVCacheDataTypeE1EEEvPKlPT_S7_PKS6_PKT0_illlliPT3_S5_iiiiPKf,"axG",@progbits,_ZN4vllm38concat_and_cache_mla_rope_fused_kernelIfN3c104HalfELb0EthLNS_18Fp8KVCacheDataTypeE1EEEvPKlPT_S7_PKS6_PKT0_illlliPT3_S5_iiiiPKf,comdat
.Lfunc_end75:
	.size	_ZN4vllm38concat_and_cache_mla_rope_fused_kernelIfN3c104HalfELb0EthLNS_18Fp8KVCacheDataTypeE1EEEvPKlPT_S7_PKS6_PKT0_illlliPT3_S5_iiiiPKf, .Lfunc_end75-_ZN4vllm38concat_and_cache_mla_rope_fused_kernelIfN3c104HalfELb0EthLNS_18Fp8KVCacheDataTypeE1EEEvPKlPT_S7_PKS6_PKT0_illlliPT3_S5_iiiiPKf
                                        ; -- End function
	.section	.AMDGPU.csdata,"",@progbits
; Kernel info:
; codeLenInByte = 4424
; NumSgprs: 45
; NumVgprs: 23
; ScratchSize: 0
; MemoryBound: 0
; FloatMode: 240
; IeeeMode: 1
; LDSByteSize: 0 bytes/workgroup (compile time only)
; SGPRBlocks: 5
; VGPRBlocks: 2
; NumSGPRsForWavesPerEU: 45
; NumVGPRsForWavesPerEU: 23
; Occupancy: 16
; WaveLimiterHint : 1
; COMPUTE_PGM_RSRC2:SCRATCH_EN: 0
; COMPUTE_PGM_RSRC2:USER_SGPR: 15
; COMPUTE_PGM_RSRC2:TRAP_HANDLER: 0
; COMPUTE_PGM_RSRC2:TGID_X_EN: 1
; COMPUTE_PGM_RSRC2:TGID_Y_EN: 0
; COMPUTE_PGM_RSRC2:TGID_Z_EN: 0
; COMPUTE_PGM_RSRC2:TIDIG_COMP_CNT: 0
	.section	.text._ZN4vllm38concat_and_cache_mla_rope_fused_kernelIfN3c108BFloat16ELb1EthLNS_18Fp8KVCacheDataTypeE1EEEvPKlPT_S7_PKS6_PKT0_illlliPT3_S5_iiiiPKf,"axG",@progbits,_ZN4vllm38concat_and_cache_mla_rope_fused_kernelIfN3c108BFloat16ELb1EthLNS_18Fp8KVCacheDataTypeE1EEEvPKlPT_S7_PKS6_PKT0_illlliPT3_S5_iiiiPKf,comdat
	.protected	_ZN4vllm38concat_and_cache_mla_rope_fused_kernelIfN3c108BFloat16ELb1EthLNS_18Fp8KVCacheDataTypeE1EEEvPKlPT_S7_PKS6_PKT0_illlliPT3_S5_iiiiPKf ; -- Begin function _ZN4vllm38concat_and_cache_mla_rope_fused_kernelIfN3c108BFloat16ELb1EthLNS_18Fp8KVCacheDataTypeE1EEEvPKlPT_S7_PKS6_PKT0_illlliPT3_S5_iiiiPKf
	.globl	_ZN4vllm38concat_and_cache_mla_rope_fused_kernelIfN3c108BFloat16ELb1EthLNS_18Fp8KVCacheDataTypeE1EEEvPKlPT_S7_PKS6_PKT0_illlliPT3_S5_iiiiPKf
	.p2align	8
	.type	_ZN4vllm38concat_and_cache_mla_rope_fused_kernelIfN3c108BFloat16ELb1EthLNS_18Fp8KVCacheDataTypeE1EEEvPKlPT_S7_PKS6_PKT0_illlliPT3_S5_iiiiPKf,@function
_ZN4vllm38concat_and_cache_mla_rope_fused_kernelIfN3c108BFloat16ELb1EthLNS_18Fp8KVCacheDataTypeE1EEEvPKlPT_S7_PKS6_PKT0_illlliPT3_S5_iiiiPKf: ; @_ZN4vllm38concat_and_cache_mla_rope_fused_kernelIfN3c108BFloat16ELb1EthLNS_18Fp8KVCacheDataTypeE1EEEvPKlPT_S7_PKS6_PKT0_illlliPT3_S5_iiiiPKf
; %bb.0:
	s_load_b64 s[4:5], s[0:1], 0x60
	s_mov_b32 s16, s15
	s_mov_b32 s17, 0
	s_delay_alu instid0(SALU_CYCLE_1)
	s_lshl_b64 s[2:3], s[16:17], 3
	s_waitcnt lgkmcnt(0)
	s_add_u32 s4, s4, s2
	s_addc_u32 s5, s5, s3
	s_load_b64 s[28:29], s[4:5], 0x0
	s_waitcnt lgkmcnt(0)
	v_cmp_lt_i64_e64 s4, s[28:29], 0
	s_delay_alu instid0(VALU_DEP_1)
	s_and_b32 vcc_lo, exec_lo, s4
	s_cbranch_vccnz .LBB76_67
; %bb.1:
	s_clause 0x3
	s_load_b32 s21, s[0:1], 0x28
	s_load_b64 s[4:5], s[0:1], 0x0
	s_load_b128 s[12:15], s[0:1], 0x10
	s_load_b32 s17, s[0:1], 0x50
	s_waitcnt lgkmcnt(0)
	s_ashr_i32 s24, s21, 31
	s_add_u32 s2, s4, s2
	s_addc_u32 s3, s5, s3
	s_lshr_b32 s20, s21, 31
	s_load_b64 s[22:23], s[2:3], 0x0
	s_clause 0x2
	s_load_b64 s[2:3], s[0:1], 0x20
	s_load_b64 s[18:19], s[0:1], 0x58
	s_load_b256 s[4:11], s[0:1], 0x30
	s_add_i32 s20, s21, s20
	s_delay_alu instid0(SALU_CYCLE_1) | instskip(NEXT) | instid1(SALU_CYCLE_1)
	s_ashr_i32 s20, s20, 1
	s_mul_i32 s17, s20, s17
	s_waitcnt lgkmcnt(0)
	s_mul_i32 s24, s22, s24
	s_mul_hi_u32 s25, s22, s21
	s_mul_i32 s23, s23, s21
	s_add_i32 s24, s25, s24
	s_mul_i32 s26, s22, s21
	s_add_i32 s27, s24, s23
	s_mov_b32 s24, exec_lo
	v_cmpx_gt_i32_e64 s17, v0
	s_cbranch_execz .LBB76_4
; %bb.2:
	s_clause 0x1
	s_load_b64 s[22:23], s[0:1], 0x8
	s_load_b32 s36, s[0:1], 0x8c
	s_lshl_b64 s[30:31], s[26:27], 1
	s_mul_i32 s5, s16, s5
	s_mul_hi_u32 s21, s16, s4
	s_add_u32 s25, s2, s30
	s_mul_i32 s4, s16, s4
	s_addc_u32 s30, s3, s31
	s_add_i32 s5, s21, s5
	s_ashr_i32 s21, s20, 31
	s_lshl_b64 s[4:5], s[4:5], 2
	s_mov_b32 s35, 0
	s_waitcnt lgkmcnt(0)
	s_add_u32 s31, s22, s4
	s_addc_u32 s33, s23, s5
	s_abs_i32 s34, s20
	s_and_b32 s36, s36, 0xffff
	v_cvt_f32_u32_e32 v1, s34
	s_sub_i32 s4, 0, s34
	s_sub_i32 s37, 0, s20
	s_lshl_b64 s[22:23], s[20:21], 2
	s_delay_alu instid0(VALU_DEP_1) | instskip(SKIP_2) | instid1(VALU_DEP_1)
	v_rcp_iflag_f32_e32 v1, v1
	s_waitcnt_depctr 0xfff
	v_mul_f32_e32 v1, 0x4f7ffffe, v1
	v_cvt_u32_f32_e32 v1, v1
	s_delay_alu instid0(VALU_DEP_1) | instskip(SKIP_1) | instid1(VALU_DEP_1)
	v_mul_lo_u32 v2, s4, v1
	s_lshl_b64 s[4:5], s[20:21], 1
	v_mul_hi_u32 v2, v1, v2
	s_delay_alu instid0(VALU_DEP_1)
	v_dual_mov_b32 v1, v0 :: v_dual_add_nc_u32 v2, v1, v2
.LBB76_3:                               ; =>This Inner Loop Header: Depth=1
	s_delay_alu instid0(VALU_DEP_1) | instskip(SKIP_1) | instid1(VALU_DEP_2)
	v_sub_nc_u32_e32 v3, 0, v1
	v_ashrrev_i32_e32 v4, 31, v1
	v_max_i32_e32 v3, v1, v3
	s_delay_alu instid0(VALU_DEP_2) | instskip(NEXT) | instid1(VALU_DEP_2)
	v_xor_b32_e32 v4, s21, v4
	v_mul_hi_u32 v5, v3, v2
	s_delay_alu instid0(VALU_DEP_1) | instskip(SKIP_1) | instid1(VALU_DEP_2)
	v_mul_lo_u32 v6, v5, s34
	v_add_nc_u32_e32 v7, 1, v5
	v_sub_nc_u32_e32 v3, v3, v6
	s_delay_alu instid0(VALU_DEP_1) | instskip(SKIP_1) | instid1(VALU_DEP_4)
	v_subrev_nc_u32_e32 v6, s34, v3
	v_cmp_le_u32_e32 vcc_lo, s34, v3
	v_cndmask_b32_e32 v5, v5, v7, vcc_lo
	s_delay_alu instid0(VALU_DEP_1) | instskip(NEXT) | instid1(VALU_DEP_1)
	v_dual_cndmask_b32 v3, v3, v6 :: v_dual_add_nc_u32 v6, 1, v5
	v_cmp_le_u32_e32 vcc_lo, s34, v3
	s_delay_alu instid0(VALU_DEP_2) | instskip(NEXT) | instid1(VALU_DEP_1)
	v_cndmask_b32_e32 v3, v5, v6, vcc_lo
	v_xor_b32_e32 v3, v3, v4
	s_delay_alu instid0(VALU_DEP_1) | instskip(NEXT) | instid1(VALU_DEP_1)
	v_sub_nc_u32_e32 v7, v3, v4
	v_ashrrev_i32_e32 v8, 31, v7
	v_mad_u64_u32 v[3:4], null, s37, v7, v[1:2]
	v_mul_lo_u32 v9, v7, s7
	v_mad_u64_u32 v[5:6], null, v7, s6, 0
	s_delay_alu instid0(VALU_DEP_4) | instskip(SKIP_2) | instid1(VALU_DEP_3)
	v_mul_lo_u32 v7, v8, s6
	v_add_nc_u32_e32 v1, s36, v1
	v_ashrrev_i32_e32 v4, 31, v3
	v_add3_u32 v6, v6, v9, v7
	s_delay_alu instid0(VALU_DEP_2) | instskip(SKIP_1) | instid1(VALU_DEP_3)
	v_lshlrev_b64 v[7:8], 1, v[3:4]
	v_lshlrev_b64 v[3:4], 2, v[3:4]
	;; [unrolled: 1-line block ×3, first 2 shown]
	s_delay_alu instid0(VALU_DEP_3) | instskip(NEXT) | instid1(VALU_DEP_4)
	v_add_co_u32 v7, vcc_lo, s25, v7
	v_add_co_ci_u32_e32 v8, vcc_lo, s30, v8, vcc_lo
	s_delay_alu instid0(VALU_DEP_3) | instskip(NEXT) | instid1(VALU_DEP_4)
	v_add_co_u32 v10, vcc_lo, s31, v5
	v_add_co_ci_u32_e32 v11, vcc_lo, s33, v6, vcc_lo
	s_delay_alu instid0(VALU_DEP_4) | instskip(NEXT) | instid1(VALU_DEP_4)
	v_add_co_u32 v5, vcc_lo, v7, s4
	v_add_co_ci_u32_e32 v6, vcc_lo, s5, v8, vcc_lo
	s_delay_alu instid0(VALU_DEP_4) | instskip(NEXT) | instid1(VALU_DEP_4)
	v_add_co_u32 v3, vcc_lo, v10, v3
	v_add_co_ci_u32_e32 v4, vcc_lo, v11, v4, vcc_lo
	s_clause 0x1
	global_load_u16 v9, v[7:8], off
	global_load_u16 v7, v[5:6], off
	v_add_co_u32 v5, vcc_lo, v3, s22
	v_add_co_ci_u32_e32 v6, vcc_lo, s23, v4, vcc_lo
	s_clause 0x1
	global_load_b32 v8, v[3:4], off
	global_load_b32 v10, v[5:6], off
	v_cmp_le_i32_e32 vcc_lo, s17, v1
	s_or_b32 s35, vcc_lo, s35
	s_waitcnt vmcnt(3)
	v_lshlrev_b32_e32 v9, 16, v9
	s_waitcnt vmcnt(2)
	v_lshlrev_b32_e32 v7, 16, v7
	s_waitcnt vmcnt(1)
	s_delay_alu instid0(VALU_DEP_1) | instskip(SKIP_2) | instid1(VALU_DEP_2)
	v_mul_f32_e32 v11, v8, v7
	s_waitcnt vmcnt(0)
	v_mul_f32_e32 v7, v10, v7
	v_fmac_f32_e32 v11, v10, v9
	s_delay_alu instid0(VALU_DEP_2)
	v_fma_f32 v7, v8, v9, -v7
	s_clause 0x1
	global_store_b32 v[3:4], v7, off
	global_store_b32 v[5:6], v11, off
	s_and_not1_b32 exec_lo, exec_lo, s35
	s_cbranch_execnz .LBB76_3
.LBB76_4:
	s_or_b32 exec_lo, exec_lo, s24
	s_load_b128 s[4:7], s[0:1], 0x68
	s_waitcnt lgkmcnt(0)
	s_ashr_i32 s31, s7, 31
	s_mov_b32 s30, s7
	s_delay_alu instid0(SALU_CYCLE_1) | instskip(SKIP_1) | instid1(SALU_CYCLE_1)
	s_or_b64 s[24:25], s[28:29], s[30:31]
	s_mov_b32 s24, 0
	s_cmp_lg_u64 s[24:25], 0
	s_cbranch_scc0 .LBB76_68
; %bb.5:
	s_add_u32 s34, s30, s31
	s_mov_b32 s22, s31
	s_mov_b32 s23, s31
	s_addc_u32 s35, s31, s31
	s_delay_alu instid0(SALU_CYCLE_1) | instskip(NEXT) | instid1(SALU_CYCLE_1)
	s_xor_b64 s[34:35], s[34:35], s[22:23]
	v_cvt_f32_u32_e32 v1, s34
	v_cvt_f32_u32_e32 v2, s35
	s_sub_u32 s21, 0, s34
	s_subb_u32 s25, 0, s35
	s_delay_alu instid0(VALU_DEP_1) | instskip(NEXT) | instid1(VALU_DEP_1)
	v_fmamk_f32 v1, v2, 0x4f800000, v1
	v_rcp_f32_e32 v1, v1
	s_waitcnt_depctr 0xfff
	v_mul_f32_e32 v1, 0x5f7ffffc, v1
	s_delay_alu instid0(VALU_DEP_1) | instskip(NEXT) | instid1(VALU_DEP_1)
	v_mul_f32_e32 v2, 0x2f800000, v1
	v_trunc_f32_e32 v2, v2
	s_delay_alu instid0(VALU_DEP_1) | instskip(SKIP_1) | instid1(VALU_DEP_2)
	v_fmamk_f32 v1, v2, 0xcf800000, v1
	v_cvt_u32_f32_e32 v2, v2
	v_cvt_u32_f32_e32 v1, v1
	s_delay_alu instid0(VALU_DEP_2) | instskip(NEXT) | instid1(VALU_DEP_2)
	v_readfirstlane_b32 s7, v2
	v_readfirstlane_b32 s17, v1
	s_delay_alu instid0(VALU_DEP_2) | instskip(NEXT) | instid1(VALU_DEP_1)
	s_mul_i32 s33, s21, s7
	s_mul_hi_u32 s37, s21, s17
	s_mul_i32 s36, s25, s17
	s_add_i32 s33, s37, s33
	s_mul_i32 s38, s21, s17
	s_add_i32 s33, s33, s36
	s_mul_hi_u32 s37, s17, s38
	s_mul_hi_u32 s39, s7, s38
	s_mul_i32 s36, s7, s38
	s_mul_hi_u32 s38, s17, s33
	s_mul_i32 s17, s17, s33
	s_mul_hi_u32 s40, s7, s33
	s_add_u32 s17, s37, s17
	s_addc_u32 s37, 0, s38
	s_add_u32 s17, s17, s36
	s_mul_i32 s33, s7, s33
	s_addc_u32 s17, s37, s39
	s_addc_u32 s36, s40, 0
	s_add_u32 s17, s17, s33
	s_addc_u32 s33, 0, s36
	v_add_co_u32 v1, s17, v1, s17
	s_delay_alu instid0(VALU_DEP_1) | instskip(SKIP_1) | instid1(VALU_DEP_1)
	s_cmp_lg_u32 s17, 0
	s_addc_u32 s7, s7, s33
	v_readfirstlane_b32 s17, v1
	s_mul_i32 s33, s21, s7
	s_delay_alu instid0(VALU_DEP_1)
	s_mul_hi_u32 s36, s21, s17
	s_mul_i32 s25, s25, s17
	s_add_i32 s33, s36, s33
	s_mul_i32 s21, s21, s17
	s_add_i32 s33, s33, s25
	s_mul_hi_u32 s36, s7, s21
	s_mul_i32 s37, s7, s21
	s_mul_hi_u32 s21, s17, s21
	s_mul_hi_u32 s38, s17, s33
	s_mul_i32 s17, s17, s33
	s_mul_hi_u32 s25, s7, s33
	s_add_u32 s17, s21, s17
	s_addc_u32 s21, 0, s38
	s_add_u32 s17, s17, s37
	s_mul_i32 s33, s7, s33
	s_addc_u32 s17, s21, s36
	s_addc_u32 s21, s25, 0
	s_add_u32 s17, s17, s33
	s_addc_u32 s21, 0, s21
	v_add_co_u32 v1, s17, v1, s17
	s_delay_alu instid0(VALU_DEP_1) | instskip(SKIP_2) | instid1(VALU_DEP_1)
	s_cmp_lg_u32 s17, 0
	s_addc_u32 s7, s7, s21
	s_ashr_i32 s36, s29, 31
	v_readfirstlane_b32 s17, v1
	s_add_u32 s38, s28, s36
	s_mov_b32 s37, s36
	s_addc_u32 s39, s29, s36
	s_delay_alu instid0(SALU_CYCLE_1) | instskip(NEXT) | instid1(SALU_CYCLE_1)
	s_xor_b64 s[38:39], s[38:39], s[36:37]
	s_mul_i32 s25, s38, s7
	s_mul_hi_u32 s33, s38, s17
	s_mul_hi_u32 s21, s38, s7
	;; [unrolled: 1-line block ×3, first 2 shown]
	s_mul_i32 s17, s39, s17
	s_add_u32 s25, s33, s25
	s_addc_u32 s21, 0, s21
	s_mul_hi_u32 s40, s39, s7
	s_add_u32 s17, s25, s17
	s_mul_i32 s7, s39, s7
	s_addc_u32 s17, s21, s41
	s_addc_u32 s21, s40, 0
	s_add_u32 s7, s17, s7
	s_addc_u32 s17, 0, s21
	s_mul_hi_u32 s21, s34, s7
	s_mul_i32 s33, s34, s17
	s_mul_i32 s40, s34, s7
	s_add_i32 s21, s21, s33
	v_sub_co_u32 v1, s33, s38, s40
	s_mul_i32 s25, s35, s7
	s_delay_alu instid0(SALU_CYCLE_1) | instskip(NEXT) | instid1(VALU_DEP_1)
	s_add_i32 s21, s21, s25
	v_sub_co_u32 v2, s38, v1, s34
	s_sub_i32 s25, s39, s21
	s_cmp_lg_u32 s33, 0
	s_subb_u32 s25, s25, s35
	s_cmp_lg_u32 s38, 0
	v_readfirstlane_b32 s38, v2
	s_subb_u32 s25, s25, 0
	s_delay_alu instid0(SALU_CYCLE_1) | instskip(SKIP_1) | instid1(VALU_DEP_1)
	s_cmp_ge_u32 s25, s35
	s_cselect_b32 s40, -1, 0
	s_cmp_ge_u32 s38, s34
	s_cselect_b32 s38, -1, 0
	s_cmp_eq_u32 s25, s35
	s_cselect_b32 s25, s38, s40
	s_add_u32 s38, s7, 1
	s_addc_u32 s40, s17, 0
	s_add_u32 s41, s7, 2
	s_addc_u32 s42, s17, 0
	s_cmp_lg_u32 s25, 0
	s_cselect_b32 s25, s41, s38
	s_cselect_b32 s38, s42, s40
	s_cmp_lg_u32 s33, 0
	v_readfirstlane_b32 s33, v1
	s_subb_u32 s21, s39, s21
	s_delay_alu instid0(SALU_CYCLE_1) | instskip(SKIP_1) | instid1(VALU_DEP_1)
	s_cmp_ge_u32 s21, s35
	s_cselect_b32 s39, -1, 0
	s_cmp_ge_u32 s33, s34
	s_cselect_b32 s33, -1, 0
	s_cmp_eq_u32 s21, s35
	s_cselect_b32 s21, s33, s39
	s_delay_alu instid0(SALU_CYCLE_1) | instskip(SKIP_3) | instid1(SALU_CYCLE_1)
	s_cmp_lg_u32 s21, 0
	s_cselect_b32 s35, s38, s17
	s_cselect_b32 s34, s25, s7
	s_xor_b64 s[22:23], s[36:37], s[22:23]
	s_xor_b64 s[34:35], s[34:35], s[22:23]
	s_delay_alu instid0(SALU_CYCLE_1)
	s_sub_u32 s22, s34, s22
	s_subb_u32 s23, s35, s23
	s_and_not1_b32 vcc_lo, exec_lo, s24
	s_cbranch_vccnz .LBB76_7
.LBB76_6:
	v_cvt_f32_u32_e32 v1, s30
	s_sub_i32 s17, 0, s30
	s_mov_b32 s23, 0
	s_delay_alu instid0(VALU_DEP_1) | instskip(SKIP_2) | instid1(VALU_DEP_1)
	v_rcp_iflag_f32_e32 v1, v1
	s_waitcnt_depctr 0xfff
	v_mul_f32_e32 v1, 0x4f7ffffe, v1
	v_cvt_u32_f32_e32 v1, v1
	s_delay_alu instid0(VALU_DEP_1) | instskip(NEXT) | instid1(VALU_DEP_1)
	v_readfirstlane_b32 s7, v1
	s_mul_i32 s17, s17, s7
	s_delay_alu instid0(SALU_CYCLE_1) | instskip(NEXT) | instid1(SALU_CYCLE_1)
	s_mul_hi_u32 s17, s7, s17
	s_add_i32 s7, s7, s17
	s_delay_alu instid0(SALU_CYCLE_1) | instskip(NEXT) | instid1(SALU_CYCLE_1)
	s_mul_hi_u32 s7, s28, s7
	s_mul_i32 s17, s7, s30
	s_add_i32 s21, s7, 1
	s_sub_i32 s17, s28, s17
	s_delay_alu instid0(SALU_CYCLE_1)
	s_sub_i32 s22, s17, s30
	s_cmp_ge_u32 s17, s30
	s_cselect_b32 s7, s21, s7
	s_cselect_b32 s17, s22, s17
	s_add_i32 s21, s7, 1
	s_cmp_ge_u32 s17, s30
	s_cselect_b32 s22, s21, s7
.LBB76_7:
	s_load_b64 s[24:25], s[0:1], 0x78
	s_mul_i32 s7, s22, s31
	s_mul_hi_u32 s17, s22, s30
	s_mul_i32 s21, s22, s30
	s_add_i32 s7, s17, s7
	s_mul_i32 s17, s23, s30
	s_mul_i32 s30, s23, s4
	s_add_i32 s17, s7, s17
	s_sub_u32 s7, s28, s21
	s_subb_u32 s17, s29, s17
	s_mul_hi_u32 s29, s22, s4
	s_mul_i32 s31, s22, s4
	s_mul_hi_u32 s28, s7, s5
	s_mul_i32 s17, s17, s5
	s_mul_i32 s23, s7, s5
	s_mov_b32 s33, exec_lo
	v_cmpx_gt_i32_e64 s20, v0
	s_cbranch_execz .LBB76_46
; %bb.8:
	s_load_b32 s38, s[0:1], 0x8c
	s_ashr_i32 s36, s4, 31
	s_ashr_i32 s37, s5, 31
	s_mul_i32 s36, s22, s36
	s_mul_i32 s37, s7, s37
	s_add_i32 s36, s29, s36
	s_add_i32 s37, s28, s37
	s_ashr_i32 s21, s20, 31
	s_add_i32 s36, s36, s30
	s_add_i32 s37, s37, s17
	s_add_u32 s42, s31, s23
	s_addc_u32 s43, s36, s37
	s_add_u32 s36, s42, s18
	s_addc_u32 s37, s43, s19
	s_ashr_i32 s44, s6, 31
	s_add_u32 s36, s36, s6
	v_dual_mov_b32 v2, 0 :: v_dual_lshlrev_b32 v1, 1, v0
	s_addc_u32 s37, s37, s44
	s_lshl_b64 s[26:27], s[26:27], 1
	s_waitcnt lgkmcnt(0)
	s_and_b32 s38, s38, 0xffff
	s_add_u32 s2, s2, s26
	s_load_b32 s34, s[24:25], 0x0
	s_addc_u32 s3, s3, s27
	v_add_co_u32 v3, s2, s2, v1
	s_delay_alu instid0(VALU_DEP_1)
	v_add_co_ci_u32_e64 v4, null, s3, 0, s2
	s_mul_i32 s2, s9, s16
	s_mul_hi_u32 s9, s8, s16
	s_mul_i32 s26, s8, s16
	s_add_i32 s27, s9, s2
	v_lshlrev_b32_e32 v1, 2, v0
	s_lshl_b64 s[40:41], s[26:27], 2
	s_lshl_b32 s3, s38, 1
	s_lshl_b64 s[8:9], s[20:21], 1
	s_lshl_b64 s[26:27], s[20:21], 2
	s_add_u32 s2, s12, s40
	s_addc_u32 s12, s13, s41
	v_add_co_u32 v5, s2, s2, v1
	s_lshl_b32 s39, s38, 2
	v_add_co_ci_u32_e64 v6, null, s12, 0, s2
	s_add_u32 s2, s42, s20
	s_addc_u32 s12, s43, s21
	s_add_u32 s2, s2, s6
	s_addc_u32 s12, s12, s44
	s_add_u32 s21, s18, s2
	s_mov_b32 s35, 0
	s_addc_u32 s40, s19, s12
	s_mov_b64 s[12:13], 0
	s_branch .LBB76_10
.LBB76_9:                               ;   in Loop: Header=BB76_10 Depth=1
	s_or_b32 exec_lo, exec_lo, s2
	s_add_u32 s12, s12, s38
	v_add_co_u32 v3, vcc_lo, v3, s3
	v_add_nc_u32_e32 v1, s12, v0
	v_add_co_ci_u32_e32 v4, vcc_lo, 0, v4, vcc_lo
	v_add_co_u32 v5, vcc_lo, v5, s39
	v_add_co_ci_u32_e32 v6, vcc_lo, 0, v6, vcc_lo
	v_add_co_u32 v7, s2, s21, v0
	s_addc_u32 s13, s13, 0
	v_cmp_le_i32_e32 vcc_lo, s20, v1
	s_add_u32 s21, s21, s38
	v_add_co_ci_u32_e64 v8, null, s40, 0, s2
	s_addc_u32 s40, s40, 0
	s_add_u32 s36, s36, s38
	s_addc_u32 s37, s37, 0
	s_or_b32 s35, vcc_lo, s35
	global_store_b8 v[7:8], v9, off
	s_and_not1_b32 exec_lo, exec_lo, s35
	s_cbranch_execz .LBB76_46
.LBB76_10:                              ; =>This Inner Loop Header: Depth=1
	v_add_co_u32 v7, vcc_lo, v3, s8
	v_add_co_ci_u32_e32 v8, vcc_lo, s9, v4, vcc_lo
	v_add_co_u32 v13, vcc_lo, v5, s26
	v_add_co_ci_u32_e32 v14, vcc_lo, s27, v6, vcc_lo
	s_clause 0x1
	global_load_u16 v1, v[7:8], off
	global_load_u16 v7, v[3:4], off
	s_clause 0x1
	global_load_b32 v8, v[13:14], off
	global_load_b32 v10, v[5:6], off
	s_mov_b32 s2, exec_lo
	s_waitcnt vmcnt(3)
	v_lshlrev_b32_e32 v1, 16, v1
	s_waitcnt vmcnt(2)
	v_lshlrev_b32_e32 v17, 16, v7
	s_waitcnt vmcnt(1)
	s_delay_alu instid0(VALU_DEP_2) | instskip(SKIP_1) | instid1(VALU_DEP_1)
	v_mul_f32_e32 v7, v8, v1
	s_waitcnt vmcnt(0)
	v_fma_f32 v18, v10, v17, -v7
	s_delay_alu instid0(VALU_DEP_1) | instskip(SKIP_1) | instid1(VALU_DEP_1)
	v_cvt_f32_f16_e32 v7, v18
	s_waitcnt lgkmcnt(0)
	v_div_scale_f32 v9, null, s34, s34, v7
	s_delay_alu instid0(VALU_DEP_1) | instskip(SKIP_2) | instid1(VALU_DEP_1)
	v_rcp_f32_e32 v11, v9
	s_waitcnt_depctr 0xfff
	v_fma_f32 v12, -v9, v11, 1.0
	v_fmac_f32_e32 v11, v12, v11
	v_div_scale_f32 v12, vcc_lo, v7, s34, v7
	s_delay_alu instid0(VALU_DEP_1) | instskip(NEXT) | instid1(VALU_DEP_1)
	v_mul_f32_e32 v15, v12, v11
	v_fma_f32 v16, -v9, v15, v12
	s_delay_alu instid0(VALU_DEP_1) | instskip(NEXT) | instid1(VALU_DEP_1)
	v_dual_fmac_f32 v15, v16, v11 :: v_dual_mov_b32 v16, v2
	v_fma_f32 v9, -v9, v15, v12
	s_delay_alu instid0(VALU_DEP_1) | instskip(SKIP_1) | instid1(VALU_DEP_2)
	v_div_fmas_f32 v9, v9, v11, v15
	v_mul_f32_e32 v11, v10, v1
	v_div_fixup_f32 v7, v9, s34, v7
	s_delay_alu instid0(VALU_DEP_2) | instskip(SKIP_4) | instid1(VALU_DEP_1)
	v_fmac_f32_e32 v11, v8, v17
	s_clause 0x1
	global_store_b32 v[5:6], v18, off
	global_store_b32 v[13:14], v11, off
	v_cvt_f16_f32_e32 v7, v7
	v_cvt_f32_f16_e32 v7, v7
	s_delay_alu instid0(VALU_DEP_1) | instskip(SKIP_2) | instid1(VALU_DEP_3)
	v_lshrrev_b32_e32 v9, 24, v7
	v_and_b32_e32 v15, 0x7f800000, v7
	v_and_b32_e32 v1, 0x7fffff, v7
	;; [unrolled: 1-line block ×3, first 2 shown]
	s_delay_alu instid0(VALU_DEP_1) | instskip(NEXT) | instid1(VALU_DEP_4)
	v_or_b32_e32 v8, 0x7e, v12
	v_cmpx_ne_u64_e32 0x7f800000, v[15:16]
	s_xor_b32 s41, exec_lo, s2
	s_cbranch_execz .LBB76_26
; %bb.11:                               ;   in Loop: Header=BB76_10 Depth=1
	v_dual_mov_b32 v10, v2 :: v_dual_and_b32 v9, 0x7fffffff, v7
	s_mov_b32 s2, exec_lo
	s_delay_alu instid0(VALU_DEP_1)
	v_cmpx_gt_u64_e32 0x43e00001, v[9:10]
	s_xor_b32 s42, exec_lo, s2
	s_cbranch_execz .LBB76_25
; %bb.12:                               ;   in Loop: Header=BB76_10 Depth=1
	v_mov_b32_e32 v8, 0
	s_mov_b32 s43, exec_lo
	v_cmpx_ne_u32_e32 0, v7
	s_cbranch_execz .LBB76_24
; %bb.13:                               ;   in Loop: Header=BB76_10 Depth=1
	v_bfe_u32 v13, v7, 23, 8
	v_or_b32_e32 v9, 0x800000, v1
	s_delay_alu instid0(VALU_DEP_2) | instskip(SKIP_1) | instid1(VALU_DEP_2)
	v_sub_nc_u32_e32 v7, 0x79, v13
	v_cmp_gt_u32_e32 vcc_lo, 0x7a, v13
	v_cndmask_b32_e32 v7, 0, v7, vcc_lo
	v_cmp_eq_u32_e32 vcc_lo, 0, v13
	s_delay_alu instid0(VALU_DEP_2) | instskip(SKIP_1) | instid1(VALU_DEP_2)
	v_cndmask_b32_e64 v14, v7, 0x78, vcc_lo
	v_cndmask_b32_e32 v1, v9, v1, vcc_lo
	v_add_nc_u32_e32 v7, 20, v14
	v_add_nc_u32_e32 v9, 19, v14
	s_delay_alu instid0(VALU_DEP_2) | instskip(NEXT) | instid1(VALU_DEP_2)
	v_lshlrev_b64 v[7:8], v7, -1
	v_lshlrev_b64 v[9:10], v9, 1
	s_delay_alu instid0(VALU_DEP_2) | instskip(NEXT) | instid1(VALU_DEP_3)
	v_not_b32_e32 v8, v8
	v_not_b32_e32 v7, v7
	s_delay_alu instid0(VALU_DEP_2) | instskip(NEXT) | instid1(VALU_DEP_2)
	v_and_b32_e32 v16, 0, v8
	v_and_b32_e32 v15, v1, v7
	v_lshrrev_b64 v[7:8], v14, v[1:2]
	s_delay_alu instid0(VALU_DEP_2) | instskip(NEXT) | instid1(VALU_DEP_2)
	v_cmp_eq_u64_e64 s2, v[15:16], v[9:10]
	v_dual_mov_b32 v10, v8 :: v_dual_mov_b32 v9, v7
	s_delay_alu instid0(VALU_DEP_2)
	s_and_saveexec_b32 s44, s2
; %bb.14:                               ;   in Loop: Header=BB76_10 Depth=1
	v_bfe_u32 v1, v7, 20, 1
	s_delay_alu instid0(VALU_DEP_1) | instskip(NEXT) | instid1(VALU_DEP_1)
	v_add_co_u32 v1, s2, v7, v1
	v_add_co_u32 v9, s2, v1, -1
; %bb.15:                               ;   in Loop: Header=BB76_10 Depth=1
	s_or_b32 exec_lo, exec_lo, s44
	v_add_nc_u32_e32 v1, 0xffffff81, v13
	v_lshrrev_b32_e32 v10, 23, v7
	s_mov_b32 s2, exec_lo
	s_delay_alu instid0(VALU_DEP_2) | instskip(NEXT) | instid1(VALU_DEP_1)
	v_cndmask_b32_e64 v1, v1, 0xffffff82, vcc_lo
	v_add3_u32 v10, v14, v1, v10
	v_and_b32_e32 v1, 0xfffff, v9
	s_delay_alu instid0(VALU_DEP_2) | instskip(NEXT) | instid1(VALU_DEP_2)
	v_add_nc_u32_e32 v9, 6, v10
	v_add_co_u32 v7, vcc_lo, v1, v7
	v_add_co_ci_u32_e32 v8, vcc_lo, 0, v8, vcc_lo
                                        ; implicit-def: $vgpr1
	s_delay_alu instid0(VALU_DEP_3)
	v_cmpx_ne_u32_e32 0, v9
	s_xor_b32 s2, exec_lo, s2
; %bb.16:                               ;   in Loop: Header=BB76_10 Depth=1
	s_delay_alu instid0(VALU_DEP_2) | instskip(SKIP_1) | instid1(VALU_DEP_1)
	v_cmp_lt_u64_e32 vcc_lo, 0xffffff, v[7:8]
	v_add_nc_u32_e32 v1, 7, v10
	v_cndmask_b32_e32 v1, v9, v1, vcc_lo
	v_cndmask_b32_e64 v9, 0, 1, vcc_lo
	s_delay_alu instid0(VALU_DEP_1)
	v_lshrrev_b64 v[7:8], v9, v[7:8]
; %bb.17:                               ;   in Loop: Header=BB76_10 Depth=1
	s_and_not1_saveexec_b32 s2, s2
; %bb.18:                               ;   in Loop: Header=BB76_10 Depth=1
	s_delay_alu instid0(VALU_DEP_1)
	v_bfe_u32 v1, v7, 23, 1
; %bb.19:                               ;   in Loop: Header=BB76_10 Depth=1
	s_or_b32 exec_lo, exec_lo, s2
	s_delay_alu instid0(VALU_DEP_2) | instskip(NEXT) | instid1(VALU_DEP_2)
	v_lshrrev_b64 v[7:8], 20, v[7:8]
	v_cmp_gt_i32_e32 vcc_lo, 16, v1
	v_cmp_ne_u32_e64 s2, 0, v1
	s_delay_alu instid0(VALU_DEP_3) | instskip(NEXT) | instid1(VALU_DEP_1)
	v_dual_cndmask_b32 v8, 0, v8 :: v_dual_cndmask_b32 v7, 7, v7
	v_cmp_ne_u64_e32 vcc_lo, 0, v[7:8]
                                        ; implicit-def: $vgpr8
	s_delay_alu instid0(VALU_DEP_3) | instskip(NEXT) | instid1(SALU_CYCLE_1)
	s_or_b32 s2, s2, vcc_lo
	s_and_saveexec_b32 s44, s2
	s_delay_alu instid0(SALU_CYCLE_1)
	s_xor_b32 s2, exec_lo, s44
; %bb.20:                               ;   in Loop: Header=BB76_10 Depth=1
	v_min_i32_e32 v1, 15, v1
	s_delay_alu instid0(VALU_DEP_1) | instskip(NEXT) | instid1(VALU_DEP_1)
	v_lshl_or_b32 v1, v1, 3, v12
                                        ; implicit-def: $vgpr12
	v_and_or_b32 v8, v7, 7, v1
; %bb.21:                               ;   in Loop: Header=BB76_10 Depth=1
	s_and_not1_saveexec_b32 s2, s2
; %bb.22:                               ;   in Loop: Header=BB76_10 Depth=1
	v_mov_b32_e32 v8, v12
; %bb.23:                               ;   in Loop: Header=BB76_10 Depth=1
	s_or_b32 exec_lo, exec_lo, s2
.LBB76_24:                              ;   in Loop: Header=BB76_10 Depth=1
	s_delay_alu instid0(SALU_CYCLE_1)
	s_or_b32 exec_lo, exec_lo, s43
.LBB76_25:                              ;   in Loop: Header=BB76_10 Depth=1
	s_and_not1_saveexec_b32 s2, s42
	s_delay_alu instid0(SALU_CYCLE_1)
	s_or_b32 exec_lo, exec_lo, s2
                                        ; implicit-def: $vgpr9
.LBB76_26:                              ;   in Loop: Header=BB76_10 Depth=1
	s_and_not1_saveexec_b32 s2, s41
; %bb.27:                               ;   in Loop: Header=BB76_10 Depth=1
	v_cmp_eq_u64_e32 vcc_lo, 0, v[1:2]
	v_or_b32_e32 v7, 0x7f, v9
	s_delay_alu instid0(VALU_DEP_1)
	v_cndmask_b32_e32 v8, v7, v8, vcc_lo
; %bb.28:                               ;   in Loop: Header=BB76_10 Depth=1
	s_or_b32 exec_lo, exec_lo, s2
	v_cvt_f32_f16_e32 v1, v11
	v_add_co_u32 v14, s2, s36, v0
	s_delay_alu instid0(VALU_DEP_1) | instskip(NEXT) | instid1(VALU_DEP_3)
	v_add_co_ci_u32_e64 v15, null, s37, 0, s2
	v_div_scale_f32 v7, null, s34, s34, v1
	v_div_scale_f32 v11, vcc_lo, v1, s34, v1
	global_store_b8 v[14:15], v8, off
	v_rcp_f32_e32 v9, v7
	s_mov_b32 s2, exec_lo
	v_mov_b32_e32 v13, v2
	s_waitcnt_depctr 0xfff
	v_fma_f32 v10, -v7, v9, 1.0
	s_delay_alu instid0(VALU_DEP_1) | instskip(NEXT) | instid1(VALU_DEP_1)
	v_fmac_f32_e32 v9, v10, v9
	v_mul_f32_e32 v10, v11, v9
	s_delay_alu instid0(VALU_DEP_1) | instskip(NEXT) | instid1(VALU_DEP_1)
	v_fma_f32 v12, -v7, v10, v11
	v_fmac_f32_e32 v10, v12, v9
	s_delay_alu instid0(VALU_DEP_1) | instskip(NEXT) | instid1(VALU_DEP_1)
	v_fma_f32 v7, -v7, v10, v11
	v_div_fmas_f32 v7, v7, v9, v10
	s_delay_alu instid0(VALU_DEP_1) | instskip(NEXT) | instid1(VALU_DEP_1)
	v_div_fixup_f32 v1, v7, s34, v1
	v_cvt_f16_f32_e32 v1, v1
	s_delay_alu instid0(VALU_DEP_1) | instskip(NEXT) | instid1(VALU_DEP_1)
	v_cvt_f32_f16_e32 v7, v1
	v_and_b32_e32 v1, 0x7fffff, v7
	v_lshrrev_b32_e32 v10, 24, v7
	v_and_b32_e32 v12, 0x7f800000, v7
	s_delay_alu instid0(VALU_DEP_2) | instskip(NEXT) | instid1(VALU_DEP_1)
	v_and_b32_e32 v11, 0x80, v10
	v_or_b32_e32 v9, 0x7e, v11
	s_delay_alu instid0(VALU_DEP_3)
	v_cmpx_ne_u64_e32 0x7f800000, v[12:13]
	s_xor_b32 s41, exec_lo, s2
	s_cbranch_execz .LBB76_44
; %bb.29:                               ;   in Loop: Header=BB76_10 Depth=1
	v_dual_mov_b32 v13, v2 :: v_dual_and_b32 v12, 0x7fffffff, v7
	s_mov_b32 s2, exec_lo
	s_delay_alu instid0(VALU_DEP_1)
	v_cmpx_gt_u64_e32 0x43e00001, v[12:13]
	s_xor_b32 s42, exec_lo, s2
	s_cbranch_execz .LBB76_43
; %bb.30:                               ;   in Loop: Header=BB76_10 Depth=1
	v_mov_b32_e32 v9, 0
	s_mov_b32 s43, exec_lo
	v_cmpx_ne_u32_e32 0, v7
	s_cbranch_execz .LBB76_42
; %bb.31:                               ;   in Loop: Header=BB76_10 Depth=1
	v_bfe_u32 v12, v7, 23, 8
	v_or_b32_e32 v9, 0x800000, v1
	s_delay_alu instid0(VALU_DEP_2) | instskip(SKIP_1) | instid1(VALU_DEP_2)
	v_sub_nc_u32_e32 v7, 0x79, v12
	v_cmp_gt_u32_e32 vcc_lo, 0x7a, v12
	v_cndmask_b32_e32 v7, 0, v7, vcc_lo
	v_cmp_eq_u32_e32 vcc_lo, 0, v12
	s_delay_alu instid0(VALU_DEP_2) | instskip(SKIP_1) | instid1(VALU_DEP_2)
	v_cndmask_b32_e64 v13, v7, 0x78, vcc_lo
	v_cndmask_b32_e32 v1, v9, v1, vcc_lo
	v_add_nc_u32_e32 v7, 20, v13
	v_add_nc_u32_e32 v9, 19, v13
	s_delay_alu instid0(VALU_DEP_2) | instskip(NEXT) | instid1(VALU_DEP_2)
	v_lshlrev_b64 v[7:8], v7, -1
	v_lshlrev_b64 v[9:10], v9, 1
	s_delay_alu instid0(VALU_DEP_2) | instskip(NEXT) | instid1(VALU_DEP_3)
	v_not_b32_e32 v8, v8
	v_not_b32_e32 v7, v7
	s_delay_alu instid0(VALU_DEP_2) | instskip(NEXT) | instid1(VALU_DEP_2)
	v_and_b32_e32 v15, 0, v8
	v_and_b32_e32 v14, v1, v7
	v_lshrrev_b64 v[7:8], v13, v[1:2]
	s_delay_alu instid0(VALU_DEP_2) | instskip(NEXT) | instid1(VALU_DEP_2)
	v_cmp_eq_u64_e64 s2, v[14:15], v[9:10]
	v_dual_mov_b32 v10, v8 :: v_dual_mov_b32 v9, v7
	s_delay_alu instid0(VALU_DEP_2)
	s_and_saveexec_b32 s44, s2
; %bb.32:                               ;   in Loop: Header=BB76_10 Depth=1
	v_bfe_u32 v1, v7, 20, 1
	s_delay_alu instid0(VALU_DEP_1) | instskip(NEXT) | instid1(VALU_DEP_1)
	v_add_co_u32 v1, s2, v7, v1
	v_add_co_u32 v9, s2, v1, -1
; %bb.33:                               ;   in Loop: Header=BB76_10 Depth=1
	s_or_b32 exec_lo, exec_lo, s44
	v_add_nc_u32_e32 v1, 0xffffff81, v12
	v_lshrrev_b32_e32 v10, 23, v7
	s_mov_b32 s2, exec_lo
	s_delay_alu instid0(VALU_DEP_2) | instskip(NEXT) | instid1(VALU_DEP_1)
	v_cndmask_b32_e64 v1, v1, 0xffffff82, vcc_lo
	v_add3_u32 v10, v13, v1, v10
	v_and_b32_e32 v1, 0xfffff, v9
	s_delay_alu instid0(VALU_DEP_2) | instskip(NEXT) | instid1(VALU_DEP_2)
	v_add_nc_u32_e32 v9, 6, v10
	v_add_co_u32 v7, vcc_lo, v1, v7
	v_add_co_ci_u32_e32 v8, vcc_lo, 0, v8, vcc_lo
                                        ; implicit-def: $vgpr1
	s_delay_alu instid0(VALU_DEP_3)
	v_cmpx_ne_u32_e32 0, v9
	s_xor_b32 s2, exec_lo, s2
; %bb.34:                               ;   in Loop: Header=BB76_10 Depth=1
	s_delay_alu instid0(VALU_DEP_2) | instskip(SKIP_1) | instid1(VALU_DEP_1)
	v_cmp_lt_u64_e32 vcc_lo, 0xffffff, v[7:8]
	v_add_nc_u32_e32 v1, 7, v10
	v_cndmask_b32_e32 v1, v9, v1, vcc_lo
	v_cndmask_b32_e64 v9, 0, 1, vcc_lo
	s_delay_alu instid0(VALU_DEP_1)
	v_lshrrev_b64 v[7:8], v9, v[7:8]
; %bb.35:                               ;   in Loop: Header=BB76_10 Depth=1
	s_and_not1_saveexec_b32 s2, s2
; %bb.36:                               ;   in Loop: Header=BB76_10 Depth=1
	s_delay_alu instid0(VALU_DEP_1)
	v_bfe_u32 v1, v7, 23, 1
; %bb.37:                               ;   in Loop: Header=BB76_10 Depth=1
	s_or_b32 exec_lo, exec_lo, s2
	s_delay_alu instid0(VALU_DEP_2) | instskip(NEXT) | instid1(VALU_DEP_2)
	v_lshrrev_b64 v[7:8], 20, v[7:8]
	v_cmp_gt_i32_e32 vcc_lo, 16, v1
	v_cmp_ne_u32_e64 s2, 0, v1
                                        ; implicit-def: $vgpr9
	s_delay_alu instid0(VALU_DEP_3) | instskip(NEXT) | instid1(VALU_DEP_1)
	v_dual_cndmask_b32 v8, 0, v8 :: v_dual_cndmask_b32 v7, 7, v7
	v_cmp_ne_u64_e32 vcc_lo, 0, v[7:8]
	s_delay_alu instid0(VALU_DEP_3) | instskip(NEXT) | instid1(SALU_CYCLE_1)
	s_or_b32 s2, s2, vcc_lo
	s_and_saveexec_b32 s44, s2
	s_delay_alu instid0(SALU_CYCLE_1)
	s_xor_b32 s2, exec_lo, s44
; %bb.38:                               ;   in Loop: Header=BB76_10 Depth=1
	v_min_i32_e32 v1, 15, v1
	s_delay_alu instid0(VALU_DEP_1) | instskip(NEXT) | instid1(VALU_DEP_1)
	v_lshl_or_b32 v1, v1, 3, v11
                                        ; implicit-def: $vgpr11
	v_and_or_b32 v9, v7, 7, v1
; %bb.39:                               ;   in Loop: Header=BB76_10 Depth=1
	s_and_not1_saveexec_b32 s2, s2
; %bb.40:                               ;   in Loop: Header=BB76_10 Depth=1
	v_mov_b32_e32 v9, v11
; %bb.41:                               ;   in Loop: Header=BB76_10 Depth=1
	s_or_b32 exec_lo, exec_lo, s2
.LBB76_42:                              ;   in Loop: Header=BB76_10 Depth=1
	s_delay_alu instid0(SALU_CYCLE_1)
	s_or_b32 exec_lo, exec_lo, s43
.LBB76_43:                              ;   in Loop: Header=BB76_10 Depth=1
	s_and_not1_saveexec_b32 s2, s42
	s_delay_alu instid0(SALU_CYCLE_1)
	s_or_b32 exec_lo, exec_lo, s2
                                        ; implicit-def: $vgpr10
.LBB76_44:                              ;   in Loop: Header=BB76_10 Depth=1
	s_and_not1_saveexec_b32 s2, s41
	s_cbranch_execz .LBB76_9
; %bb.45:                               ;   in Loop: Header=BB76_10 Depth=1
	v_cmp_eq_u64_e32 vcc_lo, 0, v[1:2]
	v_or_b32_e32 v7, 0x7f, v10
	s_delay_alu instid0(VALU_DEP_1)
	v_cndmask_b32_e32 v9, v7, v9, vcc_lo
	s_branch .LBB76_9
.LBB76_46:
	s_or_b32 exec_lo, exec_lo, s33
	s_delay_alu instid0(SALU_CYCLE_1)
	s_mov_b32 s2, exec_lo
	v_cmpx_gt_i32_e64 s6, v0
	s_cbranch_execz .LBB76_67
; %bb.47:
	s_mul_i32 s3, s16, s11
	s_mul_hi_u32 s8, s16, s10
	s_mul_i32 s2, s16, s10
	s_add_i32 s3, s8, s3
	s_load_b32 s0, s[0:1], 0x8c
	s_lshl_b64 s[2:3], s[2:3], 2
	v_mov_b32_e32 v3, 0
	s_add_u32 s1, s14, s2
	s_addc_u32 s2, s15, s3
	s_waitcnt lgkmcnt(0)
	s_load_b32 s3, s[24:25], 0x0
	s_ashr_i32 s4, s4, 31
	s_delay_alu instid0(SALU_CYCLE_1) | instskip(NEXT) | instid1(SALU_CYCLE_1)
	s_mul_i32 s4, s22, s4
	s_add_i32 s4, s29, s4
	s_delay_alu instid0(SALU_CYCLE_1) | instskip(SKIP_3) | instid1(SALU_CYCLE_1)
	s_add_i32 s4, s4, s30
	s_add_u32 s8, s18, s31
	s_addc_u32 s9, s19, s4
	s_ashr_i32 s4, s5, 31
	s_mul_i32 s7, s7, s4
	s_delay_alu instid0(SALU_CYCLE_1) | instskip(NEXT) | instid1(SALU_CYCLE_1)
	s_add_i32 s4, s28, s7
	s_add_i32 s5, s4, s17
	s_add_u32 s4, s8, s23
	s_addc_u32 s5, s9, s5
	s_and_b32 s7, s0, 0xffff
	s_mov_b32 s8, 0
	s_branch .LBB76_49
.LBB76_48:                              ;   in Loop: Header=BB76_49 Depth=1
	s_or_b32 exec_lo, exec_lo, s0
	v_add_co_u32 v6, vcc_lo, s4, v0
	v_add_nc_u32_e32 v0, s7, v0
	v_add_co_ci_u32_e32 v7, vcc_lo, s5, v1, vcc_lo
	s_delay_alu instid0(VALU_DEP_2) | instskip(SKIP_2) | instid1(SALU_CYCLE_1)
	v_cmp_le_i32_e32 vcc_lo, s6, v0
	global_store_b8 v[6:7], v5, off
	s_or_b32 s8, vcc_lo, s8
	s_and_not1_b32 exec_lo, exec_lo, s8
	s_cbranch_execz .LBB76_67
.LBB76_49:                              ; =>This Inner Loop Header: Depth=1
	v_ashrrev_i32_e32 v1, 31, v0
	s_mov_b32 s0, exec_lo
	v_mov_b32_e32 v10, v3
	s_delay_alu instid0(VALU_DEP_2) | instskip(NEXT) | instid1(VALU_DEP_1)
	v_lshlrev_b64 v[4:5], 2, v[0:1]
	v_add_co_u32 v4, vcc_lo, s1, v4
	s_delay_alu instid0(VALU_DEP_2) | instskip(SKIP_4) | instid1(VALU_DEP_1)
	v_add_co_ci_u32_e32 v5, vcc_lo, s2, v5, vcc_lo
	global_load_u16 v2, v[4:5], off
	s_waitcnt vmcnt(0)
	v_cvt_f32_f16_e32 v2, v2
	s_waitcnt lgkmcnt(0)
	v_div_scale_f32 v4, null, s3, s3, v2
	s_delay_alu instid0(VALU_DEP_1) | instskip(SKIP_2) | instid1(VALU_DEP_1)
	v_rcp_f32_e32 v5, v4
	s_waitcnt_depctr 0xfff
	v_fma_f32 v6, -v4, v5, 1.0
	v_fmac_f32_e32 v5, v6, v5
	v_div_scale_f32 v6, vcc_lo, v2, s3, v2
	s_delay_alu instid0(VALU_DEP_1) | instskip(NEXT) | instid1(VALU_DEP_1)
	v_mul_f32_e32 v7, v6, v5
	v_fma_f32 v8, -v4, v7, v6
	s_delay_alu instid0(VALU_DEP_1) | instskip(NEXT) | instid1(VALU_DEP_1)
	v_fmac_f32_e32 v7, v8, v5
	v_fma_f32 v4, -v4, v7, v6
	s_delay_alu instid0(VALU_DEP_1) | instskip(NEXT) | instid1(VALU_DEP_1)
	v_div_fmas_f32 v4, v4, v5, v7
	v_div_fixup_f32 v2, v4, s3, v2
	s_delay_alu instid0(VALU_DEP_1) | instskip(NEXT) | instid1(VALU_DEP_1)
	v_cvt_f16_f32_e32 v2, v2
	v_cvt_f32_f16_e32 v4, v2
	s_delay_alu instid0(VALU_DEP_1) | instskip(SKIP_2) | instid1(VALU_DEP_2)
	v_and_b32_e32 v2, 0x7fffff, v4
	v_lshrrev_b32_e32 v6, 24, v4
	v_and_b32_e32 v9, 0x7f800000, v4
	v_and_b32_e32 v8, 0x80, v6
	s_delay_alu instid0(VALU_DEP_1) | instskip(NEXT) | instid1(VALU_DEP_3)
	v_or_b32_e32 v5, 0x7e, v8
	v_cmpx_ne_u64_e32 0x7f800000, v[9:10]
	s_xor_b32 s9, exec_lo, s0
	s_cbranch_execz .LBB76_65
; %bb.50:                               ;   in Loop: Header=BB76_49 Depth=1
	v_dual_mov_b32 v7, v3 :: v_dual_and_b32 v6, 0x7fffffff, v4
	s_mov_b32 s0, exec_lo
	s_delay_alu instid0(VALU_DEP_1)
	v_cmpx_gt_u64_e32 0x43e00001, v[6:7]
	s_xor_b32 s10, exec_lo, s0
	s_cbranch_execz .LBB76_64
; %bb.51:                               ;   in Loop: Header=BB76_49 Depth=1
	v_mov_b32_e32 v5, 0
	s_mov_b32 s11, exec_lo
	v_cmpx_ne_u32_e32 0, v4
	s_cbranch_execz .LBB76_63
; %bb.52:                               ;   in Loop: Header=BB76_49 Depth=1
	v_bfe_u32 v9, v4, 23, 8
	v_or_b32_e32 v6, 0x800000, v2
	s_delay_alu instid0(VALU_DEP_2) | instskip(SKIP_1) | instid1(VALU_DEP_2)
	v_sub_nc_u32_e32 v4, 0x79, v9
	v_cmp_gt_u32_e32 vcc_lo, 0x7a, v9
	v_cndmask_b32_e32 v4, 0, v4, vcc_lo
	v_cmp_eq_u32_e32 vcc_lo, 0, v9
	s_delay_alu instid0(VALU_DEP_2) | instskip(SKIP_1) | instid1(VALU_DEP_2)
	v_cndmask_b32_e64 v10, v4, 0x78, vcc_lo
	v_cndmask_b32_e32 v2, v6, v2, vcc_lo
	v_add_nc_u32_e32 v4, 20, v10
	v_add_nc_u32_e32 v6, 19, v10
	s_delay_alu instid0(VALU_DEP_2) | instskip(NEXT) | instid1(VALU_DEP_2)
	v_lshlrev_b64 v[4:5], v4, -1
	v_lshlrev_b64 v[6:7], v6, 1
	s_delay_alu instid0(VALU_DEP_2) | instskip(NEXT) | instid1(VALU_DEP_3)
	v_not_b32_e32 v5, v5
	v_not_b32_e32 v4, v4
	s_delay_alu instid0(VALU_DEP_2) | instskip(NEXT) | instid1(VALU_DEP_2)
	v_and_b32_e32 v12, 0, v5
	v_and_b32_e32 v11, v2, v4
	v_lshrrev_b64 v[4:5], v10, v[2:3]
	s_delay_alu instid0(VALU_DEP_2) | instskip(NEXT) | instid1(VALU_DEP_2)
	v_cmp_eq_u64_e64 s0, v[11:12], v[6:7]
	v_dual_mov_b32 v7, v5 :: v_dual_mov_b32 v6, v4
	s_delay_alu instid0(VALU_DEP_2)
	s_and_saveexec_b32 s12, s0
; %bb.53:                               ;   in Loop: Header=BB76_49 Depth=1
	v_bfe_u32 v2, v4, 20, 1
	s_delay_alu instid0(VALU_DEP_1) | instskip(NEXT) | instid1(VALU_DEP_1)
	v_add_co_u32 v2, s0, v4, v2
	v_add_co_u32 v6, s0, v2, -1
; %bb.54:                               ;   in Loop: Header=BB76_49 Depth=1
	s_or_b32 exec_lo, exec_lo, s12
	v_add_nc_u32_e32 v2, 0xffffff81, v9
	v_lshrrev_b32_e32 v7, 23, v4
	s_mov_b32 s0, exec_lo
	s_delay_alu instid0(VALU_DEP_2) | instskip(NEXT) | instid1(VALU_DEP_1)
	v_cndmask_b32_e64 v2, v2, 0xffffff82, vcc_lo
	v_add3_u32 v7, v10, v2, v7
	v_and_b32_e32 v2, 0xfffff, v6
	s_delay_alu instid0(VALU_DEP_2) | instskip(NEXT) | instid1(VALU_DEP_2)
	v_add_nc_u32_e32 v6, 6, v7
	v_add_co_u32 v4, vcc_lo, v2, v4
	v_add_co_ci_u32_e32 v5, vcc_lo, 0, v5, vcc_lo
                                        ; implicit-def: $vgpr2
	s_delay_alu instid0(VALU_DEP_3)
	v_cmpx_ne_u32_e32 0, v6
	s_xor_b32 s0, exec_lo, s0
; %bb.55:                               ;   in Loop: Header=BB76_49 Depth=1
	s_delay_alu instid0(VALU_DEP_2) | instskip(SKIP_1) | instid1(VALU_DEP_1)
	v_cmp_lt_u64_e32 vcc_lo, 0xffffff, v[4:5]
	v_add_nc_u32_e32 v2, 7, v7
	v_cndmask_b32_e32 v2, v6, v2, vcc_lo
	v_cndmask_b32_e64 v6, 0, 1, vcc_lo
	s_delay_alu instid0(VALU_DEP_1)
	v_lshrrev_b64 v[4:5], v6, v[4:5]
; %bb.56:                               ;   in Loop: Header=BB76_49 Depth=1
	s_and_not1_saveexec_b32 s0, s0
; %bb.57:                               ;   in Loop: Header=BB76_49 Depth=1
	s_delay_alu instid0(VALU_DEP_1)
	v_bfe_u32 v2, v4, 23, 1
; %bb.58:                               ;   in Loop: Header=BB76_49 Depth=1
	s_or_b32 exec_lo, exec_lo, s0
	s_delay_alu instid0(VALU_DEP_2) | instskip(NEXT) | instid1(VALU_DEP_2)
	v_lshrrev_b64 v[4:5], 20, v[4:5]
	v_cmp_gt_i32_e32 vcc_lo, 16, v2
	v_cmp_ne_u32_e64 s0, 0, v2
	s_delay_alu instid0(VALU_DEP_3) | instskip(NEXT) | instid1(VALU_DEP_1)
	v_dual_cndmask_b32 v5, 0, v5 :: v_dual_cndmask_b32 v4, 7, v4
	v_cmp_ne_u64_e32 vcc_lo, 0, v[4:5]
                                        ; implicit-def: $vgpr5
	s_delay_alu instid0(VALU_DEP_3) | instskip(NEXT) | instid1(SALU_CYCLE_1)
	s_or_b32 s0, s0, vcc_lo
	s_and_saveexec_b32 s12, s0
	s_delay_alu instid0(SALU_CYCLE_1)
	s_xor_b32 s0, exec_lo, s12
; %bb.59:                               ;   in Loop: Header=BB76_49 Depth=1
	v_min_i32_e32 v2, 15, v2
	s_delay_alu instid0(VALU_DEP_1) | instskip(NEXT) | instid1(VALU_DEP_1)
	v_lshl_or_b32 v2, v2, 3, v8
                                        ; implicit-def: $vgpr8
	v_and_or_b32 v5, v4, 7, v2
; %bb.60:                               ;   in Loop: Header=BB76_49 Depth=1
	s_and_not1_saveexec_b32 s0, s0
; %bb.61:                               ;   in Loop: Header=BB76_49 Depth=1
	v_mov_b32_e32 v5, v8
; %bb.62:                               ;   in Loop: Header=BB76_49 Depth=1
	s_or_b32 exec_lo, exec_lo, s0
.LBB76_63:                              ;   in Loop: Header=BB76_49 Depth=1
	s_delay_alu instid0(SALU_CYCLE_1)
	s_or_b32 exec_lo, exec_lo, s11
.LBB76_64:                              ;   in Loop: Header=BB76_49 Depth=1
	s_and_not1_saveexec_b32 s0, s10
	s_delay_alu instid0(SALU_CYCLE_1)
	s_or_b32 exec_lo, exec_lo, s0
                                        ; implicit-def: $vgpr6
.LBB76_65:                              ;   in Loop: Header=BB76_49 Depth=1
	s_and_not1_saveexec_b32 s0, s9
	s_cbranch_execz .LBB76_48
; %bb.66:                               ;   in Loop: Header=BB76_49 Depth=1
	v_cmp_eq_u64_e32 vcc_lo, 0, v[2:3]
	v_or_b32_e32 v4, 0x7f, v6
	s_delay_alu instid0(VALU_DEP_1)
	v_cndmask_b32_e32 v5, v4, v5, vcc_lo
	s_branch .LBB76_48
.LBB76_67:
	s_nop 0
	s_sendmsg sendmsg(MSG_DEALLOC_VGPRS)
	s_endpgm
.LBB76_68:
                                        ; implicit-def: $sgpr22_sgpr23
	s_branch .LBB76_6
	.section	.rodata,"a",@progbits
	.p2align	6, 0x0
	.amdhsa_kernel _ZN4vllm38concat_and_cache_mla_rope_fused_kernelIfN3c108BFloat16ELb1EthLNS_18Fp8KVCacheDataTypeE1EEEvPKlPT_S7_PKS6_PKT0_illlliPT3_S5_iiiiPKf
		.amdhsa_group_segment_fixed_size 0
		.amdhsa_private_segment_fixed_size 0
		.amdhsa_kernarg_size 384
		.amdhsa_user_sgpr_count 15
		.amdhsa_user_sgpr_dispatch_ptr 0
		.amdhsa_user_sgpr_queue_ptr 0
		.amdhsa_user_sgpr_kernarg_segment_ptr 1
		.amdhsa_user_sgpr_dispatch_id 0
		.amdhsa_user_sgpr_private_segment_size 0
		.amdhsa_wavefront_size32 1
		.amdhsa_uses_dynamic_stack 0
		.amdhsa_enable_private_segment 0
		.amdhsa_system_sgpr_workgroup_id_x 1
		.amdhsa_system_sgpr_workgroup_id_y 0
		.amdhsa_system_sgpr_workgroup_id_z 0
		.amdhsa_system_sgpr_workgroup_info 0
		.amdhsa_system_vgpr_workitem_id 0
		.amdhsa_next_free_vgpr 19
		.amdhsa_next_free_sgpr 45
		.amdhsa_reserve_vcc 1
		.amdhsa_float_round_mode_32 0
		.amdhsa_float_round_mode_16_64 0
		.amdhsa_float_denorm_mode_32 3
		.amdhsa_float_denorm_mode_16_64 3
		.amdhsa_dx10_clamp 1
		.amdhsa_ieee_mode 1
		.amdhsa_fp16_overflow 0
		.amdhsa_workgroup_processor_mode 1
		.amdhsa_memory_ordered 1
		.amdhsa_forward_progress 0
		.amdhsa_shared_vgpr_count 0
		.amdhsa_exception_fp_ieee_invalid_op 0
		.amdhsa_exception_fp_denorm_src 0
		.amdhsa_exception_fp_ieee_div_zero 0
		.amdhsa_exception_fp_ieee_overflow 0
		.amdhsa_exception_fp_ieee_underflow 0
		.amdhsa_exception_fp_ieee_inexact 0
		.amdhsa_exception_int_div_zero 0
	.end_amdhsa_kernel
	.section	.text._ZN4vllm38concat_and_cache_mla_rope_fused_kernelIfN3c108BFloat16ELb1EthLNS_18Fp8KVCacheDataTypeE1EEEvPKlPT_S7_PKS6_PKT0_illlliPT3_S5_iiiiPKf,"axG",@progbits,_ZN4vllm38concat_and_cache_mla_rope_fused_kernelIfN3c108BFloat16ELb1EthLNS_18Fp8KVCacheDataTypeE1EEEvPKlPT_S7_PKS6_PKT0_illlliPT3_S5_iiiiPKf,comdat
.Lfunc_end76:
	.size	_ZN4vllm38concat_and_cache_mla_rope_fused_kernelIfN3c108BFloat16ELb1EthLNS_18Fp8KVCacheDataTypeE1EEEvPKlPT_S7_PKS6_PKT0_illlliPT3_S5_iiiiPKf, .Lfunc_end76-_ZN4vllm38concat_and_cache_mla_rope_fused_kernelIfN3c108BFloat16ELb1EthLNS_18Fp8KVCacheDataTypeE1EEEvPKlPT_S7_PKS6_PKT0_illlliPT3_S5_iiiiPKf
                                        ; -- End function
	.section	.AMDGPU.csdata,"",@progbits
; Kernel info:
; codeLenInByte = 4484
; NumSgprs: 47
; NumVgprs: 19
; ScratchSize: 0
; MemoryBound: 0
; FloatMode: 240
; IeeeMode: 1
; LDSByteSize: 0 bytes/workgroup (compile time only)
; SGPRBlocks: 5
; VGPRBlocks: 2
; NumSGPRsForWavesPerEU: 47
; NumVGPRsForWavesPerEU: 19
; Occupancy: 16
; WaveLimiterHint : 1
; COMPUTE_PGM_RSRC2:SCRATCH_EN: 0
; COMPUTE_PGM_RSRC2:USER_SGPR: 15
; COMPUTE_PGM_RSRC2:TRAP_HANDLER: 0
; COMPUTE_PGM_RSRC2:TGID_X_EN: 1
; COMPUTE_PGM_RSRC2:TGID_Y_EN: 0
; COMPUTE_PGM_RSRC2:TGID_Z_EN: 0
; COMPUTE_PGM_RSRC2:TIDIG_COMP_CNT: 0
	.section	.text._ZN4vllm38concat_and_cache_mla_rope_fused_kernelIfN3c108BFloat16ELb0EthLNS_18Fp8KVCacheDataTypeE1EEEvPKlPT_S7_PKS6_PKT0_illlliPT3_S5_iiiiPKf,"axG",@progbits,_ZN4vllm38concat_and_cache_mla_rope_fused_kernelIfN3c108BFloat16ELb0EthLNS_18Fp8KVCacheDataTypeE1EEEvPKlPT_S7_PKS6_PKT0_illlliPT3_S5_iiiiPKf,comdat
	.protected	_ZN4vllm38concat_and_cache_mla_rope_fused_kernelIfN3c108BFloat16ELb0EthLNS_18Fp8KVCacheDataTypeE1EEEvPKlPT_S7_PKS6_PKT0_illlliPT3_S5_iiiiPKf ; -- Begin function _ZN4vllm38concat_and_cache_mla_rope_fused_kernelIfN3c108BFloat16ELb0EthLNS_18Fp8KVCacheDataTypeE1EEEvPKlPT_S7_PKS6_PKT0_illlliPT3_S5_iiiiPKf
	.globl	_ZN4vllm38concat_and_cache_mla_rope_fused_kernelIfN3c108BFloat16ELb0EthLNS_18Fp8KVCacheDataTypeE1EEEvPKlPT_S7_PKS6_PKT0_illlliPT3_S5_iiiiPKf
	.p2align	8
	.type	_ZN4vllm38concat_and_cache_mla_rope_fused_kernelIfN3c108BFloat16ELb0EthLNS_18Fp8KVCacheDataTypeE1EEEvPKlPT_S7_PKS6_PKT0_illlliPT3_S5_iiiiPKf,@function
_ZN4vllm38concat_and_cache_mla_rope_fused_kernelIfN3c108BFloat16ELb0EthLNS_18Fp8KVCacheDataTypeE1EEEvPKlPT_S7_PKS6_PKT0_illlliPT3_S5_iiiiPKf: ; @_ZN4vllm38concat_and_cache_mla_rope_fused_kernelIfN3c108BFloat16ELb0EthLNS_18Fp8KVCacheDataTypeE1EEEvPKlPT_S7_PKS6_PKT0_illlliPT3_S5_iiiiPKf
; %bb.0:
	s_load_b64 s[4:5], s[0:1], 0x60
	s_mov_b32 s16, s15
	s_mov_b32 s17, 0
	s_delay_alu instid0(SALU_CYCLE_1)
	s_lshl_b64 s[2:3], s[16:17], 3
	s_waitcnt lgkmcnt(0)
	s_add_u32 s4, s4, s2
	s_addc_u32 s5, s5, s3
	s_load_b64 s[26:27], s[4:5], 0x0
	s_waitcnt lgkmcnt(0)
	v_cmp_lt_i64_e64 s4, s[26:27], 0
	s_delay_alu instid0(VALU_DEP_1)
	s_and_b32 vcc_lo, exec_lo, s4
	s_cbranch_vccnz .LBB77_67
; %bb.1:
	s_clause 0x3
	s_load_b32 s21, s[0:1], 0x28
	s_load_b64 s[4:5], s[0:1], 0x0
	s_load_b128 s[12:15], s[0:1], 0x10
	s_load_b32 s17, s[0:1], 0x50
	v_lshlrev_b32_e32 v3, 1, v0
	s_waitcnt lgkmcnt(0)
	s_ashr_i32 s24, s21, 31
	s_add_u32 s2, s4, s2
	s_addc_u32 s3, s5, s3
	s_lshr_b32 s20, s21, 31
	s_load_b64 s[22:23], s[2:3], 0x0
	s_clause 0x2
	s_load_b64 s[2:3], s[0:1], 0x20
	s_load_b64 s[18:19], s[0:1], 0x58
	s_load_b256 s[4:11], s[0:1], 0x30
	s_add_i32 s20, s21, s20
	s_delay_alu instid0(SALU_CYCLE_1) | instskip(NEXT) | instid1(SALU_CYCLE_1)
	s_ashr_i32 s20, s20, 1
	s_mul_i32 s17, s20, s17
	s_waitcnt lgkmcnt(0)
	s_mul_i32 s24, s22, s24
	s_mul_hi_u32 s25, s22, s21
	s_mul_i32 s23, s23, s21
	s_add_i32 s24, s25, s24
	s_mul_i32 s28, s22, s21
	s_add_i32 s29, s24, s23
	s_mov_b32 s22, exec_lo
	v_cmpx_gt_i32_e64 s17, v0
	s_cbranch_execz .LBB77_4
; %bb.2:
	s_clause 0x1
	s_load_b64 s[30:31], s[0:1], 0x8
	s_load_b32 s34, s[0:1], 0x8c
	s_lshl_b64 s[24:25], s[28:29], 1
	s_mul_i32 s5, s16, s5
	s_mul_hi_u32 s21, s16, s4
	s_add_u32 s23, s2, s24
	s_mul_i32 s4, s16, s4
	s_addc_u32 s24, s3, s25
	s_add_i32 s5, s21, s5
	s_ashr_i32 s21, s20, 31
	s_lshl_b64 s[4:5], s[4:5], 2
	s_mov_b32 s33, 0
	s_waitcnt lgkmcnt(0)
	s_add_u32 s25, s30, s4
	s_addc_u32 s30, s31, s5
	s_abs_i32 s31, s20
	s_and_b32 s34, s34, 0xffff
	v_cvt_f32_u32_e32 v1, s31
	s_sub_i32 s4, 0, s31
	s_sub_i32 s35, 0, s20
	s_lshl_b32 s37, s34, 1
	s_delay_alu instid0(VALU_DEP_1) | instskip(SKIP_2) | instid1(VALU_DEP_1)
	v_rcp_iflag_f32_e32 v1, v1
	s_waitcnt_depctr 0xfff
	v_mul_f32_e32 v1, 0x4f7ffffe, v1
	v_cvt_u32_f32_e32 v2, v1
	s_delay_alu instid0(VALU_DEP_1) | instskip(SKIP_1) | instid1(SALU_CYCLE_1)
	v_mul_lo_u32 v1, s4, v2
	s_lshl_b32 s4, s20, 1
	s_sub_i32 s36, 0, s4
	s_lshl_b64 s[4:5], s[20:21], 1
	s_delay_alu instid0(VALU_DEP_1) | instskip(NEXT) | instid1(VALU_DEP_1)
	v_mul_hi_u32 v4, v2, v1
	v_dual_mov_b32 v1, v3 :: v_dual_add_nc_u32 v4, v2, v4
	v_mov_b32_e32 v2, v0
.LBB77_3:                               ; =>This Inner Loop Header: Depth=1
	s_delay_alu instid0(VALU_DEP_1) | instskip(SKIP_1) | instid1(VALU_DEP_2)
	v_sub_nc_u32_e32 v5, 0, v2
	v_ashrrev_i32_e32 v6, 31, v2
	v_max_i32_e32 v5, v2, v5
	s_delay_alu instid0(VALU_DEP_2) | instskip(NEXT) | instid1(VALU_DEP_2)
	v_xor_b32_e32 v6, s21, v6
	v_mul_hi_u32 v7, v5, v4
	s_delay_alu instid0(VALU_DEP_1) | instskip(SKIP_1) | instid1(VALU_DEP_2)
	v_mul_lo_u32 v8, v7, s31
	v_add_nc_u32_e32 v9, 1, v7
	v_sub_nc_u32_e32 v5, v5, v8
	s_delay_alu instid0(VALU_DEP_1) | instskip(SKIP_1) | instid1(VALU_DEP_4)
	v_subrev_nc_u32_e32 v8, s31, v5
	v_cmp_le_u32_e32 vcc_lo, s31, v5
	v_cndmask_b32_e32 v7, v7, v9, vcc_lo
	s_delay_alu instid0(VALU_DEP_1) | instskip(NEXT) | instid1(VALU_DEP_1)
	v_dual_cndmask_b32 v5, v5, v8 :: v_dual_add_nc_u32 v8, 1, v7
	v_cmp_le_u32_e32 vcc_lo, s31, v5
	s_delay_alu instid0(VALU_DEP_2) | instskip(NEXT) | instid1(VALU_DEP_1)
	v_cndmask_b32_e32 v5, v7, v8, vcc_lo
	v_xor_b32_e32 v5, v5, v6
	s_delay_alu instid0(VALU_DEP_1) | instskip(NEXT) | instid1(VALU_DEP_1)
	v_sub_nc_u32_e32 v11, v5, v6
	v_mad_u64_u32 v[5:6], null, s35, v11, v[2:3]
	v_ashrrev_i32_e32 v6, 31, v11
	v_mul_lo_u32 v12, v11, s7
	v_mad_u64_u32 v[7:8], null, v11, s6, 0
	v_mad_u64_u32 v[9:10], null, s36, v11, v[1:2]
	s_delay_alu instid0(VALU_DEP_4) | instskip(SKIP_3) | instid1(VALU_DEP_3)
	v_mul_lo_u32 v11, v6, s6
	v_ashrrev_i32_e32 v6, 31, v5
	v_add_nc_u32_e32 v2, s34, v2
	v_add_nc_u32_e32 v1, s37, v1
	v_lshlrev_b64 v[5:6], 1, v[5:6]
	v_ashrrev_i32_e32 v10, 31, v9
	v_add3_u32 v8, v8, v12, v11
	s_delay_alu instid0(VALU_DEP_3) | instskip(NEXT) | instid1(VALU_DEP_2)
	v_add_co_u32 v5, vcc_lo, s23, v5
	v_lshlrev_b64 v[7:8], 2, v[7:8]
	v_add_co_ci_u32_e32 v6, vcc_lo, s24, v6, vcc_lo
	s_delay_alu instid0(VALU_DEP_3) | instskip(SKIP_1) | instid1(VALU_DEP_3)
	v_add_co_u32 v11, vcc_lo, v5, s4
	v_lshlrev_b64 v[9:10], 2, v[9:10]
	v_add_co_ci_u32_e32 v12, vcc_lo, s5, v6, vcc_lo
	v_add_co_u32 v7, vcc_lo, s25, v7
	v_add_co_ci_u32_e32 v8, vcc_lo, s30, v8, vcc_lo
	s_clause 0x1
	global_load_u16 v13, v[5:6], off
	global_load_u16 v11, v[11:12], off
	v_add_co_u32 v5, vcc_lo, v7, v9
	v_add_co_ci_u32_e32 v6, vcc_lo, v8, v10, vcc_lo
	v_cmp_le_i32_e32 vcc_lo, s17, v2
	global_load_b64 v[7:8], v[5:6], off
	s_or_b32 s33, vcc_lo, s33
	s_waitcnt vmcnt(1)
	v_lshlrev_b32_e32 v9, 16, v11
	v_lshlrev_b32_e32 v11, 16, v13
	s_waitcnt vmcnt(0)
	s_delay_alu instid0(VALU_DEP_2) | instskip(SKIP_1) | instid1(VALU_DEP_2)
	v_mul_f32_e32 v12, v8, v9
	v_mul_f32_e32 v10, v7, v9
	v_fma_f32 v9, v7, v11, -v12
	s_delay_alu instid0(VALU_DEP_2)
	v_fmac_f32_e32 v10, v8, v11
	global_store_b64 v[5:6], v[9:10], off
	s_and_not1_b32 exec_lo, exec_lo, s33
	s_cbranch_execnz .LBB77_3
.LBB77_4:
	s_or_b32 exec_lo, exec_lo, s22
	s_load_b128 s[4:7], s[0:1], 0x68
	s_waitcnt lgkmcnt(0)
	s_ashr_i32 s31, s7, 31
	s_mov_b32 s30, s7
	s_delay_alu instid0(SALU_CYCLE_1) | instskip(SKIP_1) | instid1(SALU_CYCLE_1)
	s_or_b64 s[24:25], s[26:27], s[30:31]
	s_mov_b32 s24, 0
	s_cmp_lg_u64 s[24:25], 0
	s_cbranch_scc0 .LBB77_68
; %bb.5:
	s_add_u32 s34, s30, s31
	s_mov_b32 s22, s31
	s_mov_b32 s23, s31
	s_addc_u32 s35, s31, s31
	s_delay_alu instid0(SALU_CYCLE_1) | instskip(NEXT) | instid1(SALU_CYCLE_1)
	s_xor_b64 s[34:35], s[34:35], s[22:23]
	v_cvt_f32_u32_e32 v1, s34
	v_cvt_f32_u32_e32 v2, s35
	s_sub_u32 s21, 0, s34
	s_subb_u32 s25, 0, s35
	s_delay_alu instid0(VALU_DEP_1) | instskip(NEXT) | instid1(VALU_DEP_1)
	v_fmamk_f32 v1, v2, 0x4f800000, v1
	v_rcp_f32_e32 v1, v1
	s_waitcnt_depctr 0xfff
	v_mul_f32_e32 v1, 0x5f7ffffc, v1
	s_delay_alu instid0(VALU_DEP_1) | instskip(NEXT) | instid1(VALU_DEP_1)
	v_mul_f32_e32 v2, 0x2f800000, v1
	v_trunc_f32_e32 v2, v2
	s_delay_alu instid0(VALU_DEP_1) | instskip(SKIP_1) | instid1(VALU_DEP_2)
	v_fmamk_f32 v1, v2, 0xcf800000, v1
	v_cvt_u32_f32_e32 v2, v2
	v_cvt_u32_f32_e32 v1, v1
	s_delay_alu instid0(VALU_DEP_2) | instskip(NEXT) | instid1(VALU_DEP_2)
	v_readfirstlane_b32 s7, v2
	v_readfirstlane_b32 s17, v1
	s_delay_alu instid0(VALU_DEP_2) | instskip(NEXT) | instid1(VALU_DEP_1)
	s_mul_i32 s33, s21, s7
	s_mul_hi_u32 s37, s21, s17
	s_mul_i32 s36, s25, s17
	s_add_i32 s33, s37, s33
	s_mul_i32 s38, s21, s17
	s_add_i32 s33, s33, s36
	s_mul_hi_u32 s37, s17, s38
	s_mul_hi_u32 s39, s7, s38
	s_mul_i32 s36, s7, s38
	s_mul_hi_u32 s38, s17, s33
	s_mul_i32 s17, s17, s33
	s_mul_hi_u32 s40, s7, s33
	s_add_u32 s17, s37, s17
	s_addc_u32 s37, 0, s38
	s_add_u32 s17, s17, s36
	s_mul_i32 s33, s7, s33
	s_addc_u32 s17, s37, s39
	s_addc_u32 s36, s40, 0
	s_add_u32 s17, s17, s33
	s_addc_u32 s33, 0, s36
	v_add_co_u32 v1, s17, v1, s17
	s_delay_alu instid0(VALU_DEP_1) | instskip(SKIP_1) | instid1(VALU_DEP_1)
	s_cmp_lg_u32 s17, 0
	s_addc_u32 s7, s7, s33
	v_readfirstlane_b32 s17, v1
	s_mul_i32 s33, s21, s7
	s_delay_alu instid0(VALU_DEP_1)
	s_mul_hi_u32 s36, s21, s17
	s_mul_i32 s25, s25, s17
	s_add_i32 s33, s36, s33
	s_mul_i32 s21, s21, s17
	s_add_i32 s33, s33, s25
	s_mul_hi_u32 s36, s7, s21
	s_mul_i32 s37, s7, s21
	s_mul_hi_u32 s21, s17, s21
	s_mul_hi_u32 s38, s17, s33
	s_mul_i32 s17, s17, s33
	s_mul_hi_u32 s25, s7, s33
	s_add_u32 s17, s21, s17
	s_addc_u32 s21, 0, s38
	s_add_u32 s17, s17, s37
	s_mul_i32 s33, s7, s33
	s_addc_u32 s17, s21, s36
	s_addc_u32 s21, s25, 0
	s_add_u32 s17, s17, s33
	s_addc_u32 s21, 0, s21
	v_add_co_u32 v1, s17, v1, s17
	s_delay_alu instid0(VALU_DEP_1) | instskip(SKIP_2) | instid1(VALU_DEP_1)
	s_cmp_lg_u32 s17, 0
	s_addc_u32 s7, s7, s21
	s_ashr_i32 s36, s27, 31
	v_readfirstlane_b32 s17, v1
	s_add_u32 s38, s26, s36
	s_mov_b32 s37, s36
	s_addc_u32 s39, s27, s36
	s_delay_alu instid0(SALU_CYCLE_1) | instskip(NEXT) | instid1(SALU_CYCLE_1)
	s_xor_b64 s[38:39], s[38:39], s[36:37]
	s_mul_i32 s25, s38, s7
	s_mul_hi_u32 s33, s38, s17
	s_mul_hi_u32 s21, s38, s7
	;; [unrolled: 1-line block ×3, first 2 shown]
	s_mul_i32 s17, s39, s17
	s_add_u32 s25, s33, s25
	s_addc_u32 s21, 0, s21
	s_mul_hi_u32 s40, s39, s7
	s_add_u32 s17, s25, s17
	s_mul_i32 s7, s39, s7
	s_addc_u32 s17, s21, s41
	s_addc_u32 s21, s40, 0
	s_add_u32 s7, s17, s7
	s_addc_u32 s17, 0, s21
	s_mul_hi_u32 s21, s34, s7
	s_mul_i32 s33, s34, s17
	s_mul_i32 s40, s34, s7
	s_add_i32 s21, s21, s33
	v_sub_co_u32 v1, s33, s38, s40
	s_mul_i32 s25, s35, s7
	s_delay_alu instid0(SALU_CYCLE_1) | instskip(NEXT) | instid1(VALU_DEP_1)
	s_add_i32 s21, s21, s25
	v_sub_co_u32 v2, s38, v1, s34
	s_sub_i32 s25, s39, s21
	s_cmp_lg_u32 s33, 0
	s_subb_u32 s25, s25, s35
	s_cmp_lg_u32 s38, 0
	v_readfirstlane_b32 s38, v2
	s_subb_u32 s25, s25, 0
	s_delay_alu instid0(SALU_CYCLE_1) | instskip(SKIP_1) | instid1(VALU_DEP_1)
	s_cmp_ge_u32 s25, s35
	s_cselect_b32 s40, -1, 0
	s_cmp_ge_u32 s38, s34
	s_cselect_b32 s38, -1, 0
	s_cmp_eq_u32 s25, s35
	s_cselect_b32 s25, s38, s40
	s_add_u32 s38, s7, 1
	s_addc_u32 s40, s17, 0
	s_add_u32 s41, s7, 2
	s_addc_u32 s42, s17, 0
	s_cmp_lg_u32 s25, 0
	s_cselect_b32 s25, s41, s38
	s_cselect_b32 s38, s42, s40
	s_cmp_lg_u32 s33, 0
	v_readfirstlane_b32 s33, v1
	s_subb_u32 s21, s39, s21
	s_delay_alu instid0(SALU_CYCLE_1) | instskip(SKIP_1) | instid1(VALU_DEP_1)
	s_cmp_ge_u32 s21, s35
	s_cselect_b32 s39, -1, 0
	s_cmp_ge_u32 s33, s34
	s_cselect_b32 s33, -1, 0
	s_cmp_eq_u32 s21, s35
	s_cselect_b32 s21, s33, s39
	s_delay_alu instid0(SALU_CYCLE_1) | instskip(SKIP_3) | instid1(SALU_CYCLE_1)
	s_cmp_lg_u32 s21, 0
	s_cselect_b32 s35, s38, s17
	s_cselect_b32 s34, s25, s7
	s_xor_b64 s[22:23], s[36:37], s[22:23]
	s_xor_b64 s[34:35], s[34:35], s[22:23]
	s_delay_alu instid0(SALU_CYCLE_1)
	s_sub_u32 s22, s34, s22
	s_subb_u32 s23, s35, s23
	s_and_not1_b32 vcc_lo, exec_lo, s24
	s_cbranch_vccnz .LBB77_7
.LBB77_6:
	v_cvt_f32_u32_e32 v1, s30
	s_sub_i32 s17, 0, s30
	s_mov_b32 s23, 0
	s_delay_alu instid0(VALU_DEP_1) | instskip(SKIP_2) | instid1(VALU_DEP_1)
	v_rcp_iflag_f32_e32 v1, v1
	s_waitcnt_depctr 0xfff
	v_mul_f32_e32 v1, 0x4f7ffffe, v1
	v_cvt_u32_f32_e32 v1, v1
	s_delay_alu instid0(VALU_DEP_1) | instskip(NEXT) | instid1(VALU_DEP_1)
	v_readfirstlane_b32 s7, v1
	s_mul_i32 s17, s17, s7
	s_delay_alu instid0(SALU_CYCLE_1) | instskip(NEXT) | instid1(SALU_CYCLE_1)
	s_mul_hi_u32 s17, s7, s17
	s_add_i32 s7, s7, s17
	s_delay_alu instid0(SALU_CYCLE_1) | instskip(NEXT) | instid1(SALU_CYCLE_1)
	s_mul_hi_u32 s7, s26, s7
	s_mul_i32 s17, s7, s30
	s_add_i32 s21, s7, 1
	s_sub_i32 s17, s26, s17
	s_delay_alu instid0(SALU_CYCLE_1)
	s_sub_i32 s22, s17, s30
	s_cmp_ge_u32 s17, s30
	s_cselect_b32 s7, s21, s7
	s_cselect_b32 s17, s22, s17
	s_add_i32 s21, s7, 1
	s_cmp_ge_u32 s17, s30
	s_cselect_b32 s22, s21, s7
.LBB77_7:
	s_load_b64 s[24:25], s[0:1], 0x78
	s_mul_i32 s7, s22, s31
	s_mul_hi_u32 s17, s22, s30
	s_mul_i32 s21, s22, s30
	s_add_i32 s7, s17, s7
	s_mul_i32 s17, s23, s30
	s_mul_i32 s30, s23, s4
	s_add_i32 s17, s7, s17
	s_sub_u32 s7, s26, s21
	s_subb_u32 s17, s27, s17
	s_mul_hi_u32 s27, s22, s4
	s_mul_i32 s31, s22, s4
	s_mul_hi_u32 s26, s7, s5
	s_mul_i32 s17, s17, s5
	s_mul_i32 s23, s7, s5
	s_mov_b32 s33, exec_lo
	v_cmpx_gt_i32_e64 s20, v0
	s_cbranch_execz .LBB77_46
; %bb.8:
	s_load_b32 s35, s[0:1], 0x8c
	s_ashr_i32 s38, s4, 31
	s_ashr_i32 s39, s5, 31
	s_lshl_b64 s[36:37], s[28:29], 1
	s_mul_i32 s28, s22, s38
	s_mul_i32 s29, s7, s39
	s_add_i32 s28, s27, s28
	s_add_i32 s29, s26, s29
	s_ashr_i32 s21, s20, 31
	s_ashr_i32 s40, s6, 31
	s_add_i32 s38, s28, s30
	s_add_i32 s29, s29, s17
	s_waitcnt lgkmcnt(0)
	s_load_b32 s34, s[24:25], 0x0
	s_mul_i32 s9, s9, s16
	v_lshlrev_b32_e32 v1, 3, v0
	v_mov_b32_e32 v17, v0
	s_and_b32 s28, s35, 0xffff
	s_add_u32 s2, s2, s36
	s_addc_u32 s35, s3, s37
	s_lshl_b32 s3, s28, 1
	s_lshl_b64 s[36:37], s[20:21], 1
	v_add_co_u32 v11, s2, s2, v3
	s_add_u32 s21, s31, s23
	v_add_co_ci_u32_e64 v12, null, s35, 0, s2
	s_addc_u32 s2, s38, s29
	s_add_u32 s29, s18, s6
	s_addc_u32 s35, s19, s40
	s_add_u32 s21, s29, s21
	s_mul_hi_u32 s29, s8, s16
	s_addc_u32 s2, s35, s2
	s_add_i32 s9, s29, s9
	s_mul_i32 s8, s8, s16
	v_add_co_u32 v2, s21, s21, v3
	s_lshl_b64 s[8:9], s[8:9], 2
	v_add_co_ci_u32_e64 v3, null, s2, 0, s21
	s_add_u32 s2, s12, s8
	v_add_co_u32 v13, vcc_lo, v11, s36
	s_addc_u32 s8, s13, s9
	v_add_co_u32 v1, s2, s2, v1
	v_add_co_ci_u32_e32 v14, vcc_lo, s37, v12, vcc_lo
	v_add_co_ci_u32_e64 v4, null, s8, 0, s2
	v_add_co_u32 v15, vcc_lo, v2, 1
	v_add_co_ci_u32_e32 v16, vcc_lo, 0, v3, vcc_lo
	v_add_co_u32 v1, vcc_lo, v1, 4
	s_delay_alu instid0(VALU_DEP_4)
	v_add_co_ci_u32_e32 v2, vcc_lo, 0, v4, vcc_lo
	v_mov_b32_e32 v4, 0
	s_mov_b32 s12, 0
	s_lshl_b32 s13, s28, 3
	s_mov_b64 s[8:9], 0
	s_branch .LBB77_10
.LBB77_9:                               ;   in Loop: Header=BB77_10 Depth=1
	s_or_b32 exec_lo, exec_lo, s2
	v_add_nc_u32_e32 v17, s28, v17
	v_add_co_u32 v1, s2, v1, s13
	s_delay_alu instid0(VALU_DEP_1) | instskip(NEXT) | instid1(VALU_DEP_3)
	v_add_co_ci_u32_e64 v2, s2, 0, v2, s2
	v_cmp_le_i32_e32 vcc_lo, s20, v17
	s_add_u32 s8, s8, s3
	s_addc_u32 s9, s9, 0
	global_store_b8 v[5:6], v9, off
	s_or_b32 s12, vcc_lo, s12
	s_delay_alu instid0(SALU_CYCLE_1)
	s_and_not1_b32 exec_lo, exec_lo, s12
	s_cbranch_execz .LBB77_46
.LBB77_10:                              ; =>This Inner Loop Header: Depth=1
	v_add_co_u32 v5, vcc_lo, v13, s8
	v_add_co_ci_u32_e32 v6, vcc_lo, s9, v14, vcc_lo
	v_add_co_u32 v7, vcc_lo, v11, s8
	v_add_co_ci_u32_e32 v8, vcc_lo, s9, v12, vcc_lo
	s_mov_b32 s2, exec_lo
	s_clause 0x1
	global_load_u16 v3, v[5:6], off
	global_load_u16 v5, v[7:8], off
	global_load_b64 v[18:19], v[1:2], off offset:-4
	s_waitcnt vmcnt(2)
	v_lshlrev_b32_e32 v3, 16, v3
	s_waitcnt vmcnt(0)
	s_delay_alu instid0(VALU_DEP_1) | instskip(NEXT) | instid1(VALU_DEP_1)
	v_dual_mul_f32 v5, v19, v3 :: v_dual_lshlrev_b32 v8, 16, v5
	v_fma_f32 v5, v18, v8, -v5
	s_delay_alu instid0(VALU_DEP_1) | instskip(SKIP_1) | instid1(VALU_DEP_1)
	v_cvt_f32_f16_e32 v6, v5
	s_waitcnt lgkmcnt(0)
	v_div_scale_f32 v7, null, s34, s34, v6
	s_delay_alu instid0(VALU_DEP_1) | instskip(SKIP_2) | instid1(VALU_DEP_1)
	v_rcp_f32_e32 v9, v7
	s_waitcnt_depctr 0xfff
	v_fma_f32 v10, -v7, v9, 1.0
	v_fmac_f32_e32 v9, v10, v9
	v_div_scale_f32 v10, vcc_lo, v6, s34, v6
	s_delay_alu instid0(VALU_DEP_1) | instskip(NEXT) | instid1(VALU_DEP_1)
	v_mul_f32_e32 v20, v10, v9
	v_fma_f32 v21, -v7, v20, v10
	s_delay_alu instid0(VALU_DEP_1) | instskip(NEXT) | instid1(VALU_DEP_1)
	v_dual_fmac_f32 v20, v21, v9 :: v_dual_mov_b32 v21, v4
	v_fma_f32 v7, -v7, v20, v10
	s_delay_alu instid0(VALU_DEP_1) | instskip(NEXT) | instid1(VALU_DEP_1)
	v_div_fmas_f32 v7, v7, v9, v20
	v_div_fixup_f32 v6, v7, s34, v6
	s_delay_alu instid0(VALU_DEP_1) | instskip(NEXT) | instid1(VALU_DEP_1)
	v_cvt_f16_f32_e32 v6, v6
	v_cvt_f32_f16_e32 v7, v6
	v_mul_f32_e32 v6, v18, v3
	s_delay_alu instid0(VALU_DEP_2) | instskip(SKIP_1) | instid1(VALU_DEP_3)
	v_lshrrev_b32_e32 v9, 24, v7
	v_and_b32_e32 v20, 0x7f800000, v7
	v_dual_fmac_f32 v6, v19, v8 :: v_dual_and_b32 v3, 0x7fffff, v7
	s_delay_alu instid0(VALU_DEP_3)
	v_and_b32_e32 v18, 0x80, v9
	global_store_b64 v[1:2], v[5:6], off offset:-4
	v_or_b32_e32 v8, 0x7e, v18
	v_cmpx_ne_u64_e32 0x7f800000, v[20:21]
	s_xor_b32 s21, exec_lo, s2
	s_cbranch_execz .LBB77_26
; %bb.11:                               ;   in Loop: Header=BB77_10 Depth=1
	v_dual_mov_b32 v10, v4 :: v_dual_and_b32 v9, 0x7fffffff, v7
	s_mov_b32 s2, exec_lo
	s_delay_alu instid0(VALU_DEP_1)
	v_cmpx_gt_u64_e32 0x43e00001, v[9:10]
	s_xor_b32 s29, exec_lo, s2
	s_cbranch_execz .LBB77_25
; %bb.12:                               ;   in Loop: Header=BB77_10 Depth=1
	v_mov_b32_e32 v8, 0
	s_mov_b32 s35, exec_lo
	v_cmpx_ne_u32_e32 0, v7
	s_cbranch_execz .LBB77_24
; %bb.13:                               ;   in Loop: Header=BB77_10 Depth=1
	v_bfe_u32 v5, v7, 23, 8
	v_or_b32_e32 v9, 0x800000, v3
	s_delay_alu instid0(VALU_DEP_2) | instskip(SKIP_1) | instid1(VALU_DEP_2)
	v_sub_nc_u32_e32 v7, 0x79, v5
	v_cmp_gt_u32_e32 vcc_lo, 0x7a, v5
	v_cndmask_b32_e32 v7, 0, v7, vcc_lo
	v_cmp_eq_u32_e32 vcc_lo, 0, v5
	s_delay_alu instid0(VALU_DEP_2) | instskip(SKIP_1) | instid1(VALU_DEP_2)
	v_cndmask_b32_e64 v19, v7, 0x78, vcc_lo
	v_cndmask_b32_e32 v3, v9, v3, vcc_lo
	v_add_nc_u32_e32 v7, 20, v19
	v_add_nc_u32_e32 v9, 19, v19
	s_delay_alu instid0(VALU_DEP_2) | instskip(NEXT) | instid1(VALU_DEP_2)
	v_lshlrev_b64 v[7:8], v7, -1
	v_lshlrev_b64 v[9:10], v9, 1
	s_delay_alu instid0(VALU_DEP_2) | instskip(NEXT) | instid1(VALU_DEP_3)
	v_not_b32_e32 v8, v8
	v_not_b32_e32 v7, v7
	s_delay_alu instid0(VALU_DEP_2) | instskip(NEXT) | instid1(VALU_DEP_2)
	v_and_b32_e32 v21, 0, v8
	v_and_b32_e32 v20, v3, v7
	v_lshrrev_b64 v[7:8], v19, v[3:4]
	s_delay_alu instid0(VALU_DEP_2) | instskip(NEXT) | instid1(VALU_DEP_2)
	v_cmp_eq_u64_e64 s2, v[20:21], v[9:10]
	v_dual_mov_b32 v10, v8 :: v_dual_mov_b32 v9, v7
	s_delay_alu instid0(VALU_DEP_2)
	s_and_saveexec_b32 s36, s2
; %bb.14:                               ;   in Loop: Header=BB77_10 Depth=1
	v_bfe_u32 v3, v7, 20, 1
	s_delay_alu instid0(VALU_DEP_1) | instskip(NEXT) | instid1(VALU_DEP_1)
	v_add_co_u32 v3, s2, v7, v3
	v_add_co_u32 v9, s2, v3, -1
; %bb.15:                               ;   in Loop: Header=BB77_10 Depth=1
	s_or_b32 exec_lo, exec_lo, s36
	v_add_nc_u32_e32 v3, 0xffffff81, v5
	v_lshrrev_b32_e32 v5, 23, v7
	s_mov_b32 s2, exec_lo
	s_delay_alu instid0(VALU_DEP_2) | instskip(NEXT) | instid1(VALU_DEP_1)
	v_cndmask_b32_e64 v3, v3, 0xffffff82, vcc_lo
	v_add3_u32 v5, v19, v3, v5
	v_and_b32_e32 v3, 0xfffff, v9
	s_delay_alu instid0(VALU_DEP_2) | instskip(NEXT) | instid1(VALU_DEP_2)
	v_add_nc_u32_e32 v9, 6, v5
	v_add_co_u32 v7, vcc_lo, v3, v7
	v_add_co_ci_u32_e32 v8, vcc_lo, 0, v8, vcc_lo
                                        ; implicit-def: $vgpr3
	s_delay_alu instid0(VALU_DEP_3)
	v_cmpx_ne_u32_e32 0, v9
	s_xor_b32 s2, exec_lo, s2
; %bb.16:                               ;   in Loop: Header=BB77_10 Depth=1
	s_delay_alu instid0(VALU_DEP_2) | instskip(SKIP_2) | instid1(VALU_DEP_2)
	v_cmp_lt_u64_e32 vcc_lo, 0xffffff, v[7:8]
	v_add_nc_u32_e32 v3, 7, v5
	v_cndmask_b32_e64 v5, 0, 1, vcc_lo
	v_cndmask_b32_e32 v3, v9, v3, vcc_lo
	s_delay_alu instid0(VALU_DEP_2)
	v_lshrrev_b64 v[7:8], v5, v[7:8]
; %bb.17:                               ;   in Loop: Header=BB77_10 Depth=1
	s_and_not1_saveexec_b32 s2, s2
; %bb.18:                               ;   in Loop: Header=BB77_10 Depth=1
	s_delay_alu instid0(VALU_DEP_1)
	v_bfe_u32 v3, v7, 23, 1
; %bb.19:                               ;   in Loop: Header=BB77_10 Depth=1
	s_or_b32 exec_lo, exec_lo, s2
	s_delay_alu instid0(VALU_DEP_2) | instskip(NEXT) | instid1(VALU_DEP_2)
	v_lshrrev_b64 v[7:8], 20, v[7:8]
	v_cmp_gt_i32_e32 vcc_lo, 16, v3
	v_cmp_ne_u32_e64 s2, 0, v3
	s_delay_alu instid0(VALU_DEP_3) | instskip(NEXT) | instid1(VALU_DEP_1)
	v_dual_cndmask_b32 v8, 0, v8 :: v_dual_cndmask_b32 v7, 7, v7
	v_cmp_ne_u64_e32 vcc_lo, 0, v[7:8]
                                        ; implicit-def: $vgpr8
	s_delay_alu instid0(VALU_DEP_3) | instskip(NEXT) | instid1(SALU_CYCLE_1)
	s_or_b32 s2, s2, vcc_lo
	s_and_saveexec_b32 s36, s2
	s_delay_alu instid0(SALU_CYCLE_1)
	s_xor_b32 s2, exec_lo, s36
; %bb.20:                               ;   in Loop: Header=BB77_10 Depth=1
	v_min_i32_e32 v3, 15, v3
	s_delay_alu instid0(VALU_DEP_1) | instskip(NEXT) | instid1(VALU_DEP_1)
	v_lshl_or_b32 v3, v3, 3, v18
                                        ; implicit-def: $vgpr18
	v_and_or_b32 v8, v7, 7, v3
; %bb.21:                               ;   in Loop: Header=BB77_10 Depth=1
	s_and_not1_saveexec_b32 s2, s2
; %bb.22:                               ;   in Loop: Header=BB77_10 Depth=1
	v_mov_b32_e32 v8, v18
; %bb.23:                               ;   in Loop: Header=BB77_10 Depth=1
	s_or_b32 exec_lo, exec_lo, s2
.LBB77_24:                              ;   in Loop: Header=BB77_10 Depth=1
	s_delay_alu instid0(SALU_CYCLE_1)
	s_or_b32 exec_lo, exec_lo, s35
.LBB77_25:                              ;   in Loop: Header=BB77_10 Depth=1
	s_and_not1_saveexec_b32 s2, s29
	s_delay_alu instid0(SALU_CYCLE_1)
	s_or_b32 exec_lo, exec_lo, s2
                                        ; implicit-def: $vgpr9
.LBB77_26:                              ;   in Loop: Header=BB77_10 Depth=1
	s_and_not1_saveexec_b32 s2, s21
; %bb.27:                               ;   in Loop: Header=BB77_10 Depth=1
	v_cmp_eq_u64_e32 vcc_lo, 0, v[3:4]
	v_or_b32_e32 v5, 0x7f, v9
	s_delay_alu instid0(VALU_DEP_1)
	v_cndmask_b32_e32 v8, v5, v8, vcc_lo
; %bb.28:                               ;   in Loop: Header=BB77_10 Depth=1
	s_or_b32 exec_lo, exec_lo, s2
	v_cvt_f32_f16_e32 v3, v6
	s_mov_b32 s2, exec_lo
	v_mov_b32_e32 v20, v4
	s_delay_alu instid0(VALU_DEP_2) | instskip(SKIP_1) | instid1(VALU_DEP_2)
	v_div_scale_f32 v5, null, s34, s34, v3
	v_div_scale_f32 v9, vcc_lo, v3, s34, v3
	v_rcp_f32_e32 v6, v5
	s_waitcnt_depctr 0xfff
	v_fma_f32 v7, -v5, v6, 1.0
	s_delay_alu instid0(VALU_DEP_1) | instskip(NEXT) | instid1(VALU_DEP_1)
	v_fmac_f32_e32 v6, v7, v6
	v_mul_f32_e32 v7, v9, v6
	s_delay_alu instid0(VALU_DEP_1) | instskip(NEXT) | instid1(VALU_DEP_1)
	v_fma_f32 v10, -v5, v7, v9
	v_fmac_f32_e32 v7, v10, v6
	s_delay_alu instid0(VALU_DEP_1) | instskip(NEXT) | instid1(VALU_DEP_1)
	v_fma_f32 v5, -v5, v7, v9
	v_div_fmas_f32 v5, v5, v6, v7
	s_delay_alu instid0(VALU_DEP_1) | instskip(SKIP_2) | instid1(VALU_DEP_3)
	v_div_fixup_f32 v3, v5, s34, v3
	v_add_co_u32 v5, vcc_lo, v15, s8
	v_add_co_ci_u32_e32 v6, vcc_lo, s9, v16, vcc_lo
	v_cvt_f16_f32_e32 v3, v3
	global_store_b8 v[5:6], v8, off offset:-1
	v_cvt_f32_f16_e32 v7, v3
	s_delay_alu instid0(VALU_DEP_1) | instskip(SKIP_2) | instid1(VALU_DEP_3)
	v_lshrrev_b32_e32 v10, 24, v7
	v_and_b32_e32 v19, 0x7f800000, v7
	v_and_b32_e32 v3, 0x7fffff, v7
	;; [unrolled: 1-line block ×3, first 2 shown]
	s_delay_alu instid0(VALU_DEP_1) | instskip(NEXT) | instid1(VALU_DEP_4)
	v_or_b32_e32 v9, 0x7e, v18
	v_cmpx_ne_u64_e32 0x7f800000, v[19:20]
	s_xor_b32 s21, exec_lo, s2
	s_cbranch_execz .LBB77_44
; %bb.29:                               ;   in Loop: Header=BB77_10 Depth=1
	v_dual_mov_b32 v20, v4 :: v_dual_and_b32 v19, 0x7fffffff, v7
	s_mov_b32 s2, exec_lo
	s_delay_alu instid0(VALU_DEP_1)
	v_cmpx_gt_u64_e32 0x43e00001, v[19:20]
	s_xor_b32 s29, exec_lo, s2
	s_cbranch_execz .LBB77_43
; %bb.30:                               ;   in Loop: Header=BB77_10 Depth=1
	v_mov_b32_e32 v9, 0
	s_mov_b32 s35, exec_lo
	v_cmpx_ne_u32_e32 0, v7
	s_cbranch_execz .LBB77_42
; %bb.31:                               ;   in Loop: Header=BB77_10 Depth=1
	v_bfe_u32 v19, v7, 23, 8
	v_or_b32_e32 v9, 0x800000, v3
	s_delay_alu instid0(VALU_DEP_2) | instskip(SKIP_1) | instid1(VALU_DEP_2)
	v_sub_nc_u32_e32 v7, 0x79, v19
	v_cmp_gt_u32_e32 vcc_lo, 0x7a, v19
	v_cndmask_b32_e32 v7, 0, v7, vcc_lo
	v_cmp_eq_u32_e32 vcc_lo, 0, v19
	s_delay_alu instid0(VALU_DEP_2) | instskip(SKIP_1) | instid1(VALU_DEP_2)
	v_cndmask_b32_e64 v20, v7, 0x78, vcc_lo
	v_cndmask_b32_e32 v3, v9, v3, vcc_lo
	v_add_nc_u32_e32 v7, 20, v20
	v_add_nc_u32_e32 v9, 19, v20
	s_delay_alu instid0(VALU_DEP_2) | instskip(NEXT) | instid1(VALU_DEP_2)
	v_lshlrev_b64 v[7:8], v7, -1
	v_lshlrev_b64 v[9:10], v9, 1
	s_delay_alu instid0(VALU_DEP_2) | instskip(NEXT) | instid1(VALU_DEP_3)
	v_not_b32_e32 v8, v8
	v_not_b32_e32 v7, v7
	s_delay_alu instid0(VALU_DEP_2) | instskip(NEXT) | instid1(VALU_DEP_2)
	v_and_b32_e32 v22, 0, v8
	v_and_b32_e32 v21, v3, v7
	v_lshrrev_b64 v[7:8], v20, v[3:4]
	s_delay_alu instid0(VALU_DEP_2) | instskip(NEXT) | instid1(VALU_DEP_2)
	v_cmp_eq_u64_e64 s2, v[21:22], v[9:10]
	v_dual_mov_b32 v10, v8 :: v_dual_mov_b32 v9, v7
	s_delay_alu instid0(VALU_DEP_2)
	s_and_saveexec_b32 s36, s2
; %bb.32:                               ;   in Loop: Header=BB77_10 Depth=1
	v_bfe_u32 v3, v7, 20, 1
	s_delay_alu instid0(VALU_DEP_1) | instskip(NEXT) | instid1(VALU_DEP_1)
	v_add_co_u32 v3, s2, v7, v3
	v_add_co_u32 v9, s2, v3, -1
; %bb.33:                               ;   in Loop: Header=BB77_10 Depth=1
	s_or_b32 exec_lo, exec_lo, s36
	v_add_nc_u32_e32 v3, 0xffffff81, v19
	v_lshrrev_b32_e32 v10, 23, v7
	s_mov_b32 s2, exec_lo
	s_delay_alu instid0(VALU_DEP_2) | instskip(NEXT) | instid1(VALU_DEP_1)
	v_cndmask_b32_e64 v3, v3, 0xffffff82, vcc_lo
	v_add3_u32 v10, v20, v3, v10
	v_and_b32_e32 v3, 0xfffff, v9
	s_delay_alu instid0(VALU_DEP_2) | instskip(NEXT) | instid1(VALU_DEP_2)
	v_add_nc_u32_e32 v9, 6, v10
	v_add_co_u32 v7, vcc_lo, v3, v7
	v_add_co_ci_u32_e32 v8, vcc_lo, 0, v8, vcc_lo
                                        ; implicit-def: $vgpr3
	s_delay_alu instid0(VALU_DEP_3)
	v_cmpx_ne_u32_e32 0, v9
	s_xor_b32 s2, exec_lo, s2
; %bb.34:                               ;   in Loop: Header=BB77_10 Depth=1
	s_delay_alu instid0(VALU_DEP_2) | instskip(SKIP_1) | instid1(VALU_DEP_1)
	v_cmp_lt_u64_e32 vcc_lo, 0xffffff, v[7:8]
	v_add_nc_u32_e32 v3, 7, v10
	v_cndmask_b32_e32 v3, v9, v3, vcc_lo
	v_cndmask_b32_e64 v9, 0, 1, vcc_lo
	s_delay_alu instid0(VALU_DEP_1)
	v_lshrrev_b64 v[7:8], v9, v[7:8]
; %bb.35:                               ;   in Loop: Header=BB77_10 Depth=1
	s_and_not1_saveexec_b32 s2, s2
; %bb.36:                               ;   in Loop: Header=BB77_10 Depth=1
	s_delay_alu instid0(VALU_DEP_1)
	v_bfe_u32 v3, v7, 23, 1
; %bb.37:                               ;   in Loop: Header=BB77_10 Depth=1
	s_or_b32 exec_lo, exec_lo, s2
	s_delay_alu instid0(VALU_DEP_2) | instskip(NEXT) | instid1(VALU_DEP_2)
	v_lshrrev_b64 v[7:8], 20, v[7:8]
	v_cmp_gt_i32_e32 vcc_lo, 16, v3
	v_cmp_ne_u32_e64 s2, 0, v3
                                        ; implicit-def: $vgpr9
	s_delay_alu instid0(VALU_DEP_3) | instskip(NEXT) | instid1(VALU_DEP_1)
	v_dual_cndmask_b32 v8, 0, v8 :: v_dual_cndmask_b32 v7, 7, v7
	v_cmp_ne_u64_e32 vcc_lo, 0, v[7:8]
	s_delay_alu instid0(VALU_DEP_3) | instskip(NEXT) | instid1(SALU_CYCLE_1)
	s_or_b32 s2, s2, vcc_lo
	s_and_saveexec_b32 s36, s2
	s_delay_alu instid0(SALU_CYCLE_1)
	s_xor_b32 s2, exec_lo, s36
; %bb.38:                               ;   in Loop: Header=BB77_10 Depth=1
	v_min_i32_e32 v3, 15, v3
	s_delay_alu instid0(VALU_DEP_1) | instskip(NEXT) | instid1(VALU_DEP_1)
	v_lshl_or_b32 v3, v3, 3, v18
                                        ; implicit-def: $vgpr18
	v_and_or_b32 v9, v7, 7, v3
; %bb.39:                               ;   in Loop: Header=BB77_10 Depth=1
	s_and_not1_saveexec_b32 s2, s2
; %bb.40:                               ;   in Loop: Header=BB77_10 Depth=1
	v_mov_b32_e32 v9, v18
; %bb.41:                               ;   in Loop: Header=BB77_10 Depth=1
	s_or_b32 exec_lo, exec_lo, s2
.LBB77_42:                              ;   in Loop: Header=BB77_10 Depth=1
	s_delay_alu instid0(SALU_CYCLE_1)
	s_or_b32 exec_lo, exec_lo, s35
.LBB77_43:                              ;   in Loop: Header=BB77_10 Depth=1
	s_and_not1_saveexec_b32 s2, s29
	s_delay_alu instid0(SALU_CYCLE_1)
	s_or_b32 exec_lo, exec_lo, s2
                                        ; implicit-def: $vgpr10
.LBB77_44:                              ;   in Loop: Header=BB77_10 Depth=1
	s_and_not1_saveexec_b32 s2, s21
	s_cbranch_execz .LBB77_9
; %bb.45:                               ;   in Loop: Header=BB77_10 Depth=1
	v_cmp_eq_u64_e32 vcc_lo, 0, v[3:4]
	v_or_b32_e32 v7, 0x7f, v10
	s_delay_alu instid0(VALU_DEP_1)
	v_cndmask_b32_e32 v9, v7, v9, vcc_lo
	s_branch .LBB77_9
.LBB77_46:
	s_or_b32 exec_lo, exec_lo, s33
	s_delay_alu instid0(SALU_CYCLE_1)
	s_mov_b32 s2, exec_lo
	v_cmpx_gt_i32_e64 s6, v0
	s_cbranch_execz .LBB77_67
; %bb.47:
	s_mul_i32 s3, s16, s11
	s_mul_hi_u32 s8, s16, s10
	s_mul_i32 s2, s16, s10
	s_add_i32 s3, s8, s3
	s_load_b32 s0, s[0:1], 0x8c
	s_lshl_b64 s[2:3], s[2:3], 2
	v_mov_b32_e32 v3, 0
	s_add_u32 s1, s14, s2
	s_addc_u32 s2, s15, s3
	s_waitcnt lgkmcnt(0)
	s_load_b32 s3, s[24:25], 0x0
	s_ashr_i32 s4, s4, 31
	s_delay_alu instid0(SALU_CYCLE_1) | instskip(NEXT) | instid1(SALU_CYCLE_1)
	s_mul_i32 s4, s22, s4
	s_add_i32 s4, s27, s4
	s_delay_alu instid0(SALU_CYCLE_1) | instskip(SKIP_3) | instid1(SALU_CYCLE_1)
	s_add_i32 s4, s4, s30
	s_add_u32 s8, s18, s31
	s_addc_u32 s9, s19, s4
	s_ashr_i32 s4, s5, 31
	s_mul_i32 s7, s7, s4
	s_delay_alu instid0(SALU_CYCLE_1) | instskip(NEXT) | instid1(SALU_CYCLE_1)
	s_add_i32 s4, s26, s7
	s_add_i32 s5, s4, s17
	s_add_u32 s4, s8, s23
	s_addc_u32 s5, s9, s5
	s_and_b32 s7, s0, 0xffff
	s_mov_b32 s8, 0
	s_branch .LBB77_49
.LBB77_48:                              ;   in Loop: Header=BB77_49 Depth=1
	s_or_b32 exec_lo, exec_lo, s0
	v_add_co_u32 v6, vcc_lo, s4, v0
	v_add_nc_u32_e32 v0, s7, v0
	v_add_co_ci_u32_e32 v7, vcc_lo, s5, v1, vcc_lo
	s_delay_alu instid0(VALU_DEP_2) | instskip(SKIP_2) | instid1(SALU_CYCLE_1)
	v_cmp_le_i32_e32 vcc_lo, s6, v0
	global_store_b8 v[6:7], v5, off
	s_or_b32 s8, vcc_lo, s8
	s_and_not1_b32 exec_lo, exec_lo, s8
	s_cbranch_execz .LBB77_67
.LBB77_49:                              ; =>This Inner Loop Header: Depth=1
	v_ashrrev_i32_e32 v1, 31, v0
	s_mov_b32 s0, exec_lo
	v_mov_b32_e32 v10, v3
	s_delay_alu instid0(VALU_DEP_2) | instskip(NEXT) | instid1(VALU_DEP_1)
	v_lshlrev_b64 v[4:5], 2, v[0:1]
	v_add_co_u32 v4, vcc_lo, s1, v4
	s_delay_alu instid0(VALU_DEP_2) | instskip(SKIP_4) | instid1(VALU_DEP_1)
	v_add_co_ci_u32_e32 v5, vcc_lo, s2, v5, vcc_lo
	global_load_u16 v2, v[4:5], off
	s_waitcnt vmcnt(0)
	v_cvt_f32_f16_e32 v2, v2
	s_waitcnt lgkmcnt(0)
	v_div_scale_f32 v4, null, s3, s3, v2
	s_delay_alu instid0(VALU_DEP_1) | instskip(SKIP_2) | instid1(VALU_DEP_1)
	v_rcp_f32_e32 v5, v4
	s_waitcnt_depctr 0xfff
	v_fma_f32 v6, -v4, v5, 1.0
	v_fmac_f32_e32 v5, v6, v5
	v_div_scale_f32 v6, vcc_lo, v2, s3, v2
	s_delay_alu instid0(VALU_DEP_1) | instskip(NEXT) | instid1(VALU_DEP_1)
	v_mul_f32_e32 v7, v6, v5
	v_fma_f32 v8, -v4, v7, v6
	s_delay_alu instid0(VALU_DEP_1) | instskip(NEXT) | instid1(VALU_DEP_1)
	v_fmac_f32_e32 v7, v8, v5
	v_fma_f32 v4, -v4, v7, v6
	s_delay_alu instid0(VALU_DEP_1) | instskip(NEXT) | instid1(VALU_DEP_1)
	v_div_fmas_f32 v4, v4, v5, v7
	v_div_fixup_f32 v2, v4, s3, v2
	s_delay_alu instid0(VALU_DEP_1) | instskip(NEXT) | instid1(VALU_DEP_1)
	v_cvt_f16_f32_e32 v2, v2
	v_cvt_f32_f16_e32 v4, v2
	s_delay_alu instid0(VALU_DEP_1) | instskip(SKIP_2) | instid1(VALU_DEP_2)
	v_and_b32_e32 v2, 0x7fffff, v4
	v_lshrrev_b32_e32 v6, 24, v4
	v_and_b32_e32 v9, 0x7f800000, v4
	v_and_b32_e32 v8, 0x80, v6
	s_delay_alu instid0(VALU_DEP_1) | instskip(NEXT) | instid1(VALU_DEP_3)
	v_or_b32_e32 v5, 0x7e, v8
	v_cmpx_ne_u64_e32 0x7f800000, v[9:10]
	s_xor_b32 s9, exec_lo, s0
	s_cbranch_execz .LBB77_65
; %bb.50:                               ;   in Loop: Header=BB77_49 Depth=1
	v_dual_mov_b32 v7, v3 :: v_dual_and_b32 v6, 0x7fffffff, v4
	s_mov_b32 s0, exec_lo
	s_delay_alu instid0(VALU_DEP_1)
	v_cmpx_gt_u64_e32 0x43e00001, v[6:7]
	s_xor_b32 s10, exec_lo, s0
	s_cbranch_execz .LBB77_64
; %bb.51:                               ;   in Loop: Header=BB77_49 Depth=1
	v_mov_b32_e32 v5, 0
	s_mov_b32 s11, exec_lo
	v_cmpx_ne_u32_e32 0, v4
	s_cbranch_execz .LBB77_63
; %bb.52:                               ;   in Loop: Header=BB77_49 Depth=1
	v_bfe_u32 v9, v4, 23, 8
	v_or_b32_e32 v6, 0x800000, v2
	s_delay_alu instid0(VALU_DEP_2) | instskip(SKIP_1) | instid1(VALU_DEP_2)
	v_sub_nc_u32_e32 v4, 0x79, v9
	v_cmp_gt_u32_e32 vcc_lo, 0x7a, v9
	v_cndmask_b32_e32 v4, 0, v4, vcc_lo
	v_cmp_eq_u32_e32 vcc_lo, 0, v9
	s_delay_alu instid0(VALU_DEP_2) | instskip(SKIP_1) | instid1(VALU_DEP_2)
	v_cndmask_b32_e64 v10, v4, 0x78, vcc_lo
	v_cndmask_b32_e32 v2, v6, v2, vcc_lo
	v_add_nc_u32_e32 v4, 20, v10
	v_add_nc_u32_e32 v6, 19, v10
	s_delay_alu instid0(VALU_DEP_2) | instskip(NEXT) | instid1(VALU_DEP_2)
	v_lshlrev_b64 v[4:5], v4, -1
	v_lshlrev_b64 v[6:7], v6, 1
	s_delay_alu instid0(VALU_DEP_2) | instskip(NEXT) | instid1(VALU_DEP_3)
	v_not_b32_e32 v5, v5
	v_not_b32_e32 v4, v4
	s_delay_alu instid0(VALU_DEP_2) | instskip(NEXT) | instid1(VALU_DEP_2)
	v_and_b32_e32 v12, 0, v5
	v_and_b32_e32 v11, v2, v4
	v_lshrrev_b64 v[4:5], v10, v[2:3]
	s_delay_alu instid0(VALU_DEP_2) | instskip(NEXT) | instid1(VALU_DEP_2)
	v_cmp_eq_u64_e64 s0, v[11:12], v[6:7]
	v_dual_mov_b32 v7, v5 :: v_dual_mov_b32 v6, v4
	s_delay_alu instid0(VALU_DEP_2)
	s_and_saveexec_b32 s12, s0
; %bb.53:                               ;   in Loop: Header=BB77_49 Depth=1
	v_bfe_u32 v2, v4, 20, 1
	s_delay_alu instid0(VALU_DEP_1) | instskip(NEXT) | instid1(VALU_DEP_1)
	v_add_co_u32 v2, s0, v4, v2
	v_add_co_u32 v6, s0, v2, -1
; %bb.54:                               ;   in Loop: Header=BB77_49 Depth=1
	s_or_b32 exec_lo, exec_lo, s12
	v_add_nc_u32_e32 v2, 0xffffff81, v9
	v_lshrrev_b32_e32 v7, 23, v4
	s_mov_b32 s0, exec_lo
	s_delay_alu instid0(VALU_DEP_2) | instskip(NEXT) | instid1(VALU_DEP_1)
	v_cndmask_b32_e64 v2, v2, 0xffffff82, vcc_lo
	v_add3_u32 v7, v10, v2, v7
	v_and_b32_e32 v2, 0xfffff, v6
	s_delay_alu instid0(VALU_DEP_2) | instskip(NEXT) | instid1(VALU_DEP_2)
	v_add_nc_u32_e32 v6, 6, v7
	v_add_co_u32 v4, vcc_lo, v2, v4
	v_add_co_ci_u32_e32 v5, vcc_lo, 0, v5, vcc_lo
                                        ; implicit-def: $vgpr2
	s_delay_alu instid0(VALU_DEP_3)
	v_cmpx_ne_u32_e32 0, v6
	s_xor_b32 s0, exec_lo, s0
; %bb.55:                               ;   in Loop: Header=BB77_49 Depth=1
	s_delay_alu instid0(VALU_DEP_2) | instskip(SKIP_1) | instid1(VALU_DEP_1)
	v_cmp_lt_u64_e32 vcc_lo, 0xffffff, v[4:5]
	v_add_nc_u32_e32 v2, 7, v7
	v_cndmask_b32_e32 v2, v6, v2, vcc_lo
	v_cndmask_b32_e64 v6, 0, 1, vcc_lo
	s_delay_alu instid0(VALU_DEP_1)
	v_lshrrev_b64 v[4:5], v6, v[4:5]
; %bb.56:                               ;   in Loop: Header=BB77_49 Depth=1
	s_and_not1_saveexec_b32 s0, s0
; %bb.57:                               ;   in Loop: Header=BB77_49 Depth=1
	s_delay_alu instid0(VALU_DEP_1)
	v_bfe_u32 v2, v4, 23, 1
; %bb.58:                               ;   in Loop: Header=BB77_49 Depth=1
	s_or_b32 exec_lo, exec_lo, s0
	s_delay_alu instid0(VALU_DEP_2) | instskip(NEXT) | instid1(VALU_DEP_2)
	v_lshrrev_b64 v[4:5], 20, v[4:5]
	v_cmp_gt_i32_e32 vcc_lo, 16, v2
	v_cmp_ne_u32_e64 s0, 0, v2
	s_delay_alu instid0(VALU_DEP_3) | instskip(NEXT) | instid1(VALU_DEP_1)
	v_dual_cndmask_b32 v5, 0, v5 :: v_dual_cndmask_b32 v4, 7, v4
	v_cmp_ne_u64_e32 vcc_lo, 0, v[4:5]
                                        ; implicit-def: $vgpr5
	s_delay_alu instid0(VALU_DEP_3) | instskip(NEXT) | instid1(SALU_CYCLE_1)
	s_or_b32 s0, s0, vcc_lo
	s_and_saveexec_b32 s12, s0
	s_delay_alu instid0(SALU_CYCLE_1)
	s_xor_b32 s0, exec_lo, s12
; %bb.59:                               ;   in Loop: Header=BB77_49 Depth=1
	v_min_i32_e32 v2, 15, v2
	s_delay_alu instid0(VALU_DEP_1) | instskip(NEXT) | instid1(VALU_DEP_1)
	v_lshl_or_b32 v2, v2, 3, v8
                                        ; implicit-def: $vgpr8
	v_and_or_b32 v5, v4, 7, v2
; %bb.60:                               ;   in Loop: Header=BB77_49 Depth=1
	s_and_not1_saveexec_b32 s0, s0
; %bb.61:                               ;   in Loop: Header=BB77_49 Depth=1
	v_mov_b32_e32 v5, v8
; %bb.62:                               ;   in Loop: Header=BB77_49 Depth=1
	s_or_b32 exec_lo, exec_lo, s0
.LBB77_63:                              ;   in Loop: Header=BB77_49 Depth=1
	s_delay_alu instid0(SALU_CYCLE_1)
	s_or_b32 exec_lo, exec_lo, s11
.LBB77_64:                              ;   in Loop: Header=BB77_49 Depth=1
	s_and_not1_saveexec_b32 s0, s10
	s_delay_alu instid0(SALU_CYCLE_1)
	s_or_b32 exec_lo, exec_lo, s0
                                        ; implicit-def: $vgpr6
.LBB77_65:                              ;   in Loop: Header=BB77_49 Depth=1
	s_and_not1_saveexec_b32 s0, s9
	s_cbranch_execz .LBB77_48
; %bb.66:                               ;   in Loop: Header=BB77_49 Depth=1
	v_cmp_eq_u64_e32 vcc_lo, 0, v[2:3]
	v_or_b32_e32 v4, 0x7f, v6
	s_delay_alu instid0(VALU_DEP_1)
	v_cndmask_b32_e32 v5, v4, v5, vcc_lo
	s_branch .LBB77_48
.LBB77_67:
	s_nop 0
	s_sendmsg sendmsg(MSG_DEALLOC_VGPRS)
	s_endpgm
.LBB77_68:
                                        ; implicit-def: $sgpr22_sgpr23
	s_branch .LBB77_6
	.section	.rodata,"a",@progbits
	.p2align	6, 0x0
	.amdhsa_kernel _ZN4vllm38concat_and_cache_mla_rope_fused_kernelIfN3c108BFloat16ELb0EthLNS_18Fp8KVCacheDataTypeE1EEEvPKlPT_S7_PKS6_PKT0_illlliPT3_S5_iiiiPKf
		.amdhsa_group_segment_fixed_size 0
		.amdhsa_private_segment_fixed_size 0
		.amdhsa_kernarg_size 384
		.amdhsa_user_sgpr_count 15
		.amdhsa_user_sgpr_dispatch_ptr 0
		.amdhsa_user_sgpr_queue_ptr 0
		.amdhsa_user_sgpr_kernarg_segment_ptr 1
		.amdhsa_user_sgpr_dispatch_id 0
		.amdhsa_user_sgpr_private_segment_size 0
		.amdhsa_wavefront_size32 1
		.amdhsa_uses_dynamic_stack 0
		.amdhsa_enable_private_segment 0
		.amdhsa_system_sgpr_workgroup_id_x 1
		.amdhsa_system_sgpr_workgroup_id_y 0
		.amdhsa_system_sgpr_workgroup_id_z 0
		.amdhsa_system_sgpr_workgroup_info 0
		.amdhsa_system_vgpr_workitem_id 0
		.amdhsa_next_free_vgpr 23
		.amdhsa_next_free_sgpr 43
		.amdhsa_reserve_vcc 1
		.amdhsa_float_round_mode_32 0
		.amdhsa_float_round_mode_16_64 0
		.amdhsa_float_denorm_mode_32 3
		.amdhsa_float_denorm_mode_16_64 3
		.amdhsa_dx10_clamp 1
		.amdhsa_ieee_mode 1
		.amdhsa_fp16_overflow 0
		.amdhsa_workgroup_processor_mode 1
		.amdhsa_memory_ordered 1
		.amdhsa_forward_progress 0
		.amdhsa_shared_vgpr_count 0
		.amdhsa_exception_fp_ieee_invalid_op 0
		.amdhsa_exception_fp_denorm_src 0
		.amdhsa_exception_fp_ieee_div_zero 0
		.amdhsa_exception_fp_ieee_overflow 0
		.amdhsa_exception_fp_ieee_underflow 0
		.amdhsa_exception_fp_ieee_inexact 0
		.amdhsa_exception_int_div_zero 0
	.end_amdhsa_kernel
	.section	.text._ZN4vllm38concat_and_cache_mla_rope_fused_kernelIfN3c108BFloat16ELb0EthLNS_18Fp8KVCacheDataTypeE1EEEvPKlPT_S7_PKS6_PKT0_illlliPT3_S5_iiiiPKf,"axG",@progbits,_ZN4vllm38concat_and_cache_mla_rope_fused_kernelIfN3c108BFloat16ELb0EthLNS_18Fp8KVCacheDataTypeE1EEEvPKlPT_S7_PKS6_PKT0_illlliPT3_S5_iiiiPKf,comdat
.Lfunc_end77:
	.size	_ZN4vllm38concat_and_cache_mla_rope_fused_kernelIfN3c108BFloat16ELb0EthLNS_18Fp8KVCacheDataTypeE1EEEvPKlPT_S7_PKS6_PKT0_illlliPT3_S5_iiiiPKf, .Lfunc_end77-_ZN4vllm38concat_and_cache_mla_rope_fused_kernelIfN3c108BFloat16ELb0EthLNS_18Fp8KVCacheDataTypeE1EEEvPKlPT_S7_PKS6_PKT0_illlliPT3_S5_iiiiPKf
                                        ; -- End function
	.section	.AMDGPU.csdata,"",@progbits
; Kernel info:
; codeLenInByte = 4412
; NumSgprs: 45
; NumVgprs: 23
; ScratchSize: 0
; MemoryBound: 0
; FloatMode: 240
; IeeeMode: 1
; LDSByteSize: 0 bytes/workgroup (compile time only)
; SGPRBlocks: 5
; VGPRBlocks: 2
; NumSGPRsForWavesPerEU: 45
; NumVGPRsForWavesPerEU: 23
; Occupancy: 16
; WaveLimiterHint : 1
; COMPUTE_PGM_RSRC2:SCRATCH_EN: 0
; COMPUTE_PGM_RSRC2:USER_SGPR: 15
; COMPUTE_PGM_RSRC2:TRAP_HANDLER: 0
; COMPUTE_PGM_RSRC2:TGID_X_EN: 1
; COMPUTE_PGM_RSRC2:TGID_Y_EN: 0
; COMPUTE_PGM_RSRC2:TGID_Z_EN: 0
; COMPUTE_PGM_RSRC2:TIDIG_COMP_CNT: 0
	.section	.text._ZN4vllm38concat_and_cache_mla_rope_fused_kernelIN3c104HalfEfLb1EthLNS_18Fp8KVCacheDataTypeE1EEEvPKlPT_S7_PKS6_PKT0_illlliPT3_S5_iiiiPKf,"axG",@progbits,_ZN4vllm38concat_and_cache_mla_rope_fused_kernelIN3c104HalfEfLb1EthLNS_18Fp8KVCacheDataTypeE1EEEvPKlPT_S7_PKS6_PKT0_illlliPT3_S5_iiiiPKf,comdat
	.protected	_ZN4vllm38concat_and_cache_mla_rope_fused_kernelIN3c104HalfEfLb1EthLNS_18Fp8KVCacheDataTypeE1EEEvPKlPT_S7_PKS6_PKT0_illlliPT3_S5_iiiiPKf ; -- Begin function _ZN4vllm38concat_and_cache_mla_rope_fused_kernelIN3c104HalfEfLb1EthLNS_18Fp8KVCacheDataTypeE1EEEvPKlPT_S7_PKS6_PKT0_illlliPT3_S5_iiiiPKf
	.globl	_ZN4vllm38concat_and_cache_mla_rope_fused_kernelIN3c104HalfEfLb1EthLNS_18Fp8KVCacheDataTypeE1EEEvPKlPT_S7_PKS6_PKT0_illlliPT3_S5_iiiiPKf
	.p2align	8
	.type	_ZN4vllm38concat_and_cache_mla_rope_fused_kernelIN3c104HalfEfLb1EthLNS_18Fp8KVCacheDataTypeE1EEEvPKlPT_S7_PKS6_PKT0_illlliPT3_S5_iiiiPKf,@function
_ZN4vllm38concat_and_cache_mla_rope_fused_kernelIN3c104HalfEfLb1EthLNS_18Fp8KVCacheDataTypeE1EEEvPKlPT_S7_PKS6_PKT0_illlliPT3_S5_iiiiPKf: ; @_ZN4vllm38concat_and_cache_mla_rope_fused_kernelIN3c104HalfEfLb1EthLNS_18Fp8KVCacheDataTypeE1EEEvPKlPT_S7_PKS6_PKT0_illlliPT3_S5_iiiiPKf
; %bb.0:
	s_load_b64 s[4:5], s[0:1], 0x60
	s_mov_b32 s16, s15
	s_mov_b32 s17, 0
	s_delay_alu instid0(SALU_CYCLE_1)
	s_lshl_b64 s[2:3], s[16:17], 3
	s_waitcnt lgkmcnt(0)
	s_add_u32 s4, s4, s2
	s_addc_u32 s5, s5, s3
	s_load_b64 s[28:29], s[4:5], 0x0
	s_waitcnt lgkmcnt(0)
	v_cmp_lt_i64_e64 s4, s[28:29], 0
	s_delay_alu instid0(VALU_DEP_1)
	s_and_b32 vcc_lo, exec_lo, s4
	s_cbranch_vccnz .LBB78_67
; %bb.1:
	s_clause 0x3
	s_load_b32 s21, s[0:1], 0x28
	s_load_b64 s[4:5], s[0:1], 0x0
	s_load_b128 s[12:15], s[0:1], 0x10
	s_load_b32 s17, s[0:1], 0x50
	s_waitcnt lgkmcnt(0)
	s_ashr_i32 s24, s21, 31
	s_add_u32 s2, s4, s2
	s_addc_u32 s3, s5, s3
	s_lshr_b32 s20, s21, 31
	s_load_b64 s[22:23], s[2:3], 0x0
	s_clause 0x2
	s_load_b64 s[2:3], s[0:1], 0x20
	s_load_b64 s[18:19], s[0:1], 0x58
	s_load_b256 s[4:11], s[0:1], 0x30
	s_add_i32 s20, s21, s20
	s_delay_alu instid0(SALU_CYCLE_1) | instskip(NEXT) | instid1(SALU_CYCLE_1)
	s_ashr_i32 s20, s20, 1
	s_mul_i32 s17, s20, s17
	s_waitcnt lgkmcnt(0)
	s_mul_i32 s24, s22, s24
	s_mul_hi_u32 s25, s22, s21
	s_mul_i32 s23, s23, s21
	s_add_i32 s24, s25, s24
	s_mul_i32 s26, s22, s21
	s_add_i32 s27, s24, s23
	s_mov_b32 s24, exec_lo
	v_cmpx_gt_i32_e64 s17, v0
	s_cbranch_execz .LBB78_4
; %bb.2:
	s_clause 0x1
	s_load_b64 s[22:23], s[0:1], 0x8
	s_load_b32 s36, s[0:1], 0x8c
	s_lshl_b64 s[30:31], s[26:27], 2
	s_mul_i32 s5, s16, s5
	s_mul_hi_u32 s21, s16, s4
	s_add_u32 s25, s2, s30
	s_mul_i32 s4, s16, s4
	s_addc_u32 s30, s3, s31
	s_add_i32 s5, s21, s5
	s_ashr_i32 s21, s20, 31
	s_lshl_b64 s[4:5], s[4:5], 1
	s_mov_b32 s35, 0
	s_waitcnt lgkmcnt(0)
	s_add_u32 s31, s22, s4
	s_addc_u32 s33, s23, s5
	s_abs_i32 s34, s20
	s_and_b32 s36, s36, 0xffff
	v_cvt_f32_u32_e32 v1, s34
	s_sub_i32 s4, 0, s34
	s_sub_i32 s37, 0, s20
	s_lshl_b64 s[22:23], s[20:21], 1
	s_delay_alu instid0(VALU_DEP_1) | instskip(SKIP_2) | instid1(VALU_DEP_1)
	v_rcp_iflag_f32_e32 v1, v1
	s_waitcnt_depctr 0xfff
	v_mul_f32_e32 v1, 0x4f7ffffe, v1
	v_cvt_u32_f32_e32 v1, v1
	s_delay_alu instid0(VALU_DEP_1) | instskip(SKIP_1) | instid1(VALU_DEP_1)
	v_mul_lo_u32 v2, s4, v1
	s_lshl_b64 s[4:5], s[20:21], 2
	v_mul_hi_u32 v2, v1, v2
	s_delay_alu instid0(VALU_DEP_1)
	v_dual_mov_b32 v1, v0 :: v_dual_add_nc_u32 v2, v1, v2
.LBB78_3:                               ; =>This Inner Loop Header: Depth=1
	s_delay_alu instid0(VALU_DEP_1) | instskip(SKIP_1) | instid1(VALU_DEP_2)
	v_sub_nc_u32_e32 v3, 0, v1
	v_ashrrev_i32_e32 v4, 31, v1
	v_max_i32_e32 v3, v1, v3
	s_delay_alu instid0(VALU_DEP_2) | instskip(NEXT) | instid1(VALU_DEP_2)
	v_xor_b32_e32 v4, s21, v4
	v_mul_hi_u32 v5, v3, v2
	s_delay_alu instid0(VALU_DEP_1) | instskip(SKIP_1) | instid1(VALU_DEP_2)
	v_mul_lo_u32 v6, v5, s34
	v_add_nc_u32_e32 v7, 1, v5
	v_sub_nc_u32_e32 v3, v3, v6
	s_delay_alu instid0(VALU_DEP_1) | instskip(SKIP_1) | instid1(VALU_DEP_4)
	v_subrev_nc_u32_e32 v6, s34, v3
	v_cmp_le_u32_e32 vcc_lo, s34, v3
	v_cndmask_b32_e32 v5, v5, v7, vcc_lo
	s_delay_alu instid0(VALU_DEP_1) | instskip(NEXT) | instid1(VALU_DEP_1)
	v_dual_cndmask_b32 v3, v3, v6 :: v_dual_add_nc_u32 v6, 1, v5
	v_cmp_le_u32_e32 vcc_lo, s34, v3
	s_delay_alu instid0(VALU_DEP_2) | instskip(NEXT) | instid1(VALU_DEP_1)
	v_cndmask_b32_e32 v3, v5, v6, vcc_lo
	v_xor_b32_e32 v3, v3, v4
	s_delay_alu instid0(VALU_DEP_1) | instskip(NEXT) | instid1(VALU_DEP_1)
	v_sub_nc_u32_e32 v7, v3, v4
	v_ashrrev_i32_e32 v8, 31, v7
	v_mad_u64_u32 v[3:4], null, s37, v7, v[1:2]
	v_mul_lo_u32 v9, v7, s7
	v_mad_u64_u32 v[5:6], null, v7, s6, 0
	s_delay_alu instid0(VALU_DEP_4) | instskip(SKIP_2) | instid1(VALU_DEP_3)
	v_mul_lo_u32 v7, v8, s6
	v_add_nc_u32_e32 v1, s36, v1
	v_ashrrev_i32_e32 v4, 31, v3
	v_add3_u32 v6, v6, v9, v7
	s_delay_alu instid0(VALU_DEP_2) | instskip(SKIP_1) | instid1(VALU_DEP_3)
	v_lshlrev_b64 v[7:8], 2, v[3:4]
	v_lshlrev_b64 v[3:4], 1, v[3:4]
	;; [unrolled: 1-line block ×3, first 2 shown]
	s_delay_alu instid0(VALU_DEP_3) | instskip(NEXT) | instid1(VALU_DEP_4)
	v_add_co_u32 v7, vcc_lo, s25, v7
	v_add_co_ci_u32_e32 v8, vcc_lo, s30, v8, vcc_lo
	s_delay_alu instid0(VALU_DEP_3) | instskip(NEXT) | instid1(VALU_DEP_4)
	v_add_co_u32 v10, vcc_lo, s31, v5
	v_add_co_ci_u32_e32 v11, vcc_lo, s33, v6, vcc_lo
	s_delay_alu instid0(VALU_DEP_4) | instskip(NEXT) | instid1(VALU_DEP_4)
	v_add_co_u32 v5, vcc_lo, v7, s4
	v_add_co_ci_u32_e32 v6, vcc_lo, s5, v8, vcc_lo
	s_delay_alu instid0(VALU_DEP_4) | instskip(NEXT) | instid1(VALU_DEP_4)
	v_add_co_u32 v3, vcc_lo, v10, v3
	v_add_co_ci_u32_e32 v4, vcc_lo, v11, v4, vcc_lo
	s_clause 0x1
	global_load_b32 v9, v[7:8], off
	global_load_b32 v7, v[5:6], off
	v_add_co_u32 v5, vcc_lo, v3, s22
	v_add_co_ci_u32_e32 v6, vcc_lo, s23, v4, vcc_lo
	s_clause 0x1
	global_load_u16 v8, v[3:4], off
	global_load_u16 v10, v[5:6], off
	v_cmp_le_i32_e32 vcc_lo, s17, v1
	s_or_b32 s35, vcc_lo, s35
	s_waitcnt vmcnt(3)
	v_cvt_f16_f32_e32 v9, v9
	s_waitcnt vmcnt(2)
	v_cvt_f16_f32_e32 v7, v7
	s_waitcnt vmcnt(0)
	s_delay_alu instid0(VALU_DEP_1) | instskip(SKIP_1) | instid1(VALU_DEP_2)
	v_mul_f16_e32 v11, v10, v7
	v_mul_f16_e32 v10, v10, v9
	v_fma_f16 v9, v8, v9, -v11
	s_delay_alu instid0(VALU_DEP_2)
	v_fmac_f16_e32 v10, v8, v7
	s_clause 0x1
	global_store_b16 v[3:4], v9, off
	global_store_b16 v[5:6], v10, off
	s_and_not1_b32 exec_lo, exec_lo, s35
	s_cbranch_execnz .LBB78_3
.LBB78_4:
	s_or_b32 exec_lo, exec_lo, s24
	s_load_b128 s[4:7], s[0:1], 0x68
	s_waitcnt lgkmcnt(0)
	s_ashr_i32 s31, s7, 31
	s_mov_b32 s30, s7
	s_delay_alu instid0(SALU_CYCLE_1) | instskip(SKIP_1) | instid1(SALU_CYCLE_1)
	s_or_b64 s[24:25], s[28:29], s[30:31]
	s_mov_b32 s24, 0
	s_cmp_lg_u64 s[24:25], 0
	s_cbranch_scc0 .LBB78_68
; %bb.5:
	s_add_u32 s34, s30, s31
	s_mov_b32 s22, s31
	s_mov_b32 s23, s31
	s_addc_u32 s35, s31, s31
	s_delay_alu instid0(SALU_CYCLE_1) | instskip(NEXT) | instid1(SALU_CYCLE_1)
	s_xor_b64 s[34:35], s[34:35], s[22:23]
	v_cvt_f32_u32_e32 v1, s34
	v_cvt_f32_u32_e32 v2, s35
	s_sub_u32 s21, 0, s34
	s_subb_u32 s25, 0, s35
	s_delay_alu instid0(VALU_DEP_1) | instskip(NEXT) | instid1(VALU_DEP_1)
	v_fmamk_f32 v1, v2, 0x4f800000, v1
	v_rcp_f32_e32 v1, v1
	s_waitcnt_depctr 0xfff
	v_mul_f32_e32 v1, 0x5f7ffffc, v1
	s_delay_alu instid0(VALU_DEP_1) | instskip(NEXT) | instid1(VALU_DEP_1)
	v_mul_f32_e32 v2, 0x2f800000, v1
	v_trunc_f32_e32 v2, v2
	s_delay_alu instid0(VALU_DEP_1) | instskip(SKIP_1) | instid1(VALU_DEP_2)
	v_fmamk_f32 v1, v2, 0xcf800000, v1
	v_cvt_u32_f32_e32 v2, v2
	v_cvt_u32_f32_e32 v1, v1
	s_delay_alu instid0(VALU_DEP_2) | instskip(NEXT) | instid1(VALU_DEP_2)
	v_readfirstlane_b32 s7, v2
	v_readfirstlane_b32 s17, v1
	s_delay_alu instid0(VALU_DEP_2) | instskip(NEXT) | instid1(VALU_DEP_1)
	s_mul_i32 s33, s21, s7
	s_mul_hi_u32 s37, s21, s17
	s_mul_i32 s36, s25, s17
	s_add_i32 s33, s37, s33
	s_mul_i32 s38, s21, s17
	s_add_i32 s33, s33, s36
	s_mul_hi_u32 s37, s17, s38
	s_mul_hi_u32 s39, s7, s38
	s_mul_i32 s36, s7, s38
	s_mul_hi_u32 s38, s17, s33
	s_mul_i32 s17, s17, s33
	s_mul_hi_u32 s40, s7, s33
	s_add_u32 s17, s37, s17
	s_addc_u32 s37, 0, s38
	s_add_u32 s17, s17, s36
	s_mul_i32 s33, s7, s33
	s_addc_u32 s17, s37, s39
	s_addc_u32 s36, s40, 0
	s_add_u32 s17, s17, s33
	s_addc_u32 s33, 0, s36
	v_add_co_u32 v1, s17, v1, s17
	s_delay_alu instid0(VALU_DEP_1) | instskip(SKIP_1) | instid1(VALU_DEP_1)
	s_cmp_lg_u32 s17, 0
	s_addc_u32 s7, s7, s33
	v_readfirstlane_b32 s17, v1
	s_mul_i32 s33, s21, s7
	s_delay_alu instid0(VALU_DEP_1)
	s_mul_hi_u32 s36, s21, s17
	s_mul_i32 s25, s25, s17
	s_add_i32 s33, s36, s33
	s_mul_i32 s21, s21, s17
	s_add_i32 s33, s33, s25
	s_mul_hi_u32 s36, s7, s21
	s_mul_i32 s37, s7, s21
	s_mul_hi_u32 s21, s17, s21
	s_mul_hi_u32 s38, s17, s33
	s_mul_i32 s17, s17, s33
	s_mul_hi_u32 s25, s7, s33
	s_add_u32 s17, s21, s17
	s_addc_u32 s21, 0, s38
	s_add_u32 s17, s17, s37
	s_mul_i32 s33, s7, s33
	s_addc_u32 s17, s21, s36
	s_addc_u32 s21, s25, 0
	s_add_u32 s17, s17, s33
	s_addc_u32 s21, 0, s21
	v_add_co_u32 v1, s17, v1, s17
	s_delay_alu instid0(VALU_DEP_1) | instskip(SKIP_2) | instid1(VALU_DEP_1)
	s_cmp_lg_u32 s17, 0
	s_addc_u32 s7, s7, s21
	s_ashr_i32 s36, s29, 31
	v_readfirstlane_b32 s17, v1
	s_add_u32 s38, s28, s36
	s_mov_b32 s37, s36
	s_addc_u32 s39, s29, s36
	s_delay_alu instid0(SALU_CYCLE_1) | instskip(NEXT) | instid1(SALU_CYCLE_1)
	s_xor_b64 s[38:39], s[38:39], s[36:37]
	s_mul_i32 s25, s38, s7
	s_mul_hi_u32 s33, s38, s17
	s_mul_hi_u32 s21, s38, s7
	;; [unrolled: 1-line block ×3, first 2 shown]
	s_mul_i32 s17, s39, s17
	s_add_u32 s25, s33, s25
	s_addc_u32 s21, 0, s21
	s_mul_hi_u32 s40, s39, s7
	s_add_u32 s17, s25, s17
	s_mul_i32 s7, s39, s7
	s_addc_u32 s17, s21, s41
	s_addc_u32 s21, s40, 0
	s_add_u32 s7, s17, s7
	s_addc_u32 s17, 0, s21
	s_mul_hi_u32 s21, s34, s7
	s_mul_i32 s33, s34, s17
	s_mul_i32 s40, s34, s7
	s_add_i32 s21, s21, s33
	v_sub_co_u32 v1, s33, s38, s40
	s_mul_i32 s25, s35, s7
	s_delay_alu instid0(SALU_CYCLE_1) | instskip(NEXT) | instid1(VALU_DEP_1)
	s_add_i32 s21, s21, s25
	v_sub_co_u32 v2, s38, v1, s34
	s_sub_i32 s25, s39, s21
	s_cmp_lg_u32 s33, 0
	s_subb_u32 s25, s25, s35
	s_cmp_lg_u32 s38, 0
	v_readfirstlane_b32 s38, v2
	s_subb_u32 s25, s25, 0
	s_delay_alu instid0(SALU_CYCLE_1) | instskip(SKIP_1) | instid1(VALU_DEP_1)
	s_cmp_ge_u32 s25, s35
	s_cselect_b32 s40, -1, 0
	s_cmp_ge_u32 s38, s34
	s_cselect_b32 s38, -1, 0
	s_cmp_eq_u32 s25, s35
	s_cselect_b32 s25, s38, s40
	s_add_u32 s38, s7, 1
	s_addc_u32 s40, s17, 0
	s_add_u32 s41, s7, 2
	s_addc_u32 s42, s17, 0
	s_cmp_lg_u32 s25, 0
	s_cselect_b32 s25, s41, s38
	s_cselect_b32 s38, s42, s40
	s_cmp_lg_u32 s33, 0
	v_readfirstlane_b32 s33, v1
	s_subb_u32 s21, s39, s21
	s_delay_alu instid0(SALU_CYCLE_1) | instskip(SKIP_1) | instid1(VALU_DEP_1)
	s_cmp_ge_u32 s21, s35
	s_cselect_b32 s39, -1, 0
	s_cmp_ge_u32 s33, s34
	s_cselect_b32 s33, -1, 0
	s_cmp_eq_u32 s21, s35
	s_cselect_b32 s21, s33, s39
	s_delay_alu instid0(SALU_CYCLE_1) | instskip(SKIP_3) | instid1(SALU_CYCLE_1)
	s_cmp_lg_u32 s21, 0
	s_cselect_b32 s35, s38, s17
	s_cselect_b32 s34, s25, s7
	s_xor_b64 s[22:23], s[36:37], s[22:23]
	s_xor_b64 s[34:35], s[34:35], s[22:23]
	s_delay_alu instid0(SALU_CYCLE_1)
	s_sub_u32 s22, s34, s22
	s_subb_u32 s23, s35, s23
	s_and_not1_b32 vcc_lo, exec_lo, s24
	s_cbranch_vccnz .LBB78_7
.LBB78_6:
	v_cvt_f32_u32_e32 v1, s30
	s_sub_i32 s17, 0, s30
	s_mov_b32 s23, 0
	s_delay_alu instid0(VALU_DEP_1) | instskip(SKIP_2) | instid1(VALU_DEP_1)
	v_rcp_iflag_f32_e32 v1, v1
	s_waitcnt_depctr 0xfff
	v_mul_f32_e32 v1, 0x4f7ffffe, v1
	v_cvt_u32_f32_e32 v1, v1
	s_delay_alu instid0(VALU_DEP_1) | instskip(NEXT) | instid1(VALU_DEP_1)
	v_readfirstlane_b32 s7, v1
	s_mul_i32 s17, s17, s7
	s_delay_alu instid0(SALU_CYCLE_1) | instskip(NEXT) | instid1(SALU_CYCLE_1)
	s_mul_hi_u32 s17, s7, s17
	s_add_i32 s7, s7, s17
	s_delay_alu instid0(SALU_CYCLE_1) | instskip(NEXT) | instid1(SALU_CYCLE_1)
	s_mul_hi_u32 s7, s28, s7
	s_mul_i32 s17, s7, s30
	s_add_i32 s21, s7, 1
	s_sub_i32 s17, s28, s17
	s_delay_alu instid0(SALU_CYCLE_1)
	s_sub_i32 s22, s17, s30
	s_cmp_ge_u32 s17, s30
	s_cselect_b32 s7, s21, s7
	s_cselect_b32 s17, s22, s17
	s_add_i32 s21, s7, 1
	s_cmp_ge_u32 s17, s30
	s_cselect_b32 s22, s21, s7
.LBB78_7:
	s_load_b64 s[24:25], s[0:1], 0x78
	s_mul_i32 s7, s22, s31
	s_mul_hi_u32 s17, s22, s30
	s_mul_i32 s21, s22, s30
	s_add_i32 s7, s17, s7
	s_mul_i32 s17, s23, s30
	s_mul_i32 s30, s23, s4
	s_add_i32 s17, s7, s17
	s_sub_u32 s7, s28, s21
	s_subb_u32 s17, s29, s17
	s_mul_hi_u32 s29, s22, s4
	s_mul_i32 s31, s22, s4
	s_mul_hi_u32 s28, s7, s5
	s_mul_i32 s17, s17, s5
	s_mul_i32 s23, s7, s5
	s_mov_b32 s33, exec_lo
	v_cmpx_gt_i32_e64 s20, v0
	s_cbranch_execz .LBB78_46
; %bb.8:
	s_load_b32 s38, s[0:1], 0x8c
	s_ashr_i32 s36, s4, 31
	s_ashr_i32 s37, s5, 31
	s_mul_i32 s36, s22, s36
	s_mul_i32 s37, s7, s37
	s_add_i32 s36, s29, s36
	s_add_i32 s37, s28, s37
	s_ashr_i32 s21, s20, 31
	s_add_i32 s36, s36, s30
	s_add_i32 s37, s37, s17
	s_add_u32 s42, s31, s23
	s_addc_u32 s43, s36, s37
	s_add_u32 s36, s42, s18
	s_addc_u32 s37, s43, s19
	s_ashr_i32 s44, s6, 31
	s_add_u32 s36, s36, s6
	v_dual_mov_b32 v2, 0 :: v_dual_lshlrev_b32 v1, 2, v0
	s_addc_u32 s37, s37, s44
	s_lshl_b64 s[26:27], s[26:27], 2
	s_waitcnt lgkmcnt(0)
	s_and_b32 s38, s38, 0xffff
	s_add_u32 s2, s2, s26
	s_load_b32 s34, s[24:25], 0x0
	s_addc_u32 s3, s3, s27
	v_add_co_u32 v3, s2, s2, v1
	s_delay_alu instid0(VALU_DEP_1)
	v_add_co_ci_u32_e64 v4, null, s3, 0, s2
	s_mul_i32 s2, s9, s16
	s_mul_hi_u32 s9, s8, s16
	s_mul_i32 s26, s8, s16
	s_add_i32 s27, s9, s2
	v_lshlrev_b32_e32 v1, 1, v0
	s_lshl_b64 s[40:41], s[26:27], 1
	s_lshl_b32 s3, s38, 2
	s_lshl_b64 s[8:9], s[20:21], 2
	s_lshl_b64 s[26:27], s[20:21], 1
	s_add_u32 s2, s12, s40
	s_addc_u32 s12, s13, s41
	v_add_co_u32 v5, s2, s2, v1
	s_lshl_b32 s39, s38, 1
	v_add_co_ci_u32_e64 v6, null, s12, 0, s2
	s_add_u32 s2, s42, s20
	s_addc_u32 s12, s43, s21
	s_add_u32 s2, s2, s6
	s_addc_u32 s12, s12, s44
	s_add_u32 s21, s18, s2
	s_mov_b32 s35, 0
	s_addc_u32 s40, s19, s12
	s_mov_b64 s[12:13], 0
	s_branch .LBB78_10
.LBB78_9:                               ;   in Loop: Header=BB78_10 Depth=1
	s_or_b32 exec_lo, exec_lo, s2
	s_add_u32 s12, s12, s38
	v_add_co_u32 v3, vcc_lo, v3, s3
	v_add_nc_u32_e32 v1, s12, v0
	v_add_co_ci_u32_e32 v4, vcc_lo, 0, v4, vcc_lo
	v_add_co_u32 v5, vcc_lo, v5, s39
	v_add_co_ci_u32_e32 v6, vcc_lo, 0, v6, vcc_lo
	v_add_co_u32 v7, s2, s21, v0
	s_addc_u32 s13, s13, 0
	v_cmp_le_i32_e32 vcc_lo, s20, v1
	s_add_u32 s21, s21, s38
	v_add_co_ci_u32_e64 v8, null, s40, 0, s2
	s_addc_u32 s40, s40, 0
	s_add_u32 s36, s36, s38
	s_addc_u32 s37, s37, 0
	s_or_b32 s35, vcc_lo, s35
	global_store_b8 v[7:8], v9, off
	s_and_not1_b32 exec_lo, exec_lo, s35
	s_cbranch_execz .LBB78_46
.LBB78_10:                              ; =>This Inner Loop Header: Depth=1
	v_add_co_u32 v7, vcc_lo, v3, s8
	v_add_co_ci_u32_e32 v8, vcc_lo, s9, v4, vcc_lo
	v_add_co_u32 v13, vcc_lo, v5, s26
	v_add_co_ci_u32_e32 v14, vcc_lo, s27, v6, vcc_lo
	s_clause 0x1
	global_load_b32 v1, v[7:8], off
	global_load_b32 v7, v[3:4], off
	s_clause 0x1
	global_load_u16 v8, v[13:14], off
	global_load_u16 v10, v[5:6], off
	s_mov_b32 s2, exec_lo
	s_waitcnt vmcnt(3)
	v_cvt_f16_f32_e32 v1, v1
	s_waitcnt vmcnt(2)
	v_cvt_f16_f32_e32 v11, v7
	s_waitcnt vmcnt(1)
	s_delay_alu instid0(VALU_DEP_2) | instskip(SKIP_1) | instid1(VALU_DEP_1)
	v_mul_f16_e32 v7, v8, v1
	s_waitcnt vmcnt(0)
	v_fma_f16 v17, v10, v11, -v7
	v_mul_f16_e32 v11, v8, v11
	s_delay_alu instid0(VALU_DEP_2) | instskip(NEXT) | instid1(VALU_DEP_2)
	v_cvt_f32_f16_e32 v7, v17
	v_fmac_f16_e32 v11, v10, v1
	s_clause 0x1
	global_store_b16 v[5:6], v17, off
	global_store_b16 v[13:14], v11, off
	s_waitcnt lgkmcnt(0)
	v_div_scale_f32 v9, null, s34, s34, v7
	s_delay_alu instid0(VALU_DEP_1) | instskip(SKIP_2) | instid1(VALU_DEP_1)
	v_rcp_f32_e32 v12, v9
	s_waitcnt_depctr 0xfff
	v_fma_f32 v15, -v9, v12, 1.0
	v_fmac_f32_e32 v12, v15, v12
	v_div_scale_f32 v15, vcc_lo, v7, s34, v7
	s_delay_alu instid0(VALU_DEP_1) | instskip(NEXT) | instid1(VALU_DEP_1)
	v_mul_f32_e32 v16, v15, v12
	v_fma_f32 v18, -v9, v16, v15
	s_delay_alu instid0(VALU_DEP_1) | instskip(NEXT) | instid1(VALU_DEP_1)
	v_fmac_f32_e32 v16, v18, v12
	v_fma_f32 v9, -v9, v16, v15
	s_delay_alu instid0(VALU_DEP_1) | instskip(SKIP_1) | instid1(VALU_DEP_2)
	v_div_fmas_f32 v9, v9, v12, v16
	v_mov_b32_e32 v16, v2
	v_div_fixup_f32 v7, v9, s34, v7
	s_delay_alu instid0(VALU_DEP_1) | instskip(NEXT) | instid1(VALU_DEP_1)
	v_cvt_f16_f32_e32 v7, v7
	v_cvt_f32_f16_e32 v7, v7
	s_delay_alu instid0(VALU_DEP_1) | instskip(SKIP_2) | instid1(VALU_DEP_2)
	v_and_b32_e32 v1, 0x7fffff, v7
	v_lshrrev_b32_e32 v9, 24, v7
	v_and_b32_e32 v15, 0x7f800000, v7
	v_and_b32_e32 v12, 0x80, v9
	s_delay_alu instid0(VALU_DEP_1) | instskip(NEXT) | instid1(VALU_DEP_3)
	v_or_b32_e32 v8, 0x7e, v12
	v_cmpx_ne_u64_e32 0x7f800000, v[15:16]
	s_xor_b32 s41, exec_lo, s2
	s_cbranch_execz .LBB78_26
; %bb.11:                               ;   in Loop: Header=BB78_10 Depth=1
	v_dual_mov_b32 v10, v2 :: v_dual_and_b32 v9, 0x7fffffff, v7
	s_mov_b32 s2, exec_lo
	s_delay_alu instid0(VALU_DEP_1)
	v_cmpx_gt_u64_e32 0x43e00001, v[9:10]
	s_xor_b32 s42, exec_lo, s2
	s_cbranch_execz .LBB78_25
; %bb.12:                               ;   in Loop: Header=BB78_10 Depth=1
	v_mov_b32_e32 v8, 0
	s_mov_b32 s43, exec_lo
	v_cmpx_ne_u32_e32 0, v7
	s_cbranch_execz .LBB78_24
; %bb.13:                               ;   in Loop: Header=BB78_10 Depth=1
	v_bfe_u32 v13, v7, 23, 8
	v_or_b32_e32 v9, 0x800000, v1
	s_delay_alu instid0(VALU_DEP_2) | instskip(SKIP_1) | instid1(VALU_DEP_2)
	v_sub_nc_u32_e32 v7, 0x79, v13
	v_cmp_gt_u32_e32 vcc_lo, 0x7a, v13
	v_cndmask_b32_e32 v7, 0, v7, vcc_lo
	v_cmp_eq_u32_e32 vcc_lo, 0, v13
	s_delay_alu instid0(VALU_DEP_2) | instskip(SKIP_1) | instid1(VALU_DEP_2)
	v_cndmask_b32_e64 v14, v7, 0x78, vcc_lo
	v_cndmask_b32_e32 v1, v9, v1, vcc_lo
	v_add_nc_u32_e32 v7, 20, v14
	v_add_nc_u32_e32 v9, 19, v14
	s_delay_alu instid0(VALU_DEP_2) | instskip(NEXT) | instid1(VALU_DEP_2)
	v_lshlrev_b64 v[7:8], v7, -1
	v_lshlrev_b64 v[9:10], v9, 1
	s_delay_alu instid0(VALU_DEP_2) | instskip(NEXT) | instid1(VALU_DEP_3)
	v_not_b32_e32 v8, v8
	v_not_b32_e32 v7, v7
	s_delay_alu instid0(VALU_DEP_2) | instskip(NEXT) | instid1(VALU_DEP_2)
	v_and_b32_e32 v16, 0, v8
	v_and_b32_e32 v15, v1, v7
	v_lshrrev_b64 v[7:8], v14, v[1:2]
	s_delay_alu instid0(VALU_DEP_2) | instskip(NEXT) | instid1(VALU_DEP_2)
	v_cmp_eq_u64_e64 s2, v[15:16], v[9:10]
	v_dual_mov_b32 v10, v8 :: v_dual_mov_b32 v9, v7
	s_delay_alu instid0(VALU_DEP_2)
	s_and_saveexec_b32 s44, s2
; %bb.14:                               ;   in Loop: Header=BB78_10 Depth=1
	v_bfe_u32 v1, v7, 20, 1
	s_delay_alu instid0(VALU_DEP_1) | instskip(NEXT) | instid1(VALU_DEP_1)
	v_add_co_u32 v1, s2, v7, v1
	v_add_co_u32 v9, s2, v1, -1
; %bb.15:                               ;   in Loop: Header=BB78_10 Depth=1
	s_or_b32 exec_lo, exec_lo, s44
	v_add_nc_u32_e32 v1, 0xffffff81, v13
	v_lshrrev_b32_e32 v10, 23, v7
	s_mov_b32 s2, exec_lo
	s_delay_alu instid0(VALU_DEP_2) | instskip(NEXT) | instid1(VALU_DEP_1)
	v_cndmask_b32_e64 v1, v1, 0xffffff82, vcc_lo
	v_add3_u32 v10, v14, v1, v10
	v_and_b32_e32 v1, 0xfffff, v9
	s_delay_alu instid0(VALU_DEP_2) | instskip(NEXT) | instid1(VALU_DEP_2)
	v_add_nc_u32_e32 v9, 6, v10
	v_add_co_u32 v7, vcc_lo, v1, v7
	v_add_co_ci_u32_e32 v8, vcc_lo, 0, v8, vcc_lo
                                        ; implicit-def: $vgpr1
	s_delay_alu instid0(VALU_DEP_3)
	v_cmpx_ne_u32_e32 0, v9
	s_xor_b32 s2, exec_lo, s2
; %bb.16:                               ;   in Loop: Header=BB78_10 Depth=1
	s_delay_alu instid0(VALU_DEP_2) | instskip(SKIP_1) | instid1(VALU_DEP_1)
	v_cmp_lt_u64_e32 vcc_lo, 0xffffff, v[7:8]
	v_add_nc_u32_e32 v1, 7, v10
	v_cndmask_b32_e32 v1, v9, v1, vcc_lo
	v_cndmask_b32_e64 v9, 0, 1, vcc_lo
	s_delay_alu instid0(VALU_DEP_1)
	v_lshrrev_b64 v[7:8], v9, v[7:8]
; %bb.17:                               ;   in Loop: Header=BB78_10 Depth=1
	s_and_not1_saveexec_b32 s2, s2
; %bb.18:                               ;   in Loop: Header=BB78_10 Depth=1
	s_delay_alu instid0(VALU_DEP_1)
	v_bfe_u32 v1, v7, 23, 1
; %bb.19:                               ;   in Loop: Header=BB78_10 Depth=1
	s_or_b32 exec_lo, exec_lo, s2
	s_delay_alu instid0(VALU_DEP_2) | instskip(NEXT) | instid1(VALU_DEP_2)
	v_lshrrev_b64 v[7:8], 20, v[7:8]
	v_cmp_gt_i32_e32 vcc_lo, 16, v1
	v_cmp_ne_u32_e64 s2, 0, v1
	s_delay_alu instid0(VALU_DEP_3) | instskip(NEXT) | instid1(VALU_DEP_1)
	v_dual_cndmask_b32 v8, 0, v8 :: v_dual_cndmask_b32 v7, 7, v7
	v_cmp_ne_u64_e32 vcc_lo, 0, v[7:8]
                                        ; implicit-def: $vgpr8
	s_delay_alu instid0(VALU_DEP_3) | instskip(NEXT) | instid1(SALU_CYCLE_1)
	s_or_b32 s2, s2, vcc_lo
	s_and_saveexec_b32 s44, s2
	s_delay_alu instid0(SALU_CYCLE_1)
	s_xor_b32 s2, exec_lo, s44
; %bb.20:                               ;   in Loop: Header=BB78_10 Depth=1
	v_min_i32_e32 v1, 15, v1
	s_delay_alu instid0(VALU_DEP_1) | instskip(NEXT) | instid1(VALU_DEP_1)
	v_lshl_or_b32 v1, v1, 3, v12
                                        ; implicit-def: $vgpr12
	v_and_or_b32 v8, v7, 7, v1
; %bb.21:                               ;   in Loop: Header=BB78_10 Depth=1
	s_and_not1_saveexec_b32 s2, s2
; %bb.22:                               ;   in Loop: Header=BB78_10 Depth=1
	v_mov_b32_e32 v8, v12
; %bb.23:                               ;   in Loop: Header=BB78_10 Depth=1
	s_or_b32 exec_lo, exec_lo, s2
.LBB78_24:                              ;   in Loop: Header=BB78_10 Depth=1
	s_delay_alu instid0(SALU_CYCLE_1)
	s_or_b32 exec_lo, exec_lo, s43
.LBB78_25:                              ;   in Loop: Header=BB78_10 Depth=1
	s_and_not1_saveexec_b32 s2, s42
	s_delay_alu instid0(SALU_CYCLE_1)
	s_or_b32 exec_lo, exec_lo, s2
                                        ; implicit-def: $vgpr9
.LBB78_26:                              ;   in Loop: Header=BB78_10 Depth=1
	s_and_not1_saveexec_b32 s2, s41
; %bb.27:                               ;   in Loop: Header=BB78_10 Depth=1
	v_cmp_eq_u64_e32 vcc_lo, 0, v[1:2]
	v_or_b32_e32 v7, 0x7f, v9
	s_delay_alu instid0(VALU_DEP_1)
	v_cndmask_b32_e32 v8, v7, v8, vcc_lo
; %bb.28:                               ;   in Loop: Header=BB78_10 Depth=1
	s_or_b32 exec_lo, exec_lo, s2
	v_cvt_f32_f16_e32 v1, v11
	v_add_co_u32 v14, s2, s36, v0
	s_delay_alu instid0(VALU_DEP_1) | instskip(NEXT) | instid1(VALU_DEP_3)
	v_add_co_ci_u32_e64 v15, null, s37, 0, s2
	v_div_scale_f32 v7, null, s34, s34, v1
	v_div_scale_f32 v11, vcc_lo, v1, s34, v1
	global_store_b8 v[14:15], v8, off
	v_rcp_f32_e32 v9, v7
	s_mov_b32 s2, exec_lo
	v_mov_b32_e32 v13, v2
	s_waitcnt_depctr 0xfff
	v_fma_f32 v10, -v7, v9, 1.0
	s_delay_alu instid0(VALU_DEP_1) | instskip(NEXT) | instid1(VALU_DEP_1)
	v_fmac_f32_e32 v9, v10, v9
	v_mul_f32_e32 v10, v11, v9
	s_delay_alu instid0(VALU_DEP_1) | instskip(NEXT) | instid1(VALU_DEP_1)
	v_fma_f32 v12, -v7, v10, v11
	v_fmac_f32_e32 v10, v12, v9
	s_delay_alu instid0(VALU_DEP_1) | instskip(NEXT) | instid1(VALU_DEP_1)
	v_fma_f32 v7, -v7, v10, v11
	v_div_fmas_f32 v7, v7, v9, v10
	s_delay_alu instid0(VALU_DEP_1) | instskip(NEXT) | instid1(VALU_DEP_1)
	v_div_fixup_f32 v1, v7, s34, v1
	v_cvt_f16_f32_e32 v1, v1
	s_delay_alu instid0(VALU_DEP_1) | instskip(NEXT) | instid1(VALU_DEP_1)
	v_cvt_f32_f16_e32 v7, v1
	v_and_b32_e32 v1, 0x7fffff, v7
	v_lshrrev_b32_e32 v10, 24, v7
	v_and_b32_e32 v12, 0x7f800000, v7
	s_delay_alu instid0(VALU_DEP_2) | instskip(NEXT) | instid1(VALU_DEP_1)
	v_and_b32_e32 v11, 0x80, v10
	v_or_b32_e32 v9, 0x7e, v11
	s_delay_alu instid0(VALU_DEP_3)
	v_cmpx_ne_u64_e32 0x7f800000, v[12:13]
	s_xor_b32 s41, exec_lo, s2
	s_cbranch_execz .LBB78_44
; %bb.29:                               ;   in Loop: Header=BB78_10 Depth=1
	v_dual_mov_b32 v13, v2 :: v_dual_and_b32 v12, 0x7fffffff, v7
	s_mov_b32 s2, exec_lo
	s_delay_alu instid0(VALU_DEP_1)
	v_cmpx_gt_u64_e32 0x43e00001, v[12:13]
	s_xor_b32 s42, exec_lo, s2
	s_cbranch_execz .LBB78_43
; %bb.30:                               ;   in Loop: Header=BB78_10 Depth=1
	v_mov_b32_e32 v9, 0
	s_mov_b32 s43, exec_lo
	v_cmpx_ne_u32_e32 0, v7
	s_cbranch_execz .LBB78_42
; %bb.31:                               ;   in Loop: Header=BB78_10 Depth=1
	v_bfe_u32 v12, v7, 23, 8
	v_or_b32_e32 v9, 0x800000, v1
	s_delay_alu instid0(VALU_DEP_2) | instskip(SKIP_1) | instid1(VALU_DEP_2)
	v_sub_nc_u32_e32 v7, 0x79, v12
	v_cmp_gt_u32_e32 vcc_lo, 0x7a, v12
	v_cndmask_b32_e32 v7, 0, v7, vcc_lo
	v_cmp_eq_u32_e32 vcc_lo, 0, v12
	s_delay_alu instid0(VALU_DEP_2) | instskip(SKIP_1) | instid1(VALU_DEP_2)
	v_cndmask_b32_e64 v13, v7, 0x78, vcc_lo
	v_cndmask_b32_e32 v1, v9, v1, vcc_lo
	v_add_nc_u32_e32 v7, 20, v13
	v_add_nc_u32_e32 v9, 19, v13
	s_delay_alu instid0(VALU_DEP_2) | instskip(NEXT) | instid1(VALU_DEP_2)
	v_lshlrev_b64 v[7:8], v7, -1
	v_lshlrev_b64 v[9:10], v9, 1
	s_delay_alu instid0(VALU_DEP_2) | instskip(NEXT) | instid1(VALU_DEP_3)
	v_not_b32_e32 v8, v8
	v_not_b32_e32 v7, v7
	s_delay_alu instid0(VALU_DEP_2) | instskip(NEXT) | instid1(VALU_DEP_2)
	v_and_b32_e32 v15, 0, v8
	v_and_b32_e32 v14, v1, v7
	v_lshrrev_b64 v[7:8], v13, v[1:2]
	s_delay_alu instid0(VALU_DEP_2) | instskip(NEXT) | instid1(VALU_DEP_2)
	v_cmp_eq_u64_e64 s2, v[14:15], v[9:10]
	v_dual_mov_b32 v10, v8 :: v_dual_mov_b32 v9, v7
	s_delay_alu instid0(VALU_DEP_2)
	s_and_saveexec_b32 s44, s2
; %bb.32:                               ;   in Loop: Header=BB78_10 Depth=1
	v_bfe_u32 v1, v7, 20, 1
	s_delay_alu instid0(VALU_DEP_1) | instskip(NEXT) | instid1(VALU_DEP_1)
	v_add_co_u32 v1, s2, v7, v1
	v_add_co_u32 v9, s2, v1, -1
; %bb.33:                               ;   in Loop: Header=BB78_10 Depth=1
	s_or_b32 exec_lo, exec_lo, s44
	v_add_nc_u32_e32 v1, 0xffffff81, v12
	v_lshrrev_b32_e32 v10, 23, v7
	s_mov_b32 s2, exec_lo
	s_delay_alu instid0(VALU_DEP_2) | instskip(NEXT) | instid1(VALU_DEP_1)
	v_cndmask_b32_e64 v1, v1, 0xffffff82, vcc_lo
	v_add3_u32 v10, v13, v1, v10
	v_and_b32_e32 v1, 0xfffff, v9
	s_delay_alu instid0(VALU_DEP_2) | instskip(NEXT) | instid1(VALU_DEP_2)
	v_add_nc_u32_e32 v9, 6, v10
	v_add_co_u32 v7, vcc_lo, v1, v7
	v_add_co_ci_u32_e32 v8, vcc_lo, 0, v8, vcc_lo
                                        ; implicit-def: $vgpr1
	s_delay_alu instid0(VALU_DEP_3)
	v_cmpx_ne_u32_e32 0, v9
	s_xor_b32 s2, exec_lo, s2
; %bb.34:                               ;   in Loop: Header=BB78_10 Depth=1
	s_delay_alu instid0(VALU_DEP_2) | instskip(SKIP_1) | instid1(VALU_DEP_1)
	v_cmp_lt_u64_e32 vcc_lo, 0xffffff, v[7:8]
	v_add_nc_u32_e32 v1, 7, v10
	v_cndmask_b32_e32 v1, v9, v1, vcc_lo
	v_cndmask_b32_e64 v9, 0, 1, vcc_lo
	s_delay_alu instid0(VALU_DEP_1)
	v_lshrrev_b64 v[7:8], v9, v[7:8]
; %bb.35:                               ;   in Loop: Header=BB78_10 Depth=1
	s_and_not1_saveexec_b32 s2, s2
; %bb.36:                               ;   in Loop: Header=BB78_10 Depth=1
	s_delay_alu instid0(VALU_DEP_1)
	v_bfe_u32 v1, v7, 23, 1
; %bb.37:                               ;   in Loop: Header=BB78_10 Depth=1
	s_or_b32 exec_lo, exec_lo, s2
	s_delay_alu instid0(VALU_DEP_2) | instskip(NEXT) | instid1(VALU_DEP_2)
	v_lshrrev_b64 v[7:8], 20, v[7:8]
	v_cmp_gt_i32_e32 vcc_lo, 16, v1
	v_cmp_ne_u32_e64 s2, 0, v1
                                        ; implicit-def: $vgpr9
	s_delay_alu instid0(VALU_DEP_3) | instskip(NEXT) | instid1(VALU_DEP_1)
	v_dual_cndmask_b32 v8, 0, v8 :: v_dual_cndmask_b32 v7, 7, v7
	v_cmp_ne_u64_e32 vcc_lo, 0, v[7:8]
	s_delay_alu instid0(VALU_DEP_3) | instskip(NEXT) | instid1(SALU_CYCLE_1)
	s_or_b32 s2, s2, vcc_lo
	s_and_saveexec_b32 s44, s2
	s_delay_alu instid0(SALU_CYCLE_1)
	s_xor_b32 s2, exec_lo, s44
; %bb.38:                               ;   in Loop: Header=BB78_10 Depth=1
	v_min_i32_e32 v1, 15, v1
	s_delay_alu instid0(VALU_DEP_1) | instskip(NEXT) | instid1(VALU_DEP_1)
	v_lshl_or_b32 v1, v1, 3, v11
                                        ; implicit-def: $vgpr11
	v_and_or_b32 v9, v7, 7, v1
; %bb.39:                               ;   in Loop: Header=BB78_10 Depth=1
	s_and_not1_saveexec_b32 s2, s2
; %bb.40:                               ;   in Loop: Header=BB78_10 Depth=1
	v_mov_b32_e32 v9, v11
; %bb.41:                               ;   in Loop: Header=BB78_10 Depth=1
	s_or_b32 exec_lo, exec_lo, s2
.LBB78_42:                              ;   in Loop: Header=BB78_10 Depth=1
	s_delay_alu instid0(SALU_CYCLE_1)
	s_or_b32 exec_lo, exec_lo, s43
.LBB78_43:                              ;   in Loop: Header=BB78_10 Depth=1
	s_and_not1_saveexec_b32 s2, s42
	s_delay_alu instid0(SALU_CYCLE_1)
	s_or_b32 exec_lo, exec_lo, s2
                                        ; implicit-def: $vgpr10
.LBB78_44:                              ;   in Loop: Header=BB78_10 Depth=1
	s_and_not1_saveexec_b32 s2, s41
	s_cbranch_execz .LBB78_9
; %bb.45:                               ;   in Loop: Header=BB78_10 Depth=1
	v_cmp_eq_u64_e32 vcc_lo, 0, v[1:2]
	v_or_b32_e32 v7, 0x7f, v10
	s_delay_alu instid0(VALU_DEP_1)
	v_cndmask_b32_e32 v9, v7, v9, vcc_lo
	s_branch .LBB78_9
.LBB78_46:
	s_or_b32 exec_lo, exec_lo, s33
	s_delay_alu instid0(SALU_CYCLE_1)
	s_mov_b32 s2, exec_lo
	v_cmpx_gt_i32_e64 s6, v0
	s_cbranch_execz .LBB78_67
; %bb.47:
	s_mul_i32 s3, s16, s11
	s_mul_hi_u32 s8, s16, s10
	s_mul_i32 s2, s16, s10
	s_add_i32 s3, s8, s3
	s_load_b32 s0, s[0:1], 0x8c
	s_lshl_b64 s[2:3], s[2:3], 1
	v_mov_b32_e32 v3, 0
	s_add_u32 s1, s14, s2
	s_addc_u32 s2, s15, s3
	s_waitcnt lgkmcnt(0)
	s_load_b32 s3, s[24:25], 0x0
	s_ashr_i32 s4, s4, 31
	s_delay_alu instid0(SALU_CYCLE_1) | instskip(NEXT) | instid1(SALU_CYCLE_1)
	s_mul_i32 s4, s22, s4
	s_add_i32 s4, s29, s4
	s_delay_alu instid0(SALU_CYCLE_1) | instskip(SKIP_3) | instid1(SALU_CYCLE_1)
	s_add_i32 s4, s4, s30
	s_add_u32 s8, s18, s31
	s_addc_u32 s9, s19, s4
	s_ashr_i32 s4, s5, 31
	s_mul_i32 s7, s7, s4
	s_delay_alu instid0(SALU_CYCLE_1) | instskip(NEXT) | instid1(SALU_CYCLE_1)
	s_add_i32 s4, s28, s7
	s_add_i32 s5, s4, s17
	s_add_u32 s4, s8, s23
	s_addc_u32 s5, s9, s5
	s_and_b32 s7, s0, 0xffff
	s_mov_b32 s8, 0
	s_branch .LBB78_49
.LBB78_48:                              ;   in Loop: Header=BB78_49 Depth=1
	s_or_b32 exec_lo, exec_lo, s0
	v_add_co_u32 v6, vcc_lo, s4, v0
	v_add_nc_u32_e32 v0, s7, v0
	v_add_co_ci_u32_e32 v7, vcc_lo, s5, v1, vcc_lo
	s_delay_alu instid0(VALU_DEP_2) | instskip(SKIP_2) | instid1(SALU_CYCLE_1)
	v_cmp_le_i32_e32 vcc_lo, s6, v0
	global_store_b8 v[6:7], v5, off
	s_or_b32 s8, vcc_lo, s8
	s_and_not1_b32 exec_lo, exec_lo, s8
	s_cbranch_execz .LBB78_67
.LBB78_49:                              ; =>This Inner Loop Header: Depth=1
	v_ashrrev_i32_e32 v1, 31, v0
	s_mov_b32 s0, exec_lo
	v_mov_b32_e32 v10, v3
	s_delay_alu instid0(VALU_DEP_2) | instskip(NEXT) | instid1(VALU_DEP_1)
	v_lshlrev_b64 v[4:5], 1, v[0:1]
	v_add_co_u32 v4, vcc_lo, s1, v4
	s_delay_alu instid0(VALU_DEP_2) | instskip(SKIP_4) | instid1(VALU_DEP_1)
	v_add_co_ci_u32_e32 v5, vcc_lo, s2, v5, vcc_lo
	global_load_u16 v2, v[4:5], off
	s_waitcnt vmcnt(0)
	v_cvt_f32_f16_e32 v2, v2
	s_waitcnt lgkmcnt(0)
	v_div_scale_f32 v4, null, s3, s3, v2
	s_delay_alu instid0(VALU_DEP_1) | instskip(SKIP_2) | instid1(VALU_DEP_1)
	v_rcp_f32_e32 v5, v4
	s_waitcnt_depctr 0xfff
	v_fma_f32 v6, -v4, v5, 1.0
	v_fmac_f32_e32 v5, v6, v5
	v_div_scale_f32 v6, vcc_lo, v2, s3, v2
	s_delay_alu instid0(VALU_DEP_1) | instskip(NEXT) | instid1(VALU_DEP_1)
	v_mul_f32_e32 v7, v6, v5
	v_fma_f32 v8, -v4, v7, v6
	s_delay_alu instid0(VALU_DEP_1) | instskip(NEXT) | instid1(VALU_DEP_1)
	v_fmac_f32_e32 v7, v8, v5
	v_fma_f32 v4, -v4, v7, v6
	s_delay_alu instid0(VALU_DEP_1) | instskip(NEXT) | instid1(VALU_DEP_1)
	v_div_fmas_f32 v4, v4, v5, v7
	v_div_fixup_f32 v2, v4, s3, v2
	s_delay_alu instid0(VALU_DEP_1) | instskip(NEXT) | instid1(VALU_DEP_1)
	v_cvt_f16_f32_e32 v2, v2
	v_cvt_f32_f16_e32 v4, v2
	s_delay_alu instid0(VALU_DEP_1) | instskip(SKIP_2) | instid1(VALU_DEP_2)
	v_and_b32_e32 v2, 0x7fffff, v4
	v_lshrrev_b32_e32 v6, 24, v4
	v_and_b32_e32 v9, 0x7f800000, v4
	v_and_b32_e32 v8, 0x80, v6
	s_delay_alu instid0(VALU_DEP_1) | instskip(NEXT) | instid1(VALU_DEP_3)
	v_or_b32_e32 v5, 0x7e, v8
	v_cmpx_ne_u64_e32 0x7f800000, v[9:10]
	s_xor_b32 s9, exec_lo, s0
	s_cbranch_execz .LBB78_65
; %bb.50:                               ;   in Loop: Header=BB78_49 Depth=1
	v_dual_mov_b32 v7, v3 :: v_dual_and_b32 v6, 0x7fffffff, v4
	s_mov_b32 s0, exec_lo
	s_delay_alu instid0(VALU_DEP_1)
	v_cmpx_gt_u64_e32 0x43e00001, v[6:7]
	s_xor_b32 s10, exec_lo, s0
	s_cbranch_execz .LBB78_64
; %bb.51:                               ;   in Loop: Header=BB78_49 Depth=1
	v_mov_b32_e32 v5, 0
	s_mov_b32 s11, exec_lo
	v_cmpx_ne_u32_e32 0, v4
	s_cbranch_execz .LBB78_63
; %bb.52:                               ;   in Loop: Header=BB78_49 Depth=1
	v_bfe_u32 v9, v4, 23, 8
	v_or_b32_e32 v6, 0x800000, v2
	s_delay_alu instid0(VALU_DEP_2) | instskip(SKIP_1) | instid1(VALU_DEP_2)
	v_sub_nc_u32_e32 v4, 0x79, v9
	v_cmp_gt_u32_e32 vcc_lo, 0x7a, v9
	v_cndmask_b32_e32 v4, 0, v4, vcc_lo
	v_cmp_eq_u32_e32 vcc_lo, 0, v9
	s_delay_alu instid0(VALU_DEP_2) | instskip(SKIP_1) | instid1(VALU_DEP_2)
	v_cndmask_b32_e64 v10, v4, 0x78, vcc_lo
	v_cndmask_b32_e32 v2, v6, v2, vcc_lo
	v_add_nc_u32_e32 v4, 20, v10
	v_add_nc_u32_e32 v6, 19, v10
	s_delay_alu instid0(VALU_DEP_2) | instskip(NEXT) | instid1(VALU_DEP_2)
	v_lshlrev_b64 v[4:5], v4, -1
	v_lshlrev_b64 v[6:7], v6, 1
	s_delay_alu instid0(VALU_DEP_2) | instskip(NEXT) | instid1(VALU_DEP_3)
	v_not_b32_e32 v5, v5
	v_not_b32_e32 v4, v4
	s_delay_alu instid0(VALU_DEP_2) | instskip(NEXT) | instid1(VALU_DEP_2)
	v_and_b32_e32 v12, 0, v5
	v_and_b32_e32 v11, v2, v4
	v_lshrrev_b64 v[4:5], v10, v[2:3]
	s_delay_alu instid0(VALU_DEP_2) | instskip(NEXT) | instid1(VALU_DEP_2)
	v_cmp_eq_u64_e64 s0, v[11:12], v[6:7]
	v_dual_mov_b32 v7, v5 :: v_dual_mov_b32 v6, v4
	s_delay_alu instid0(VALU_DEP_2)
	s_and_saveexec_b32 s12, s0
; %bb.53:                               ;   in Loop: Header=BB78_49 Depth=1
	v_bfe_u32 v2, v4, 20, 1
	s_delay_alu instid0(VALU_DEP_1) | instskip(NEXT) | instid1(VALU_DEP_1)
	v_add_co_u32 v2, s0, v4, v2
	v_add_co_u32 v6, s0, v2, -1
; %bb.54:                               ;   in Loop: Header=BB78_49 Depth=1
	s_or_b32 exec_lo, exec_lo, s12
	v_add_nc_u32_e32 v2, 0xffffff81, v9
	v_lshrrev_b32_e32 v7, 23, v4
	s_mov_b32 s0, exec_lo
	s_delay_alu instid0(VALU_DEP_2) | instskip(NEXT) | instid1(VALU_DEP_1)
	v_cndmask_b32_e64 v2, v2, 0xffffff82, vcc_lo
	v_add3_u32 v7, v10, v2, v7
	v_and_b32_e32 v2, 0xfffff, v6
	s_delay_alu instid0(VALU_DEP_2) | instskip(NEXT) | instid1(VALU_DEP_2)
	v_add_nc_u32_e32 v6, 6, v7
	v_add_co_u32 v4, vcc_lo, v2, v4
	v_add_co_ci_u32_e32 v5, vcc_lo, 0, v5, vcc_lo
                                        ; implicit-def: $vgpr2
	s_delay_alu instid0(VALU_DEP_3)
	v_cmpx_ne_u32_e32 0, v6
	s_xor_b32 s0, exec_lo, s0
; %bb.55:                               ;   in Loop: Header=BB78_49 Depth=1
	s_delay_alu instid0(VALU_DEP_2) | instskip(SKIP_1) | instid1(VALU_DEP_1)
	v_cmp_lt_u64_e32 vcc_lo, 0xffffff, v[4:5]
	v_add_nc_u32_e32 v2, 7, v7
	v_cndmask_b32_e32 v2, v6, v2, vcc_lo
	v_cndmask_b32_e64 v6, 0, 1, vcc_lo
	s_delay_alu instid0(VALU_DEP_1)
	v_lshrrev_b64 v[4:5], v6, v[4:5]
; %bb.56:                               ;   in Loop: Header=BB78_49 Depth=1
	s_and_not1_saveexec_b32 s0, s0
; %bb.57:                               ;   in Loop: Header=BB78_49 Depth=1
	s_delay_alu instid0(VALU_DEP_1)
	v_bfe_u32 v2, v4, 23, 1
; %bb.58:                               ;   in Loop: Header=BB78_49 Depth=1
	s_or_b32 exec_lo, exec_lo, s0
	s_delay_alu instid0(VALU_DEP_2) | instskip(NEXT) | instid1(VALU_DEP_2)
	v_lshrrev_b64 v[4:5], 20, v[4:5]
	v_cmp_gt_i32_e32 vcc_lo, 16, v2
	v_cmp_ne_u32_e64 s0, 0, v2
	s_delay_alu instid0(VALU_DEP_3) | instskip(NEXT) | instid1(VALU_DEP_1)
	v_dual_cndmask_b32 v5, 0, v5 :: v_dual_cndmask_b32 v4, 7, v4
	v_cmp_ne_u64_e32 vcc_lo, 0, v[4:5]
                                        ; implicit-def: $vgpr5
	s_delay_alu instid0(VALU_DEP_3) | instskip(NEXT) | instid1(SALU_CYCLE_1)
	s_or_b32 s0, s0, vcc_lo
	s_and_saveexec_b32 s12, s0
	s_delay_alu instid0(SALU_CYCLE_1)
	s_xor_b32 s0, exec_lo, s12
; %bb.59:                               ;   in Loop: Header=BB78_49 Depth=1
	v_min_i32_e32 v2, 15, v2
	s_delay_alu instid0(VALU_DEP_1) | instskip(NEXT) | instid1(VALU_DEP_1)
	v_lshl_or_b32 v2, v2, 3, v8
                                        ; implicit-def: $vgpr8
	v_and_or_b32 v5, v4, 7, v2
; %bb.60:                               ;   in Loop: Header=BB78_49 Depth=1
	s_and_not1_saveexec_b32 s0, s0
; %bb.61:                               ;   in Loop: Header=BB78_49 Depth=1
	v_mov_b32_e32 v5, v8
; %bb.62:                               ;   in Loop: Header=BB78_49 Depth=1
	s_or_b32 exec_lo, exec_lo, s0
.LBB78_63:                              ;   in Loop: Header=BB78_49 Depth=1
	s_delay_alu instid0(SALU_CYCLE_1)
	s_or_b32 exec_lo, exec_lo, s11
.LBB78_64:                              ;   in Loop: Header=BB78_49 Depth=1
	s_and_not1_saveexec_b32 s0, s10
	s_delay_alu instid0(SALU_CYCLE_1)
	s_or_b32 exec_lo, exec_lo, s0
                                        ; implicit-def: $vgpr6
.LBB78_65:                              ;   in Loop: Header=BB78_49 Depth=1
	s_and_not1_saveexec_b32 s0, s9
	s_cbranch_execz .LBB78_48
; %bb.66:                               ;   in Loop: Header=BB78_49 Depth=1
	v_cmp_eq_u64_e32 vcc_lo, 0, v[2:3]
	v_or_b32_e32 v4, 0x7f, v6
	s_delay_alu instid0(VALU_DEP_1)
	v_cndmask_b32_e32 v5, v4, v5, vcc_lo
	s_branch .LBB78_48
.LBB78_67:
	s_nop 0
	s_sendmsg sendmsg(MSG_DEALLOC_VGPRS)
	s_endpgm
.LBB78_68:
                                        ; implicit-def: $sgpr22_sgpr23
	s_branch .LBB78_6
	.section	.rodata,"a",@progbits
	.p2align	6, 0x0
	.amdhsa_kernel _ZN4vllm38concat_and_cache_mla_rope_fused_kernelIN3c104HalfEfLb1EthLNS_18Fp8KVCacheDataTypeE1EEEvPKlPT_S7_PKS6_PKT0_illlliPT3_S5_iiiiPKf
		.amdhsa_group_segment_fixed_size 0
		.amdhsa_private_segment_fixed_size 0
		.amdhsa_kernarg_size 384
		.amdhsa_user_sgpr_count 15
		.amdhsa_user_sgpr_dispatch_ptr 0
		.amdhsa_user_sgpr_queue_ptr 0
		.amdhsa_user_sgpr_kernarg_segment_ptr 1
		.amdhsa_user_sgpr_dispatch_id 0
		.amdhsa_user_sgpr_private_segment_size 0
		.amdhsa_wavefront_size32 1
		.amdhsa_uses_dynamic_stack 0
		.amdhsa_enable_private_segment 0
		.amdhsa_system_sgpr_workgroup_id_x 1
		.amdhsa_system_sgpr_workgroup_id_y 0
		.amdhsa_system_sgpr_workgroup_id_z 0
		.amdhsa_system_sgpr_workgroup_info 0
		.amdhsa_system_vgpr_workitem_id 0
		.amdhsa_next_free_vgpr 19
		.amdhsa_next_free_sgpr 45
		.amdhsa_reserve_vcc 1
		.amdhsa_float_round_mode_32 0
		.amdhsa_float_round_mode_16_64 0
		.amdhsa_float_denorm_mode_32 3
		.amdhsa_float_denorm_mode_16_64 3
		.amdhsa_dx10_clamp 1
		.amdhsa_ieee_mode 1
		.amdhsa_fp16_overflow 0
		.amdhsa_workgroup_processor_mode 1
		.amdhsa_memory_ordered 1
		.amdhsa_forward_progress 0
		.amdhsa_shared_vgpr_count 0
		.amdhsa_exception_fp_ieee_invalid_op 0
		.amdhsa_exception_fp_denorm_src 0
		.amdhsa_exception_fp_ieee_div_zero 0
		.amdhsa_exception_fp_ieee_overflow 0
		.amdhsa_exception_fp_ieee_underflow 0
		.amdhsa_exception_fp_ieee_inexact 0
		.amdhsa_exception_int_div_zero 0
	.end_amdhsa_kernel
	.section	.text._ZN4vllm38concat_and_cache_mla_rope_fused_kernelIN3c104HalfEfLb1EthLNS_18Fp8KVCacheDataTypeE1EEEvPKlPT_S7_PKS6_PKT0_illlliPT3_S5_iiiiPKf,"axG",@progbits,_ZN4vllm38concat_and_cache_mla_rope_fused_kernelIN3c104HalfEfLb1EthLNS_18Fp8KVCacheDataTypeE1EEEvPKlPT_S7_PKS6_PKT0_illlliPT3_S5_iiiiPKf,comdat
.Lfunc_end78:
	.size	_ZN4vllm38concat_and_cache_mla_rope_fused_kernelIN3c104HalfEfLb1EthLNS_18Fp8KVCacheDataTypeE1EEEvPKlPT_S7_PKS6_PKT0_illlliPT3_S5_iiiiPKf, .Lfunc_end78-_ZN4vllm38concat_and_cache_mla_rope_fused_kernelIN3c104HalfEfLb1EthLNS_18Fp8KVCacheDataTypeE1EEEvPKlPT_S7_PKS6_PKT0_illlliPT3_S5_iiiiPKf
                                        ; -- End function
	.section	.AMDGPU.csdata,"",@progbits
; Kernel info:
; codeLenInByte = 4480
; NumSgprs: 47
; NumVgprs: 19
; ScratchSize: 0
; MemoryBound: 0
; FloatMode: 240
; IeeeMode: 1
; LDSByteSize: 0 bytes/workgroup (compile time only)
; SGPRBlocks: 5
; VGPRBlocks: 2
; NumSGPRsForWavesPerEU: 47
; NumVGPRsForWavesPerEU: 19
; Occupancy: 16
; WaveLimiterHint : 1
; COMPUTE_PGM_RSRC2:SCRATCH_EN: 0
; COMPUTE_PGM_RSRC2:USER_SGPR: 15
; COMPUTE_PGM_RSRC2:TRAP_HANDLER: 0
; COMPUTE_PGM_RSRC2:TGID_X_EN: 1
; COMPUTE_PGM_RSRC2:TGID_Y_EN: 0
; COMPUTE_PGM_RSRC2:TGID_Z_EN: 0
; COMPUTE_PGM_RSRC2:TIDIG_COMP_CNT: 0
	.section	.text._ZN4vllm38concat_and_cache_mla_rope_fused_kernelIN3c104HalfEfLb0EthLNS_18Fp8KVCacheDataTypeE1EEEvPKlPT_S7_PKS6_PKT0_illlliPT3_S5_iiiiPKf,"axG",@progbits,_ZN4vllm38concat_and_cache_mla_rope_fused_kernelIN3c104HalfEfLb0EthLNS_18Fp8KVCacheDataTypeE1EEEvPKlPT_S7_PKS6_PKT0_illlliPT3_S5_iiiiPKf,comdat
	.protected	_ZN4vllm38concat_and_cache_mla_rope_fused_kernelIN3c104HalfEfLb0EthLNS_18Fp8KVCacheDataTypeE1EEEvPKlPT_S7_PKS6_PKT0_illlliPT3_S5_iiiiPKf ; -- Begin function _ZN4vllm38concat_and_cache_mla_rope_fused_kernelIN3c104HalfEfLb0EthLNS_18Fp8KVCacheDataTypeE1EEEvPKlPT_S7_PKS6_PKT0_illlliPT3_S5_iiiiPKf
	.globl	_ZN4vllm38concat_and_cache_mla_rope_fused_kernelIN3c104HalfEfLb0EthLNS_18Fp8KVCacheDataTypeE1EEEvPKlPT_S7_PKS6_PKT0_illlliPT3_S5_iiiiPKf
	.p2align	8
	.type	_ZN4vllm38concat_and_cache_mla_rope_fused_kernelIN3c104HalfEfLb0EthLNS_18Fp8KVCacheDataTypeE1EEEvPKlPT_S7_PKS6_PKT0_illlliPT3_S5_iiiiPKf,@function
_ZN4vllm38concat_and_cache_mla_rope_fused_kernelIN3c104HalfEfLb0EthLNS_18Fp8KVCacheDataTypeE1EEEvPKlPT_S7_PKS6_PKT0_illlliPT3_S5_iiiiPKf: ; @_ZN4vllm38concat_and_cache_mla_rope_fused_kernelIN3c104HalfEfLb0EthLNS_18Fp8KVCacheDataTypeE1EEEvPKlPT_S7_PKS6_PKT0_illlliPT3_S5_iiiiPKf
; %bb.0:
	s_load_b64 s[4:5], s[0:1], 0x60
	s_mov_b32 s16, s15
	s_mov_b32 s17, 0
	s_delay_alu instid0(SALU_CYCLE_1)
	s_lshl_b64 s[2:3], s[16:17], 3
	s_waitcnt lgkmcnt(0)
	s_add_u32 s4, s4, s2
	s_addc_u32 s5, s5, s3
	s_load_b64 s[26:27], s[4:5], 0x0
	s_waitcnt lgkmcnt(0)
	v_cmp_lt_i64_e64 s4, s[26:27], 0
	s_delay_alu instid0(VALU_DEP_1)
	s_and_b32 vcc_lo, exec_lo, s4
	s_cbranch_vccnz .LBB79_67
; %bb.1:
	s_clause 0x3
	s_load_b32 s21, s[0:1], 0x28
	s_load_b64 s[4:5], s[0:1], 0x0
	s_load_b128 s[12:15], s[0:1], 0x10
	s_load_b32 s17, s[0:1], 0x50
	v_lshlrev_b32_e32 v3, 1, v0
	s_waitcnt lgkmcnt(0)
	s_ashr_i32 s24, s21, 31
	s_add_u32 s2, s4, s2
	s_addc_u32 s3, s5, s3
	s_lshr_b32 s20, s21, 31
	s_load_b64 s[22:23], s[2:3], 0x0
	s_clause 0x2
	s_load_b64 s[2:3], s[0:1], 0x20
	s_load_b64 s[18:19], s[0:1], 0x58
	s_load_b256 s[4:11], s[0:1], 0x30
	s_add_i32 s20, s21, s20
	s_delay_alu instid0(SALU_CYCLE_1) | instskip(NEXT) | instid1(SALU_CYCLE_1)
	s_ashr_i32 s20, s20, 1
	s_mul_i32 s17, s20, s17
	s_waitcnt lgkmcnt(0)
	s_mul_i32 s24, s22, s24
	s_mul_hi_u32 s25, s22, s21
	s_mul_i32 s23, s23, s21
	s_add_i32 s24, s25, s24
	s_mul_i32 s28, s22, s21
	s_add_i32 s29, s24, s23
	s_mov_b32 s22, exec_lo
	v_cmpx_gt_i32_e64 s17, v0
	s_cbranch_execz .LBB79_4
; %bb.2:
	s_clause 0x1
	s_load_b64 s[30:31], s[0:1], 0x8
	s_load_b32 s34, s[0:1], 0x8c
	s_lshl_b64 s[24:25], s[28:29], 2
	s_mul_i32 s5, s16, s5
	s_mul_hi_u32 s21, s16, s4
	s_add_u32 s23, s2, s24
	s_mul_i32 s4, s16, s4
	s_addc_u32 s24, s3, s25
	s_add_i32 s5, s21, s5
	s_ashr_i32 s21, s20, 31
	s_lshl_b64 s[4:5], s[4:5], 1
	s_mov_b32 s33, 0
	s_waitcnt lgkmcnt(0)
	s_add_u32 s25, s30, s4
	s_addc_u32 s30, s31, s5
	s_abs_i32 s31, s20
	s_and_b32 s34, s34, 0xffff
	v_cvt_f32_u32_e32 v1, s31
	s_sub_i32 s4, 0, s31
	s_sub_i32 s35, 0, s20
	s_lshl_b32 s37, s34, 1
	s_delay_alu instid0(VALU_DEP_1) | instskip(SKIP_2) | instid1(VALU_DEP_1)
	v_rcp_iflag_f32_e32 v1, v1
	s_waitcnt_depctr 0xfff
	v_mul_f32_e32 v1, 0x4f7ffffe, v1
	v_cvt_u32_f32_e32 v2, v1
	s_delay_alu instid0(VALU_DEP_1) | instskip(SKIP_1) | instid1(SALU_CYCLE_1)
	v_mul_lo_u32 v1, s4, v2
	s_lshl_b32 s4, s20, 1
	s_sub_i32 s36, 0, s4
	s_lshl_b64 s[4:5], s[20:21], 2
	s_delay_alu instid0(VALU_DEP_1) | instskip(NEXT) | instid1(VALU_DEP_1)
	v_mul_hi_u32 v4, v2, v1
	v_dual_mov_b32 v1, v3 :: v_dual_add_nc_u32 v4, v2, v4
	v_mov_b32_e32 v2, v0
.LBB79_3:                               ; =>This Inner Loop Header: Depth=1
	s_delay_alu instid0(VALU_DEP_1) | instskip(SKIP_1) | instid1(VALU_DEP_2)
	v_sub_nc_u32_e32 v5, 0, v2
	v_ashrrev_i32_e32 v6, 31, v2
	v_max_i32_e32 v5, v2, v5
	s_delay_alu instid0(VALU_DEP_2) | instskip(NEXT) | instid1(VALU_DEP_2)
	v_xor_b32_e32 v6, s21, v6
	v_mul_hi_u32 v7, v5, v4
	s_delay_alu instid0(VALU_DEP_1) | instskip(SKIP_1) | instid1(VALU_DEP_2)
	v_mul_lo_u32 v8, v7, s31
	v_add_nc_u32_e32 v9, 1, v7
	v_sub_nc_u32_e32 v5, v5, v8
	s_delay_alu instid0(VALU_DEP_1) | instskip(SKIP_1) | instid1(VALU_DEP_4)
	v_subrev_nc_u32_e32 v8, s31, v5
	v_cmp_le_u32_e32 vcc_lo, s31, v5
	v_cndmask_b32_e32 v7, v7, v9, vcc_lo
	s_delay_alu instid0(VALU_DEP_1) | instskip(NEXT) | instid1(VALU_DEP_1)
	v_dual_cndmask_b32 v5, v5, v8 :: v_dual_add_nc_u32 v8, 1, v7
	v_cmp_le_u32_e32 vcc_lo, s31, v5
	s_delay_alu instid0(VALU_DEP_2) | instskip(NEXT) | instid1(VALU_DEP_1)
	v_cndmask_b32_e32 v5, v7, v8, vcc_lo
	v_xor_b32_e32 v5, v5, v6
	s_delay_alu instid0(VALU_DEP_1) | instskip(NEXT) | instid1(VALU_DEP_1)
	v_sub_nc_u32_e32 v11, v5, v6
	v_mad_u64_u32 v[5:6], null, s35, v11, v[2:3]
	v_ashrrev_i32_e32 v6, 31, v11
	v_mul_lo_u32 v12, v11, s7
	v_mad_u64_u32 v[7:8], null, v11, s6, 0
	v_mad_u64_u32 v[9:10], null, s36, v11, v[1:2]
	s_delay_alu instid0(VALU_DEP_4) | instskip(SKIP_3) | instid1(VALU_DEP_3)
	v_mul_lo_u32 v11, v6, s6
	v_ashrrev_i32_e32 v6, 31, v5
	v_add_nc_u32_e32 v2, s34, v2
	v_add_nc_u32_e32 v1, s37, v1
	v_lshlrev_b64 v[5:6], 2, v[5:6]
	v_ashrrev_i32_e32 v10, 31, v9
	v_add3_u32 v8, v8, v12, v11
	s_delay_alu instid0(VALU_DEP_3) | instskip(NEXT) | instid1(VALU_DEP_2)
	v_add_co_u32 v5, vcc_lo, s23, v5
	v_lshlrev_b64 v[7:8], 1, v[7:8]
	v_add_co_ci_u32_e32 v6, vcc_lo, s24, v6, vcc_lo
	v_lshlrev_b64 v[9:10], 1, v[9:10]
	s_delay_alu instid0(VALU_DEP_3) | instskip(NEXT) | instid1(VALU_DEP_4)
	v_add_co_u32 v11, vcc_lo, s25, v7
	v_add_co_ci_u32_e32 v12, vcc_lo, s30, v8, vcc_lo
	v_add_co_u32 v7, vcc_lo, v5, s4
	v_add_co_ci_u32_e32 v8, vcc_lo, s5, v6, vcc_lo
	s_delay_alu instid0(VALU_DEP_4) | instskip(NEXT) | instid1(VALU_DEP_4)
	v_add_co_u32 v9, vcc_lo, v11, v9
	v_add_co_ci_u32_e32 v10, vcc_lo, v12, v10, vcc_lo
	s_clause 0x1
	global_load_b32 v5, v[5:6], off
	global_load_b32 v6, v[7:8], off
	;; [unrolled: 1-line block ×3, first 2 shown]
	v_cmp_le_i32_e32 vcc_lo, s17, v2
	s_or_b32 s33, vcc_lo, s33
	s_waitcnt vmcnt(2)
	v_cvt_f16_f32_e32 v5, v5
	s_waitcnt vmcnt(1)
	v_cvt_f16_f32_e32 v6, v6
	s_waitcnt vmcnt(0)
	v_lshrrev_b32_e32 v8, 16, v7
	s_delay_alu instid0(VALU_DEP_1) | instskip(SKIP_1) | instid1(VALU_DEP_2)
	v_mul_f16_e32 v11, v8, v6
	v_mul_f16_e32 v8, v8, v5
	v_fma_f16 v5, v7, v5, -v11
	s_delay_alu instid0(VALU_DEP_2) | instskip(NEXT) | instid1(VALU_DEP_1)
	v_fmac_f16_e32 v8, v7, v6
	v_pack_b32_f16 v5, v5, v8
	global_store_b32 v[9:10], v5, off
	s_and_not1_b32 exec_lo, exec_lo, s33
	s_cbranch_execnz .LBB79_3
.LBB79_4:
	s_or_b32 exec_lo, exec_lo, s22
	s_load_b128 s[4:7], s[0:1], 0x68
	s_waitcnt lgkmcnt(0)
	s_ashr_i32 s31, s7, 31
	s_mov_b32 s30, s7
	s_delay_alu instid0(SALU_CYCLE_1) | instskip(SKIP_1) | instid1(SALU_CYCLE_1)
	s_or_b64 s[24:25], s[26:27], s[30:31]
	s_mov_b32 s24, 0
	s_cmp_lg_u64 s[24:25], 0
	s_cbranch_scc0 .LBB79_68
; %bb.5:
	s_add_u32 s34, s30, s31
	s_mov_b32 s22, s31
	s_mov_b32 s23, s31
	s_addc_u32 s35, s31, s31
	s_delay_alu instid0(SALU_CYCLE_1) | instskip(NEXT) | instid1(SALU_CYCLE_1)
	s_xor_b64 s[34:35], s[34:35], s[22:23]
	v_cvt_f32_u32_e32 v1, s34
	v_cvt_f32_u32_e32 v2, s35
	s_sub_u32 s21, 0, s34
	s_subb_u32 s25, 0, s35
	s_delay_alu instid0(VALU_DEP_1) | instskip(NEXT) | instid1(VALU_DEP_1)
	v_fmamk_f32 v1, v2, 0x4f800000, v1
	v_rcp_f32_e32 v1, v1
	s_waitcnt_depctr 0xfff
	v_mul_f32_e32 v1, 0x5f7ffffc, v1
	s_delay_alu instid0(VALU_DEP_1) | instskip(NEXT) | instid1(VALU_DEP_1)
	v_mul_f32_e32 v2, 0x2f800000, v1
	v_trunc_f32_e32 v2, v2
	s_delay_alu instid0(VALU_DEP_1) | instskip(SKIP_1) | instid1(VALU_DEP_2)
	v_fmamk_f32 v1, v2, 0xcf800000, v1
	v_cvt_u32_f32_e32 v2, v2
	v_cvt_u32_f32_e32 v1, v1
	s_delay_alu instid0(VALU_DEP_2) | instskip(NEXT) | instid1(VALU_DEP_2)
	v_readfirstlane_b32 s7, v2
	v_readfirstlane_b32 s17, v1
	s_delay_alu instid0(VALU_DEP_2) | instskip(NEXT) | instid1(VALU_DEP_1)
	s_mul_i32 s33, s21, s7
	s_mul_hi_u32 s37, s21, s17
	s_mul_i32 s36, s25, s17
	s_add_i32 s33, s37, s33
	s_mul_i32 s38, s21, s17
	s_add_i32 s33, s33, s36
	s_mul_hi_u32 s37, s17, s38
	s_mul_hi_u32 s39, s7, s38
	s_mul_i32 s36, s7, s38
	s_mul_hi_u32 s38, s17, s33
	s_mul_i32 s17, s17, s33
	s_mul_hi_u32 s40, s7, s33
	s_add_u32 s17, s37, s17
	s_addc_u32 s37, 0, s38
	s_add_u32 s17, s17, s36
	s_mul_i32 s33, s7, s33
	s_addc_u32 s17, s37, s39
	s_addc_u32 s36, s40, 0
	s_add_u32 s17, s17, s33
	s_addc_u32 s33, 0, s36
	v_add_co_u32 v1, s17, v1, s17
	s_delay_alu instid0(VALU_DEP_1) | instskip(SKIP_1) | instid1(VALU_DEP_1)
	s_cmp_lg_u32 s17, 0
	s_addc_u32 s7, s7, s33
	v_readfirstlane_b32 s17, v1
	s_mul_i32 s33, s21, s7
	s_delay_alu instid0(VALU_DEP_1)
	s_mul_hi_u32 s36, s21, s17
	s_mul_i32 s25, s25, s17
	s_add_i32 s33, s36, s33
	s_mul_i32 s21, s21, s17
	s_add_i32 s33, s33, s25
	s_mul_hi_u32 s36, s7, s21
	s_mul_i32 s37, s7, s21
	s_mul_hi_u32 s21, s17, s21
	s_mul_hi_u32 s38, s17, s33
	s_mul_i32 s17, s17, s33
	s_mul_hi_u32 s25, s7, s33
	s_add_u32 s17, s21, s17
	s_addc_u32 s21, 0, s38
	s_add_u32 s17, s17, s37
	s_mul_i32 s33, s7, s33
	s_addc_u32 s17, s21, s36
	s_addc_u32 s21, s25, 0
	s_add_u32 s17, s17, s33
	s_addc_u32 s21, 0, s21
	v_add_co_u32 v1, s17, v1, s17
	s_delay_alu instid0(VALU_DEP_1) | instskip(SKIP_2) | instid1(VALU_DEP_1)
	s_cmp_lg_u32 s17, 0
	s_addc_u32 s7, s7, s21
	s_ashr_i32 s36, s27, 31
	v_readfirstlane_b32 s17, v1
	s_add_u32 s38, s26, s36
	s_mov_b32 s37, s36
	s_addc_u32 s39, s27, s36
	s_delay_alu instid0(SALU_CYCLE_1) | instskip(NEXT) | instid1(SALU_CYCLE_1)
	s_xor_b64 s[38:39], s[38:39], s[36:37]
	s_mul_i32 s25, s38, s7
	s_mul_hi_u32 s33, s38, s17
	s_mul_hi_u32 s21, s38, s7
	;; [unrolled: 1-line block ×3, first 2 shown]
	s_mul_i32 s17, s39, s17
	s_add_u32 s25, s33, s25
	s_addc_u32 s21, 0, s21
	s_mul_hi_u32 s40, s39, s7
	s_add_u32 s17, s25, s17
	s_mul_i32 s7, s39, s7
	s_addc_u32 s17, s21, s41
	s_addc_u32 s21, s40, 0
	s_add_u32 s7, s17, s7
	s_addc_u32 s17, 0, s21
	s_mul_hi_u32 s21, s34, s7
	s_mul_i32 s33, s34, s17
	s_mul_i32 s40, s34, s7
	s_add_i32 s21, s21, s33
	v_sub_co_u32 v1, s33, s38, s40
	s_mul_i32 s25, s35, s7
	s_delay_alu instid0(SALU_CYCLE_1) | instskip(NEXT) | instid1(VALU_DEP_1)
	s_add_i32 s21, s21, s25
	v_sub_co_u32 v2, s38, v1, s34
	s_sub_i32 s25, s39, s21
	s_cmp_lg_u32 s33, 0
	s_subb_u32 s25, s25, s35
	s_cmp_lg_u32 s38, 0
	v_readfirstlane_b32 s38, v2
	s_subb_u32 s25, s25, 0
	s_delay_alu instid0(SALU_CYCLE_1) | instskip(SKIP_1) | instid1(VALU_DEP_1)
	s_cmp_ge_u32 s25, s35
	s_cselect_b32 s40, -1, 0
	s_cmp_ge_u32 s38, s34
	s_cselect_b32 s38, -1, 0
	s_cmp_eq_u32 s25, s35
	s_cselect_b32 s25, s38, s40
	s_add_u32 s38, s7, 1
	s_addc_u32 s40, s17, 0
	s_add_u32 s41, s7, 2
	s_addc_u32 s42, s17, 0
	s_cmp_lg_u32 s25, 0
	s_cselect_b32 s25, s41, s38
	s_cselect_b32 s38, s42, s40
	s_cmp_lg_u32 s33, 0
	v_readfirstlane_b32 s33, v1
	s_subb_u32 s21, s39, s21
	s_delay_alu instid0(SALU_CYCLE_1) | instskip(SKIP_1) | instid1(VALU_DEP_1)
	s_cmp_ge_u32 s21, s35
	s_cselect_b32 s39, -1, 0
	s_cmp_ge_u32 s33, s34
	s_cselect_b32 s33, -1, 0
	s_cmp_eq_u32 s21, s35
	s_cselect_b32 s21, s33, s39
	s_delay_alu instid0(SALU_CYCLE_1) | instskip(SKIP_3) | instid1(SALU_CYCLE_1)
	s_cmp_lg_u32 s21, 0
	s_cselect_b32 s35, s38, s17
	s_cselect_b32 s34, s25, s7
	s_xor_b64 s[22:23], s[36:37], s[22:23]
	s_xor_b64 s[34:35], s[34:35], s[22:23]
	s_delay_alu instid0(SALU_CYCLE_1)
	s_sub_u32 s22, s34, s22
	s_subb_u32 s23, s35, s23
	s_and_not1_b32 vcc_lo, exec_lo, s24
	s_cbranch_vccnz .LBB79_7
.LBB79_6:
	v_cvt_f32_u32_e32 v1, s30
	s_sub_i32 s17, 0, s30
	s_mov_b32 s23, 0
	s_delay_alu instid0(VALU_DEP_1) | instskip(SKIP_2) | instid1(VALU_DEP_1)
	v_rcp_iflag_f32_e32 v1, v1
	s_waitcnt_depctr 0xfff
	v_mul_f32_e32 v1, 0x4f7ffffe, v1
	v_cvt_u32_f32_e32 v1, v1
	s_delay_alu instid0(VALU_DEP_1) | instskip(NEXT) | instid1(VALU_DEP_1)
	v_readfirstlane_b32 s7, v1
	s_mul_i32 s17, s17, s7
	s_delay_alu instid0(SALU_CYCLE_1) | instskip(NEXT) | instid1(SALU_CYCLE_1)
	s_mul_hi_u32 s17, s7, s17
	s_add_i32 s7, s7, s17
	s_delay_alu instid0(SALU_CYCLE_1) | instskip(NEXT) | instid1(SALU_CYCLE_1)
	s_mul_hi_u32 s7, s26, s7
	s_mul_i32 s17, s7, s30
	s_add_i32 s21, s7, 1
	s_sub_i32 s17, s26, s17
	s_delay_alu instid0(SALU_CYCLE_1)
	s_sub_i32 s22, s17, s30
	s_cmp_ge_u32 s17, s30
	s_cselect_b32 s7, s21, s7
	s_cselect_b32 s17, s22, s17
	s_add_i32 s21, s7, 1
	s_cmp_ge_u32 s17, s30
	s_cselect_b32 s22, s21, s7
.LBB79_7:
	s_load_b64 s[24:25], s[0:1], 0x78
	s_mul_i32 s7, s22, s31
	s_mul_hi_u32 s17, s22, s30
	s_mul_i32 s21, s22, s30
	s_add_i32 s7, s17, s7
	s_mul_i32 s17, s23, s30
	s_mul_i32 s30, s23, s4
	s_add_i32 s17, s7, s17
	s_sub_u32 s7, s26, s21
	s_subb_u32 s17, s27, s17
	s_mul_hi_u32 s27, s22, s4
	s_mul_i32 s31, s22, s4
	s_mul_hi_u32 s26, s7, s5
	s_mul_i32 s17, s17, s5
	s_mul_i32 s23, s7, s5
	s_mov_b32 s33, exec_lo
	v_cmpx_gt_i32_e64 s20, v0
	s_cbranch_execz .LBB79_46
; %bb.8:
	s_load_b32 s35, s[0:1], 0x8c
	s_ashr_i32 s38, s4, 31
	s_ashr_i32 s39, s5, 31
	s_lshl_b64 s[36:37], s[28:29], 2
	s_mul_i32 s28, s22, s38
	s_mul_i32 s29, s7, s39
	v_dual_mov_b32 v15, v0 :: v_dual_lshlrev_b32 v4, 2, v0
	s_add_i32 s28, s27, s28
	s_add_i32 s29, s26, s29
	s_ashr_i32 s21, s20, 31
	s_ashr_i32 s40, s6, 31
	s_add_i32 s38, s28, s30
	s_add_i32 s29, s29, s17
	s_waitcnt lgkmcnt(0)
	s_load_b32 s34, s[24:25], 0x0
	s_mul_i32 s9, s9, s16
	s_and_b32 s28, s35, 0xffff
	s_add_u32 s2, s2, s36
	s_addc_u32 s35, s3, s37
	s_lshl_b32 s3, s28, 2
	s_lshl_b64 s[36:37], s[20:21], 2
	v_add_co_u32 v9, s2, s2, v4
	s_add_u32 s21, s31, s23
	v_add_co_ci_u32_e64 v10, null, s35, 0, s2
	s_addc_u32 s2, s38, s29
	s_add_u32 s29, s18, s6
	s_addc_u32 s35, s19, s40
	s_add_u32 s21, s29, s21
	s_mul_hi_u32 s29, s8, s16
	s_addc_u32 s2, s35, s2
	s_add_i32 s9, s29, s9
	s_mul_i32 s8, s8, s16
	v_add_co_u32 v1, s21, s21, v3
	s_lshl_b64 s[8:9], s[8:9], 1
	v_add_co_u32 v11, vcc_lo, v9, s36
	v_add_co_ci_u32_e64 v2, null, s2, 0, s21
	s_lshl_b32 s21, s28, 1
	s_add_u32 s2, s12, s8
	v_add_co_ci_u32_e32 v12, vcc_lo, s37, v10, vcc_lo
	v_add_co_u32 v1, vcc_lo, v1, 1
	s_addc_u32 s8, s13, s9
	v_add_co_u32 v13, s2, s2, v4
	v_add_co_ci_u32_e32 v2, vcc_lo, 0, v2, vcc_lo
	v_add_co_ci_u32_e64 v14, null, s8, 0, s2
	v_mov_b32_e32 v4, 0
	s_mov_b32 s12, 0
	s_mov_b64 s[8:9], 0
	s_branch .LBB79_10
.LBB79_9:                               ;   in Loop: Header=BB79_10 Depth=1
	s_or_b32 exec_lo, exec_lo, s2
	v_add_nc_u32_e32 v15, s28, v15
	global_store_b8 v[1:2], v7, off
	v_add_co_u32 v1, s2, v1, s21
	s_delay_alu instid0(VALU_DEP_1) | instskip(SKIP_4) | instid1(SALU_CYCLE_1)
	v_add_co_ci_u32_e64 v2, s2, 0, v2, s2
	v_cmp_le_i32_e32 vcc_lo, s20, v15
	s_add_u32 s8, s8, s3
	s_addc_u32 s9, s9, 0
	s_or_b32 s12, vcc_lo, s12
	s_and_not1_b32 exec_lo, exec_lo, s12
	s_cbranch_execz .LBB79_46
.LBB79_10:                              ; =>This Inner Loop Header: Depth=1
	v_add_co_u32 v5, vcc_lo, v11, s8
	v_add_co_ci_u32_e32 v6, vcc_lo, s9, v12, vcc_lo
	v_add_co_u32 v18, vcc_lo, v13, s8
	v_add_co_ci_u32_e32 v19, vcc_lo, s9, v14, vcc_lo
	;; [unrolled: 2-line block ×3, first 2 shown]
	global_load_b32 v3, v[5:6], off
	global_load_b32 v6, v[18:19], off
	;; [unrolled: 1-line block ×3, first 2 shown]
	s_mov_b32 s2, exec_lo
	s_waitcnt vmcnt(2)
	v_cvt_f16_f32_e32 v3, v3
	s_waitcnt vmcnt(1)
	v_lshrrev_b32_e32 v7, 16, v6
	s_waitcnt vmcnt(0)
	v_cvt_f16_f32_e32 v8, v5
	s_delay_alu instid0(VALU_DEP_2) | instskip(NEXT) | instid1(VALU_DEP_1)
	v_mul_f16_e32 v5, v7, v3
	v_fma_f16 v22, v6, v8, -v5
	s_delay_alu instid0(VALU_DEP_1) | instskip(SKIP_1) | instid1(VALU_DEP_1)
	v_cvt_f32_f16_e32 v5, v22
	s_waitcnt lgkmcnt(0)
	v_div_scale_f32 v16, null, s34, s34, v5
	s_delay_alu instid0(VALU_DEP_1) | instskip(SKIP_2) | instid1(VALU_DEP_1)
	v_rcp_f32_e32 v17, v16
	s_waitcnt_depctr 0xfff
	v_fma_f32 v20, -v16, v17, 1.0
	v_fmac_f32_e32 v17, v20, v17
	v_div_scale_f32 v20, vcc_lo, v5, s34, v5
	s_delay_alu instid0(VALU_DEP_1) | instskip(NEXT) | instid1(VALU_DEP_1)
	v_mul_f32_e32 v21, v20, v17
	v_fma_f32 v23, -v16, v21, v20
	s_delay_alu instid0(VALU_DEP_1) | instskip(NEXT) | instid1(VALU_DEP_1)
	v_fmac_f32_e32 v21, v23, v17
	v_fma_f32 v16, -v16, v21, v20
	s_delay_alu instid0(VALU_DEP_1) | instskip(SKIP_1) | instid1(VALU_DEP_2)
	v_div_fmas_f32 v16, v16, v17, v21
	v_mov_b32_e32 v21, v4
	v_div_fixup_f32 v5, v16, s34, v5
	v_mul_f16_e32 v16, v7, v8
	s_delay_alu instid0(VALU_DEP_2) | instskip(NEXT) | instid1(VALU_DEP_2)
	v_cvt_f16_f32_e32 v5, v5
	v_fmac_f16_e32 v16, v6, v3
	s_delay_alu instid0(VALU_DEP_2) | instskip(NEXT) | instid1(VALU_DEP_2)
	v_cvt_f32_f16_e32 v5, v5
	v_pack_b32_f16 v8, v22, v16
	s_delay_alu instid0(VALU_DEP_2) | instskip(SKIP_4) | instid1(VALU_DEP_1)
	v_lshrrev_b32_e32 v7, 24, v5
	v_and_b32_e32 v20, 0x7f800000, v5
	v_and_b32_e32 v3, 0x7fffff, v5
	global_store_b32 v[18:19], v8, off
	v_and_b32_e32 v17, 0x80, v7
	v_or_b32_e32 v6, 0x7e, v17
	v_cmpx_ne_u64_e32 0x7f800000, v[20:21]
	s_xor_b32 s13, exec_lo, s2
	s_cbranch_execz .LBB79_26
; %bb.11:                               ;   in Loop: Header=BB79_10 Depth=1
	v_dual_mov_b32 v8, v4 :: v_dual_and_b32 v7, 0x7fffffff, v5
	s_mov_b32 s2, exec_lo
	s_delay_alu instid0(VALU_DEP_1)
	v_cmpx_gt_u64_e32 0x43e00001, v[7:8]
	s_xor_b32 s29, exec_lo, s2
	s_cbranch_execz .LBB79_25
; %bb.12:                               ;   in Loop: Header=BB79_10 Depth=1
	v_mov_b32_e32 v6, 0
	s_mov_b32 s35, exec_lo
	v_cmpx_ne_u32_e32 0, v5
	s_cbranch_execz .LBB79_24
; %bb.13:                               ;   in Loop: Header=BB79_10 Depth=1
	v_bfe_u32 v18, v5, 23, 8
	v_or_b32_e32 v7, 0x800000, v3
	s_delay_alu instid0(VALU_DEP_2) | instskip(SKIP_1) | instid1(VALU_DEP_2)
	v_sub_nc_u32_e32 v5, 0x79, v18
	v_cmp_gt_u32_e32 vcc_lo, 0x7a, v18
	v_cndmask_b32_e32 v5, 0, v5, vcc_lo
	v_cmp_eq_u32_e32 vcc_lo, 0, v18
	s_delay_alu instid0(VALU_DEP_2) | instskip(SKIP_1) | instid1(VALU_DEP_2)
	v_cndmask_b32_e64 v19, v5, 0x78, vcc_lo
	v_cndmask_b32_e32 v3, v7, v3, vcc_lo
	v_add_nc_u32_e32 v5, 20, v19
	v_add_nc_u32_e32 v7, 19, v19
	s_delay_alu instid0(VALU_DEP_2) | instskip(NEXT) | instid1(VALU_DEP_2)
	v_lshlrev_b64 v[5:6], v5, -1
	v_lshlrev_b64 v[7:8], v7, 1
	s_delay_alu instid0(VALU_DEP_2) | instskip(NEXT) | instid1(VALU_DEP_3)
	v_not_b32_e32 v6, v6
	v_not_b32_e32 v5, v5
	s_delay_alu instid0(VALU_DEP_2) | instskip(NEXT) | instid1(VALU_DEP_2)
	v_and_b32_e32 v21, 0, v6
	v_and_b32_e32 v20, v3, v5
	v_lshrrev_b64 v[5:6], v19, v[3:4]
	s_delay_alu instid0(VALU_DEP_2) | instskip(NEXT) | instid1(VALU_DEP_2)
	v_cmp_eq_u64_e64 s2, v[20:21], v[7:8]
	v_dual_mov_b32 v8, v6 :: v_dual_mov_b32 v7, v5
	s_delay_alu instid0(VALU_DEP_2)
	s_and_saveexec_b32 s36, s2
; %bb.14:                               ;   in Loop: Header=BB79_10 Depth=1
	v_bfe_u32 v3, v5, 20, 1
	s_delay_alu instid0(VALU_DEP_1) | instskip(NEXT) | instid1(VALU_DEP_1)
	v_add_co_u32 v3, s2, v5, v3
	v_add_co_u32 v7, s2, v3, -1
; %bb.15:                               ;   in Loop: Header=BB79_10 Depth=1
	s_or_b32 exec_lo, exec_lo, s36
	v_add_nc_u32_e32 v3, 0xffffff81, v18
	v_lshrrev_b32_e32 v8, 23, v5
	s_mov_b32 s2, exec_lo
	s_delay_alu instid0(VALU_DEP_2) | instskip(NEXT) | instid1(VALU_DEP_1)
	v_cndmask_b32_e64 v3, v3, 0xffffff82, vcc_lo
	v_add3_u32 v8, v19, v3, v8
	v_and_b32_e32 v3, 0xfffff, v7
	s_delay_alu instid0(VALU_DEP_2) | instskip(NEXT) | instid1(VALU_DEP_2)
	v_add_nc_u32_e32 v7, 6, v8
	v_add_co_u32 v5, vcc_lo, v3, v5
	v_add_co_ci_u32_e32 v6, vcc_lo, 0, v6, vcc_lo
                                        ; implicit-def: $vgpr3
	s_delay_alu instid0(VALU_DEP_3)
	v_cmpx_ne_u32_e32 0, v7
	s_xor_b32 s2, exec_lo, s2
; %bb.16:                               ;   in Loop: Header=BB79_10 Depth=1
	s_delay_alu instid0(VALU_DEP_2) | instskip(SKIP_1) | instid1(VALU_DEP_1)
	v_cmp_lt_u64_e32 vcc_lo, 0xffffff, v[5:6]
	v_add_nc_u32_e32 v3, 7, v8
	v_cndmask_b32_e32 v3, v7, v3, vcc_lo
	v_cndmask_b32_e64 v7, 0, 1, vcc_lo
	s_delay_alu instid0(VALU_DEP_1)
	v_lshrrev_b64 v[5:6], v7, v[5:6]
; %bb.17:                               ;   in Loop: Header=BB79_10 Depth=1
	s_and_not1_saveexec_b32 s2, s2
; %bb.18:                               ;   in Loop: Header=BB79_10 Depth=1
	s_delay_alu instid0(VALU_DEP_1)
	v_bfe_u32 v3, v5, 23, 1
; %bb.19:                               ;   in Loop: Header=BB79_10 Depth=1
	s_or_b32 exec_lo, exec_lo, s2
	s_delay_alu instid0(VALU_DEP_2) | instskip(NEXT) | instid1(VALU_DEP_2)
	v_lshrrev_b64 v[5:6], 20, v[5:6]
	v_cmp_gt_i32_e32 vcc_lo, 16, v3
	v_cmp_ne_u32_e64 s2, 0, v3
	s_delay_alu instid0(VALU_DEP_3) | instskip(NEXT) | instid1(VALU_DEP_1)
	v_dual_cndmask_b32 v6, 0, v6 :: v_dual_cndmask_b32 v5, 7, v5
	v_cmp_ne_u64_e32 vcc_lo, 0, v[5:6]
                                        ; implicit-def: $vgpr6
	s_delay_alu instid0(VALU_DEP_3) | instskip(NEXT) | instid1(SALU_CYCLE_1)
	s_or_b32 s2, s2, vcc_lo
	s_and_saveexec_b32 s36, s2
	s_delay_alu instid0(SALU_CYCLE_1)
	s_xor_b32 s2, exec_lo, s36
; %bb.20:                               ;   in Loop: Header=BB79_10 Depth=1
	v_min_i32_e32 v3, 15, v3
	s_delay_alu instid0(VALU_DEP_1) | instskip(NEXT) | instid1(VALU_DEP_1)
	v_lshl_or_b32 v3, v3, 3, v17
                                        ; implicit-def: $vgpr17
	v_and_or_b32 v6, v5, 7, v3
; %bb.21:                               ;   in Loop: Header=BB79_10 Depth=1
	s_and_not1_saveexec_b32 s2, s2
; %bb.22:                               ;   in Loop: Header=BB79_10 Depth=1
	v_mov_b32_e32 v6, v17
; %bb.23:                               ;   in Loop: Header=BB79_10 Depth=1
	s_or_b32 exec_lo, exec_lo, s2
.LBB79_24:                              ;   in Loop: Header=BB79_10 Depth=1
	s_delay_alu instid0(SALU_CYCLE_1)
	s_or_b32 exec_lo, exec_lo, s35
.LBB79_25:                              ;   in Loop: Header=BB79_10 Depth=1
	s_and_not1_saveexec_b32 s2, s29
	s_delay_alu instid0(SALU_CYCLE_1)
	s_or_b32 exec_lo, exec_lo, s2
                                        ; implicit-def: $vgpr7
.LBB79_26:                              ;   in Loop: Header=BB79_10 Depth=1
	s_and_not1_saveexec_b32 s2, s13
; %bb.27:                               ;   in Loop: Header=BB79_10 Depth=1
	v_cmp_eq_u64_e32 vcc_lo, 0, v[3:4]
	v_or_b32_e32 v5, 0x7f, v7
	s_delay_alu instid0(VALU_DEP_1)
	v_cndmask_b32_e32 v6, v5, v6, vcc_lo
; %bb.28:                               ;   in Loop: Header=BB79_10 Depth=1
	s_or_b32 exec_lo, exec_lo, s2
	v_cvt_f32_f16_e32 v3, v16
	v_mov_b32_e32 v18, v4
	global_store_b8 v[1:2], v6, off offset:-1
	s_mov_b32 s2, exec_lo
	v_div_scale_f32 v5, null, s34, s34, v3
	s_delay_alu instid0(VALU_DEP_1) | instskip(SKIP_2) | instid1(VALU_DEP_1)
	v_rcp_f32_e32 v7, v5
	s_waitcnt_depctr 0xfff
	v_fma_f32 v8, -v5, v7, 1.0
	v_fmac_f32_e32 v7, v8, v7
	v_div_scale_f32 v8, vcc_lo, v3, s34, v3
	s_delay_alu instid0(VALU_DEP_1) | instskip(NEXT) | instid1(VALU_DEP_1)
	v_mul_f32_e32 v16, v8, v7
	v_fma_f32 v17, -v5, v16, v8
	s_delay_alu instid0(VALU_DEP_1) | instskip(NEXT) | instid1(VALU_DEP_1)
	v_fmac_f32_e32 v16, v17, v7
	v_fma_f32 v5, -v5, v16, v8
	s_delay_alu instid0(VALU_DEP_1) | instskip(NEXT) | instid1(VALU_DEP_1)
	v_div_fmas_f32 v5, v5, v7, v16
	v_div_fixup_f32 v3, v5, s34, v3
	s_delay_alu instid0(VALU_DEP_1) | instskip(NEXT) | instid1(VALU_DEP_1)
	v_cvt_f16_f32_e32 v3, v3
	v_cvt_f32_f16_e32 v5, v3
	s_delay_alu instid0(VALU_DEP_1) | instskip(SKIP_2) | instid1(VALU_DEP_2)
	v_and_b32_e32 v3, 0x7fffff, v5
	v_lshrrev_b32_e32 v8, 24, v5
	v_and_b32_e32 v17, 0x7f800000, v5
	v_and_b32_e32 v16, 0x80, v8
	s_delay_alu instid0(VALU_DEP_1) | instskip(NEXT) | instid1(VALU_DEP_3)
	v_or_b32_e32 v7, 0x7e, v16
	v_cmpx_ne_u64_e32 0x7f800000, v[17:18]
	s_xor_b32 s13, exec_lo, s2
	s_cbranch_execz .LBB79_44
; %bb.29:                               ;   in Loop: Header=BB79_10 Depth=1
	v_dual_mov_b32 v18, v4 :: v_dual_and_b32 v17, 0x7fffffff, v5
	s_mov_b32 s2, exec_lo
	s_delay_alu instid0(VALU_DEP_1)
	v_cmpx_gt_u64_e32 0x43e00001, v[17:18]
	s_xor_b32 s29, exec_lo, s2
	s_cbranch_execz .LBB79_43
; %bb.30:                               ;   in Loop: Header=BB79_10 Depth=1
	v_mov_b32_e32 v7, 0
	s_mov_b32 s35, exec_lo
	v_cmpx_ne_u32_e32 0, v5
	s_cbranch_execz .LBB79_42
; %bb.31:                               ;   in Loop: Header=BB79_10 Depth=1
	v_bfe_u32 v17, v5, 23, 8
	v_or_b32_e32 v7, 0x800000, v3
	s_delay_alu instid0(VALU_DEP_2) | instskip(SKIP_1) | instid1(VALU_DEP_2)
	v_sub_nc_u32_e32 v5, 0x79, v17
	v_cmp_gt_u32_e32 vcc_lo, 0x7a, v17
	v_cndmask_b32_e32 v5, 0, v5, vcc_lo
	v_cmp_eq_u32_e32 vcc_lo, 0, v17
	s_delay_alu instid0(VALU_DEP_2) | instskip(SKIP_1) | instid1(VALU_DEP_2)
	v_cndmask_b32_e64 v18, v5, 0x78, vcc_lo
	v_cndmask_b32_e32 v3, v7, v3, vcc_lo
	v_add_nc_u32_e32 v5, 20, v18
	v_add_nc_u32_e32 v7, 19, v18
	s_delay_alu instid0(VALU_DEP_2) | instskip(NEXT) | instid1(VALU_DEP_2)
	v_lshlrev_b64 v[5:6], v5, -1
	v_lshlrev_b64 v[7:8], v7, 1
	s_delay_alu instid0(VALU_DEP_2) | instskip(NEXT) | instid1(VALU_DEP_3)
	v_not_b32_e32 v6, v6
	v_not_b32_e32 v5, v5
	s_delay_alu instid0(VALU_DEP_2) | instskip(NEXT) | instid1(VALU_DEP_2)
	v_and_b32_e32 v20, 0, v6
	v_and_b32_e32 v19, v3, v5
	v_lshrrev_b64 v[5:6], v18, v[3:4]
	s_delay_alu instid0(VALU_DEP_2) | instskip(NEXT) | instid1(VALU_DEP_2)
	v_cmp_eq_u64_e64 s2, v[19:20], v[7:8]
	v_dual_mov_b32 v8, v6 :: v_dual_mov_b32 v7, v5
	s_delay_alu instid0(VALU_DEP_2)
	s_and_saveexec_b32 s36, s2
; %bb.32:                               ;   in Loop: Header=BB79_10 Depth=1
	v_bfe_u32 v3, v5, 20, 1
	s_delay_alu instid0(VALU_DEP_1) | instskip(NEXT) | instid1(VALU_DEP_1)
	v_add_co_u32 v3, s2, v5, v3
	v_add_co_u32 v7, s2, v3, -1
; %bb.33:                               ;   in Loop: Header=BB79_10 Depth=1
	s_or_b32 exec_lo, exec_lo, s36
	v_add_nc_u32_e32 v3, 0xffffff81, v17
	v_lshrrev_b32_e32 v8, 23, v5
	s_mov_b32 s2, exec_lo
	s_delay_alu instid0(VALU_DEP_2) | instskip(NEXT) | instid1(VALU_DEP_1)
	v_cndmask_b32_e64 v3, v3, 0xffffff82, vcc_lo
	v_add3_u32 v8, v18, v3, v8
	v_and_b32_e32 v3, 0xfffff, v7
	s_delay_alu instid0(VALU_DEP_2) | instskip(NEXT) | instid1(VALU_DEP_2)
	v_add_nc_u32_e32 v7, 6, v8
	v_add_co_u32 v5, vcc_lo, v3, v5
	v_add_co_ci_u32_e32 v6, vcc_lo, 0, v6, vcc_lo
                                        ; implicit-def: $vgpr3
	s_delay_alu instid0(VALU_DEP_3)
	v_cmpx_ne_u32_e32 0, v7
	s_xor_b32 s2, exec_lo, s2
; %bb.34:                               ;   in Loop: Header=BB79_10 Depth=1
	s_delay_alu instid0(VALU_DEP_2) | instskip(SKIP_1) | instid1(VALU_DEP_1)
	v_cmp_lt_u64_e32 vcc_lo, 0xffffff, v[5:6]
	v_add_nc_u32_e32 v3, 7, v8
	v_cndmask_b32_e32 v3, v7, v3, vcc_lo
	v_cndmask_b32_e64 v7, 0, 1, vcc_lo
	s_delay_alu instid0(VALU_DEP_1)
	v_lshrrev_b64 v[5:6], v7, v[5:6]
; %bb.35:                               ;   in Loop: Header=BB79_10 Depth=1
	s_and_not1_saveexec_b32 s2, s2
; %bb.36:                               ;   in Loop: Header=BB79_10 Depth=1
	s_delay_alu instid0(VALU_DEP_1)
	v_bfe_u32 v3, v5, 23, 1
; %bb.37:                               ;   in Loop: Header=BB79_10 Depth=1
	s_or_b32 exec_lo, exec_lo, s2
	s_delay_alu instid0(VALU_DEP_2) | instskip(NEXT) | instid1(VALU_DEP_2)
	v_lshrrev_b64 v[5:6], 20, v[5:6]
	v_cmp_gt_i32_e32 vcc_lo, 16, v3
	v_cmp_ne_u32_e64 s2, 0, v3
                                        ; implicit-def: $vgpr7
	s_delay_alu instid0(VALU_DEP_3) | instskip(NEXT) | instid1(VALU_DEP_1)
	v_dual_cndmask_b32 v6, 0, v6 :: v_dual_cndmask_b32 v5, 7, v5
	v_cmp_ne_u64_e32 vcc_lo, 0, v[5:6]
	s_delay_alu instid0(VALU_DEP_3) | instskip(NEXT) | instid1(SALU_CYCLE_1)
	s_or_b32 s2, s2, vcc_lo
	s_and_saveexec_b32 s36, s2
	s_delay_alu instid0(SALU_CYCLE_1)
	s_xor_b32 s2, exec_lo, s36
; %bb.38:                               ;   in Loop: Header=BB79_10 Depth=1
	v_min_i32_e32 v3, 15, v3
	s_delay_alu instid0(VALU_DEP_1) | instskip(NEXT) | instid1(VALU_DEP_1)
	v_lshl_or_b32 v3, v3, 3, v16
                                        ; implicit-def: $vgpr16
	v_and_or_b32 v7, v5, 7, v3
; %bb.39:                               ;   in Loop: Header=BB79_10 Depth=1
	s_and_not1_saveexec_b32 s2, s2
; %bb.40:                               ;   in Loop: Header=BB79_10 Depth=1
	v_mov_b32_e32 v7, v16
; %bb.41:                               ;   in Loop: Header=BB79_10 Depth=1
	s_or_b32 exec_lo, exec_lo, s2
.LBB79_42:                              ;   in Loop: Header=BB79_10 Depth=1
	s_delay_alu instid0(SALU_CYCLE_1)
	s_or_b32 exec_lo, exec_lo, s35
.LBB79_43:                              ;   in Loop: Header=BB79_10 Depth=1
	s_and_not1_saveexec_b32 s2, s29
	s_delay_alu instid0(SALU_CYCLE_1)
	s_or_b32 exec_lo, exec_lo, s2
                                        ; implicit-def: $vgpr8
.LBB79_44:                              ;   in Loop: Header=BB79_10 Depth=1
	s_and_not1_saveexec_b32 s2, s13
	s_cbranch_execz .LBB79_9
; %bb.45:                               ;   in Loop: Header=BB79_10 Depth=1
	v_cmp_eq_u64_e32 vcc_lo, 0, v[3:4]
	v_or_b32_e32 v5, 0x7f, v8
	s_delay_alu instid0(VALU_DEP_1)
	v_cndmask_b32_e32 v7, v5, v7, vcc_lo
	s_branch .LBB79_9
.LBB79_46:
	s_or_b32 exec_lo, exec_lo, s33
	s_delay_alu instid0(SALU_CYCLE_1)
	s_mov_b32 s2, exec_lo
	v_cmpx_gt_i32_e64 s6, v0
	s_cbranch_execz .LBB79_67
; %bb.47:
	s_mul_i32 s3, s16, s11
	s_mul_hi_u32 s8, s16, s10
	s_mul_i32 s2, s16, s10
	s_add_i32 s3, s8, s3
	s_load_b32 s0, s[0:1], 0x8c
	s_lshl_b64 s[2:3], s[2:3], 1
	v_mov_b32_e32 v3, 0
	s_add_u32 s1, s14, s2
	s_addc_u32 s2, s15, s3
	s_waitcnt lgkmcnt(0)
	s_load_b32 s3, s[24:25], 0x0
	s_ashr_i32 s4, s4, 31
	s_delay_alu instid0(SALU_CYCLE_1) | instskip(NEXT) | instid1(SALU_CYCLE_1)
	s_mul_i32 s4, s22, s4
	s_add_i32 s4, s27, s4
	s_delay_alu instid0(SALU_CYCLE_1) | instskip(SKIP_3) | instid1(SALU_CYCLE_1)
	s_add_i32 s4, s4, s30
	s_add_u32 s8, s18, s31
	s_addc_u32 s9, s19, s4
	s_ashr_i32 s4, s5, 31
	s_mul_i32 s7, s7, s4
	s_delay_alu instid0(SALU_CYCLE_1) | instskip(NEXT) | instid1(SALU_CYCLE_1)
	s_add_i32 s4, s26, s7
	s_add_i32 s5, s4, s17
	s_add_u32 s4, s8, s23
	s_addc_u32 s5, s9, s5
	s_and_b32 s7, s0, 0xffff
	s_mov_b32 s8, 0
	s_branch .LBB79_49
.LBB79_48:                              ;   in Loop: Header=BB79_49 Depth=1
	s_or_b32 exec_lo, exec_lo, s0
	v_add_co_u32 v6, vcc_lo, s4, v0
	v_add_nc_u32_e32 v0, s7, v0
	v_add_co_ci_u32_e32 v7, vcc_lo, s5, v1, vcc_lo
	s_delay_alu instid0(VALU_DEP_2) | instskip(SKIP_2) | instid1(SALU_CYCLE_1)
	v_cmp_le_i32_e32 vcc_lo, s6, v0
	global_store_b8 v[6:7], v5, off
	s_or_b32 s8, vcc_lo, s8
	s_and_not1_b32 exec_lo, exec_lo, s8
	s_cbranch_execz .LBB79_67
.LBB79_49:                              ; =>This Inner Loop Header: Depth=1
	v_ashrrev_i32_e32 v1, 31, v0
	s_mov_b32 s0, exec_lo
	v_mov_b32_e32 v10, v3
	s_delay_alu instid0(VALU_DEP_2) | instskip(NEXT) | instid1(VALU_DEP_1)
	v_lshlrev_b64 v[4:5], 1, v[0:1]
	v_add_co_u32 v4, vcc_lo, s1, v4
	s_delay_alu instid0(VALU_DEP_2) | instskip(SKIP_4) | instid1(VALU_DEP_1)
	v_add_co_ci_u32_e32 v5, vcc_lo, s2, v5, vcc_lo
	global_load_u16 v2, v[4:5], off
	s_waitcnt vmcnt(0)
	v_cvt_f32_f16_e32 v2, v2
	s_waitcnt lgkmcnt(0)
	v_div_scale_f32 v4, null, s3, s3, v2
	s_delay_alu instid0(VALU_DEP_1) | instskip(SKIP_2) | instid1(VALU_DEP_1)
	v_rcp_f32_e32 v5, v4
	s_waitcnt_depctr 0xfff
	v_fma_f32 v6, -v4, v5, 1.0
	v_fmac_f32_e32 v5, v6, v5
	v_div_scale_f32 v6, vcc_lo, v2, s3, v2
	s_delay_alu instid0(VALU_DEP_1) | instskip(NEXT) | instid1(VALU_DEP_1)
	v_mul_f32_e32 v7, v6, v5
	v_fma_f32 v8, -v4, v7, v6
	s_delay_alu instid0(VALU_DEP_1) | instskip(NEXT) | instid1(VALU_DEP_1)
	v_fmac_f32_e32 v7, v8, v5
	v_fma_f32 v4, -v4, v7, v6
	s_delay_alu instid0(VALU_DEP_1) | instskip(NEXT) | instid1(VALU_DEP_1)
	v_div_fmas_f32 v4, v4, v5, v7
	v_div_fixup_f32 v2, v4, s3, v2
	s_delay_alu instid0(VALU_DEP_1) | instskip(NEXT) | instid1(VALU_DEP_1)
	v_cvt_f16_f32_e32 v2, v2
	v_cvt_f32_f16_e32 v4, v2
	s_delay_alu instid0(VALU_DEP_1) | instskip(SKIP_2) | instid1(VALU_DEP_2)
	v_and_b32_e32 v2, 0x7fffff, v4
	v_lshrrev_b32_e32 v6, 24, v4
	v_and_b32_e32 v9, 0x7f800000, v4
	v_and_b32_e32 v8, 0x80, v6
	s_delay_alu instid0(VALU_DEP_1) | instskip(NEXT) | instid1(VALU_DEP_3)
	v_or_b32_e32 v5, 0x7e, v8
	v_cmpx_ne_u64_e32 0x7f800000, v[9:10]
	s_xor_b32 s9, exec_lo, s0
	s_cbranch_execz .LBB79_65
; %bb.50:                               ;   in Loop: Header=BB79_49 Depth=1
	v_dual_mov_b32 v7, v3 :: v_dual_and_b32 v6, 0x7fffffff, v4
	s_mov_b32 s0, exec_lo
	s_delay_alu instid0(VALU_DEP_1)
	v_cmpx_gt_u64_e32 0x43e00001, v[6:7]
	s_xor_b32 s10, exec_lo, s0
	s_cbranch_execz .LBB79_64
; %bb.51:                               ;   in Loop: Header=BB79_49 Depth=1
	v_mov_b32_e32 v5, 0
	s_mov_b32 s11, exec_lo
	v_cmpx_ne_u32_e32 0, v4
	s_cbranch_execz .LBB79_63
; %bb.52:                               ;   in Loop: Header=BB79_49 Depth=1
	v_bfe_u32 v9, v4, 23, 8
	v_or_b32_e32 v6, 0x800000, v2
	s_delay_alu instid0(VALU_DEP_2) | instskip(SKIP_1) | instid1(VALU_DEP_2)
	v_sub_nc_u32_e32 v4, 0x79, v9
	v_cmp_gt_u32_e32 vcc_lo, 0x7a, v9
	v_cndmask_b32_e32 v4, 0, v4, vcc_lo
	v_cmp_eq_u32_e32 vcc_lo, 0, v9
	s_delay_alu instid0(VALU_DEP_2) | instskip(SKIP_1) | instid1(VALU_DEP_2)
	v_cndmask_b32_e64 v10, v4, 0x78, vcc_lo
	v_cndmask_b32_e32 v2, v6, v2, vcc_lo
	v_add_nc_u32_e32 v4, 20, v10
	v_add_nc_u32_e32 v6, 19, v10
	s_delay_alu instid0(VALU_DEP_2) | instskip(NEXT) | instid1(VALU_DEP_2)
	v_lshlrev_b64 v[4:5], v4, -1
	v_lshlrev_b64 v[6:7], v6, 1
	s_delay_alu instid0(VALU_DEP_2) | instskip(NEXT) | instid1(VALU_DEP_3)
	v_not_b32_e32 v5, v5
	v_not_b32_e32 v4, v4
	s_delay_alu instid0(VALU_DEP_2) | instskip(NEXT) | instid1(VALU_DEP_2)
	v_and_b32_e32 v12, 0, v5
	v_and_b32_e32 v11, v2, v4
	v_lshrrev_b64 v[4:5], v10, v[2:3]
	s_delay_alu instid0(VALU_DEP_2) | instskip(NEXT) | instid1(VALU_DEP_2)
	v_cmp_eq_u64_e64 s0, v[11:12], v[6:7]
	v_dual_mov_b32 v7, v5 :: v_dual_mov_b32 v6, v4
	s_delay_alu instid0(VALU_DEP_2)
	s_and_saveexec_b32 s12, s0
; %bb.53:                               ;   in Loop: Header=BB79_49 Depth=1
	v_bfe_u32 v2, v4, 20, 1
	s_delay_alu instid0(VALU_DEP_1) | instskip(NEXT) | instid1(VALU_DEP_1)
	v_add_co_u32 v2, s0, v4, v2
	v_add_co_u32 v6, s0, v2, -1
; %bb.54:                               ;   in Loop: Header=BB79_49 Depth=1
	s_or_b32 exec_lo, exec_lo, s12
	v_add_nc_u32_e32 v2, 0xffffff81, v9
	v_lshrrev_b32_e32 v7, 23, v4
	s_mov_b32 s0, exec_lo
	s_delay_alu instid0(VALU_DEP_2) | instskip(NEXT) | instid1(VALU_DEP_1)
	v_cndmask_b32_e64 v2, v2, 0xffffff82, vcc_lo
	v_add3_u32 v7, v10, v2, v7
	v_and_b32_e32 v2, 0xfffff, v6
	s_delay_alu instid0(VALU_DEP_2) | instskip(NEXT) | instid1(VALU_DEP_2)
	v_add_nc_u32_e32 v6, 6, v7
	v_add_co_u32 v4, vcc_lo, v2, v4
	v_add_co_ci_u32_e32 v5, vcc_lo, 0, v5, vcc_lo
                                        ; implicit-def: $vgpr2
	s_delay_alu instid0(VALU_DEP_3)
	v_cmpx_ne_u32_e32 0, v6
	s_xor_b32 s0, exec_lo, s0
; %bb.55:                               ;   in Loop: Header=BB79_49 Depth=1
	s_delay_alu instid0(VALU_DEP_2) | instskip(SKIP_1) | instid1(VALU_DEP_1)
	v_cmp_lt_u64_e32 vcc_lo, 0xffffff, v[4:5]
	v_add_nc_u32_e32 v2, 7, v7
	v_cndmask_b32_e32 v2, v6, v2, vcc_lo
	v_cndmask_b32_e64 v6, 0, 1, vcc_lo
	s_delay_alu instid0(VALU_DEP_1)
	v_lshrrev_b64 v[4:5], v6, v[4:5]
; %bb.56:                               ;   in Loop: Header=BB79_49 Depth=1
	s_and_not1_saveexec_b32 s0, s0
; %bb.57:                               ;   in Loop: Header=BB79_49 Depth=1
	s_delay_alu instid0(VALU_DEP_1)
	v_bfe_u32 v2, v4, 23, 1
; %bb.58:                               ;   in Loop: Header=BB79_49 Depth=1
	s_or_b32 exec_lo, exec_lo, s0
	s_delay_alu instid0(VALU_DEP_2) | instskip(NEXT) | instid1(VALU_DEP_2)
	v_lshrrev_b64 v[4:5], 20, v[4:5]
	v_cmp_gt_i32_e32 vcc_lo, 16, v2
	v_cmp_ne_u32_e64 s0, 0, v2
	s_delay_alu instid0(VALU_DEP_3) | instskip(NEXT) | instid1(VALU_DEP_1)
	v_dual_cndmask_b32 v5, 0, v5 :: v_dual_cndmask_b32 v4, 7, v4
	v_cmp_ne_u64_e32 vcc_lo, 0, v[4:5]
                                        ; implicit-def: $vgpr5
	s_delay_alu instid0(VALU_DEP_3) | instskip(NEXT) | instid1(SALU_CYCLE_1)
	s_or_b32 s0, s0, vcc_lo
	s_and_saveexec_b32 s12, s0
	s_delay_alu instid0(SALU_CYCLE_1)
	s_xor_b32 s0, exec_lo, s12
; %bb.59:                               ;   in Loop: Header=BB79_49 Depth=1
	v_min_i32_e32 v2, 15, v2
	s_delay_alu instid0(VALU_DEP_1) | instskip(NEXT) | instid1(VALU_DEP_1)
	v_lshl_or_b32 v2, v2, 3, v8
                                        ; implicit-def: $vgpr8
	v_and_or_b32 v5, v4, 7, v2
; %bb.60:                               ;   in Loop: Header=BB79_49 Depth=1
	s_and_not1_saveexec_b32 s0, s0
; %bb.61:                               ;   in Loop: Header=BB79_49 Depth=1
	v_mov_b32_e32 v5, v8
; %bb.62:                               ;   in Loop: Header=BB79_49 Depth=1
	s_or_b32 exec_lo, exec_lo, s0
.LBB79_63:                              ;   in Loop: Header=BB79_49 Depth=1
	s_delay_alu instid0(SALU_CYCLE_1)
	s_or_b32 exec_lo, exec_lo, s11
.LBB79_64:                              ;   in Loop: Header=BB79_49 Depth=1
	s_and_not1_saveexec_b32 s0, s10
	s_delay_alu instid0(SALU_CYCLE_1)
	s_or_b32 exec_lo, exec_lo, s0
                                        ; implicit-def: $vgpr6
.LBB79_65:                              ;   in Loop: Header=BB79_49 Depth=1
	s_and_not1_saveexec_b32 s0, s9
	s_cbranch_execz .LBB79_48
; %bb.66:                               ;   in Loop: Header=BB79_49 Depth=1
	v_cmp_eq_u64_e32 vcc_lo, 0, v[2:3]
	v_or_b32_e32 v4, 0x7f, v6
	s_delay_alu instid0(VALU_DEP_1)
	v_cndmask_b32_e32 v5, v4, v5, vcc_lo
	s_branch .LBB79_48
.LBB79_67:
	s_nop 0
	s_sendmsg sendmsg(MSG_DEALLOC_VGPRS)
	s_endpgm
.LBB79_68:
                                        ; implicit-def: $sgpr22_sgpr23
	s_branch .LBB79_6
	.section	.rodata,"a",@progbits
	.p2align	6, 0x0
	.amdhsa_kernel _ZN4vllm38concat_and_cache_mla_rope_fused_kernelIN3c104HalfEfLb0EthLNS_18Fp8KVCacheDataTypeE1EEEvPKlPT_S7_PKS6_PKT0_illlliPT3_S5_iiiiPKf
		.amdhsa_group_segment_fixed_size 0
		.amdhsa_private_segment_fixed_size 0
		.amdhsa_kernarg_size 384
		.amdhsa_user_sgpr_count 15
		.amdhsa_user_sgpr_dispatch_ptr 0
		.amdhsa_user_sgpr_queue_ptr 0
		.amdhsa_user_sgpr_kernarg_segment_ptr 1
		.amdhsa_user_sgpr_dispatch_id 0
		.amdhsa_user_sgpr_private_segment_size 0
		.amdhsa_wavefront_size32 1
		.amdhsa_uses_dynamic_stack 0
		.amdhsa_enable_private_segment 0
		.amdhsa_system_sgpr_workgroup_id_x 1
		.amdhsa_system_sgpr_workgroup_id_y 0
		.amdhsa_system_sgpr_workgroup_id_z 0
		.amdhsa_system_sgpr_workgroup_info 0
		.amdhsa_system_vgpr_workitem_id 0
		.amdhsa_next_free_vgpr 24
		.amdhsa_next_free_sgpr 43
		.amdhsa_reserve_vcc 1
		.amdhsa_float_round_mode_32 0
		.amdhsa_float_round_mode_16_64 0
		.amdhsa_float_denorm_mode_32 3
		.amdhsa_float_denorm_mode_16_64 3
		.amdhsa_dx10_clamp 1
		.amdhsa_ieee_mode 1
		.amdhsa_fp16_overflow 0
		.amdhsa_workgroup_processor_mode 1
		.amdhsa_memory_ordered 1
		.amdhsa_forward_progress 0
		.amdhsa_shared_vgpr_count 0
		.amdhsa_exception_fp_ieee_invalid_op 0
		.amdhsa_exception_fp_denorm_src 0
		.amdhsa_exception_fp_ieee_div_zero 0
		.amdhsa_exception_fp_ieee_overflow 0
		.amdhsa_exception_fp_ieee_underflow 0
		.amdhsa_exception_fp_ieee_inexact 0
		.amdhsa_exception_int_div_zero 0
	.end_amdhsa_kernel
	.section	.text._ZN4vllm38concat_and_cache_mla_rope_fused_kernelIN3c104HalfEfLb0EthLNS_18Fp8KVCacheDataTypeE1EEEvPKlPT_S7_PKS6_PKT0_illlliPT3_S5_iiiiPKf,"axG",@progbits,_ZN4vllm38concat_and_cache_mla_rope_fused_kernelIN3c104HalfEfLb0EthLNS_18Fp8KVCacheDataTypeE1EEEvPKlPT_S7_PKS6_PKT0_illlliPT3_S5_iiiiPKf,comdat
.Lfunc_end79:
	.size	_ZN4vllm38concat_and_cache_mla_rope_fused_kernelIN3c104HalfEfLb0EthLNS_18Fp8KVCacheDataTypeE1EEEvPKlPT_S7_PKS6_PKT0_illlliPT3_S5_iiiiPKf, .Lfunc_end79-_ZN4vllm38concat_and_cache_mla_rope_fused_kernelIN3c104HalfEfLb0EthLNS_18Fp8KVCacheDataTypeE1EEEvPKlPT_S7_PKS6_PKT0_illlliPT3_S5_iiiiPKf
                                        ; -- End function
	.section	.AMDGPU.csdata,"",@progbits
; Kernel info:
; codeLenInByte = 4424
; NumSgprs: 45
; NumVgprs: 24
; ScratchSize: 0
; MemoryBound: 0
; FloatMode: 240
; IeeeMode: 1
; LDSByteSize: 0 bytes/workgroup (compile time only)
; SGPRBlocks: 5
; VGPRBlocks: 2
; NumSGPRsForWavesPerEU: 45
; NumVGPRsForWavesPerEU: 24
; Occupancy: 16
; WaveLimiterHint : 1
; COMPUTE_PGM_RSRC2:SCRATCH_EN: 0
; COMPUTE_PGM_RSRC2:USER_SGPR: 15
; COMPUTE_PGM_RSRC2:TRAP_HANDLER: 0
; COMPUTE_PGM_RSRC2:TGID_X_EN: 1
; COMPUTE_PGM_RSRC2:TGID_Y_EN: 0
; COMPUTE_PGM_RSRC2:TGID_Z_EN: 0
; COMPUTE_PGM_RSRC2:TIDIG_COMP_CNT: 0
	.section	.text._ZN4vllm38concat_and_cache_mla_rope_fused_kernelIN3c104HalfES2_Lb1EthLNS_18Fp8KVCacheDataTypeE1EEEvPKlPT_S7_PKS6_PKT0_illlliPT3_S5_iiiiPKf,"axG",@progbits,_ZN4vllm38concat_and_cache_mla_rope_fused_kernelIN3c104HalfES2_Lb1EthLNS_18Fp8KVCacheDataTypeE1EEEvPKlPT_S7_PKS6_PKT0_illlliPT3_S5_iiiiPKf,comdat
	.protected	_ZN4vllm38concat_and_cache_mla_rope_fused_kernelIN3c104HalfES2_Lb1EthLNS_18Fp8KVCacheDataTypeE1EEEvPKlPT_S7_PKS6_PKT0_illlliPT3_S5_iiiiPKf ; -- Begin function _ZN4vllm38concat_and_cache_mla_rope_fused_kernelIN3c104HalfES2_Lb1EthLNS_18Fp8KVCacheDataTypeE1EEEvPKlPT_S7_PKS6_PKT0_illlliPT3_S5_iiiiPKf
	.globl	_ZN4vllm38concat_and_cache_mla_rope_fused_kernelIN3c104HalfES2_Lb1EthLNS_18Fp8KVCacheDataTypeE1EEEvPKlPT_S7_PKS6_PKT0_illlliPT3_S5_iiiiPKf
	.p2align	8
	.type	_ZN4vllm38concat_and_cache_mla_rope_fused_kernelIN3c104HalfES2_Lb1EthLNS_18Fp8KVCacheDataTypeE1EEEvPKlPT_S7_PKS6_PKT0_illlliPT3_S5_iiiiPKf,@function
_ZN4vllm38concat_and_cache_mla_rope_fused_kernelIN3c104HalfES2_Lb1EthLNS_18Fp8KVCacheDataTypeE1EEEvPKlPT_S7_PKS6_PKT0_illlliPT3_S5_iiiiPKf: ; @_ZN4vllm38concat_and_cache_mla_rope_fused_kernelIN3c104HalfES2_Lb1EthLNS_18Fp8KVCacheDataTypeE1EEEvPKlPT_S7_PKS6_PKT0_illlliPT3_S5_iiiiPKf
; %bb.0:
	s_load_b64 s[4:5], s[0:1], 0x60
	s_mov_b32 s16, s15
	s_mov_b32 s17, 0
	s_delay_alu instid0(SALU_CYCLE_1)
	s_lshl_b64 s[2:3], s[16:17], 3
	s_waitcnt lgkmcnt(0)
	s_add_u32 s4, s4, s2
	s_addc_u32 s5, s5, s3
	s_load_b64 s[28:29], s[4:5], 0x0
	s_waitcnt lgkmcnt(0)
	v_cmp_lt_i64_e64 s4, s[28:29], 0
	s_delay_alu instid0(VALU_DEP_1)
	s_and_b32 vcc_lo, exec_lo, s4
	s_cbranch_vccnz .LBB80_67
; %bb.1:
	s_clause 0x2
	s_load_b32 s22, s[0:1], 0x28
	s_load_b64 s[4:5], s[0:1], 0x0
	s_load_b128 s[12:15], s[0:1], 0x10
	s_waitcnt lgkmcnt(0)
	s_ashr_i32 s17, s22, 31
	s_add_u32 s2, s4, s2
	s_addc_u32 s3, s5, s3
	s_load_b64 s[20:21], s[2:3], 0x0
	s_clause 0x3
	s_load_b64 s[2:3], s[0:1], 0x20
	s_load_b32 s23, s[0:1], 0x50
	s_load_b64 s[18:19], s[0:1], 0x58
	s_load_b256 s[4:11], s[0:1], 0x30
	s_waitcnt lgkmcnt(0)
	s_mul_i32 s17, s20, s17
	s_mul_hi_u32 s24, s20, s22
	s_mul_i32 s21, s21, s22
	s_add_i32 s17, s24, s17
	s_mul_i32 s20, s20, s22
	s_add_i32 s21, s17, s21
	s_delay_alu instid0(SALU_CYCLE_1) | instskip(NEXT) | instid1(SALU_CYCLE_1)
	s_lshl_b64 s[26:27], s[20:21], 1
	s_add_u32 s17, s2, s26
	s_addc_u32 s33, s3, s27
	s_lshr_b32 s20, s22, 31
	s_delay_alu instid0(SALU_CYCLE_1) | instskip(NEXT) | instid1(SALU_CYCLE_1)
	s_add_i32 s22, s22, s20
	s_ashr_i32 s20, s22, 1
	s_delay_alu instid0(SALU_CYCLE_1)
	s_mul_i32 s22, s20, s23
	s_mov_b32 s23, exec_lo
	v_cmpx_gt_i32_e64 s22, v0
	s_cbranch_execz .LBB80_4
; %bb.2:
	s_clause 0x1
	s_load_b64 s[24:25], s[0:1], 0x8
	s_load_b32 s31, s[0:1], 0x8c
	s_mul_i32 s5, s16, s5
	s_mul_hi_u32 s21, s16, s4
	s_mul_i32 s4, s16, s4
	s_add_i32 s5, s21, s5
	s_ashr_i32 s21, s20, 31
	s_lshl_b64 s[4:5], s[4:5], 1
	s_mov_b32 s34, 0
	s_waitcnt lgkmcnt(0)
	s_add_u32 s24, s24, s4
	s_addc_u32 s25, s25, s5
	s_abs_i32 s30, s20
	s_and_b32 s31, s31, 0xffff
	v_cvt_f32_u32_e32 v1, s30
	s_sub_i32 s4, 0, s30
	s_sub_i32 s35, 0, s20
	s_delay_alu instid0(VALU_DEP_1) | instskip(SKIP_2) | instid1(VALU_DEP_1)
	v_rcp_iflag_f32_e32 v1, v1
	s_waitcnt_depctr 0xfff
	v_mul_f32_e32 v1, 0x4f7ffffe, v1
	v_cvt_u32_f32_e32 v1, v1
	s_delay_alu instid0(VALU_DEP_1) | instskip(SKIP_1) | instid1(VALU_DEP_1)
	v_mul_lo_u32 v2, s4, v1
	s_lshl_b64 s[4:5], s[20:21], 1
	v_mul_hi_u32 v2, v1, v2
	s_delay_alu instid0(VALU_DEP_1)
	v_dual_mov_b32 v1, v0 :: v_dual_add_nc_u32 v2, v1, v2
.LBB80_3:                               ; =>This Inner Loop Header: Depth=1
	s_delay_alu instid0(VALU_DEP_1) | instskip(SKIP_1) | instid1(VALU_DEP_2)
	v_sub_nc_u32_e32 v3, 0, v1
	v_ashrrev_i32_e32 v4, 31, v1
	v_max_i32_e32 v3, v1, v3
	s_delay_alu instid0(VALU_DEP_2) | instskip(NEXT) | instid1(VALU_DEP_2)
	v_xor_b32_e32 v4, s21, v4
	v_mul_hi_u32 v5, v3, v2
	s_delay_alu instid0(VALU_DEP_1) | instskip(SKIP_1) | instid1(VALU_DEP_2)
	v_mul_lo_u32 v6, v5, s30
	v_add_nc_u32_e32 v7, 1, v5
	v_sub_nc_u32_e32 v3, v3, v6
	s_delay_alu instid0(VALU_DEP_1) | instskip(SKIP_1) | instid1(VALU_DEP_4)
	v_subrev_nc_u32_e32 v6, s30, v3
	v_cmp_le_u32_e32 vcc_lo, s30, v3
	v_cndmask_b32_e32 v5, v5, v7, vcc_lo
	s_delay_alu instid0(VALU_DEP_1) | instskip(NEXT) | instid1(VALU_DEP_1)
	v_dual_cndmask_b32 v3, v3, v6 :: v_dual_add_nc_u32 v6, 1, v5
	v_cmp_le_u32_e32 vcc_lo, s30, v3
	s_delay_alu instid0(VALU_DEP_2) | instskip(NEXT) | instid1(VALU_DEP_1)
	v_cndmask_b32_e32 v3, v5, v6, vcc_lo
	v_xor_b32_e32 v3, v3, v4
	s_delay_alu instid0(VALU_DEP_1) | instskip(NEXT) | instid1(VALU_DEP_1)
	v_sub_nc_u32_e32 v7, v3, v4
	v_ashrrev_i32_e32 v8, 31, v7
	v_mad_u64_u32 v[3:4], null, s35, v7, v[1:2]
	v_mul_lo_u32 v9, v7, s7
	v_mad_u64_u32 v[5:6], null, v7, s6, 0
	s_delay_alu instid0(VALU_DEP_4) | instskip(SKIP_2) | instid1(VALU_DEP_3)
	v_mul_lo_u32 v7, v8, s6
	v_add_nc_u32_e32 v1, s31, v1
	v_ashrrev_i32_e32 v4, 31, v3
	v_add3_u32 v6, v6, v9, v7
	s_delay_alu instid0(VALU_DEP_2) | instskip(NEXT) | instid1(VALU_DEP_2)
	v_lshlrev_b64 v[3:4], 1, v[3:4]
	v_lshlrev_b64 v[5:6], 1, v[5:6]
	s_delay_alu instid0(VALU_DEP_2) | instskip(NEXT) | instid1(VALU_DEP_3)
	v_add_co_u32 v7, vcc_lo, s17, v3
	v_add_co_ci_u32_e32 v8, vcc_lo, s33, v4, vcc_lo
	s_delay_alu instid0(VALU_DEP_3) | instskip(NEXT) | instid1(VALU_DEP_4)
	v_add_co_u32 v9, vcc_lo, s24, v5
	v_add_co_ci_u32_e32 v10, vcc_lo, s25, v6, vcc_lo
	s_delay_alu instid0(VALU_DEP_4) | instskip(NEXT) | instid1(VALU_DEP_4)
	v_add_co_u32 v5, vcc_lo, v7, s4
	v_add_co_ci_u32_e32 v6, vcc_lo, s5, v8, vcc_lo
	s_delay_alu instid0(VALU_DEP_4) | instskip(NEXT) | instid1(VALU_DEP_4)
	v_add_co_u32 v3, vcc_lo, v9, v3
	v_add_co_ci_u32_e32 v4, vcc_lo, v10, v4, vcc_lo
	s_delay_alu instid0(VALU_DEP_2) | instskip(NEXT) | instid1(VALU_DEP_2)
	v_add_co_u32 v9, vcc_lo, v3, s4
	v_add_co_ci_u32_e32 v10, vcc_lo, s5, v4, vcc_lo
	s_clause 0x1
	global_load_u16 v7, v[7:8], off
	global_load_u16 v5, v[5:6], off
	s_clause 0x1
	global_load_u16 v6, v[3:4], off
	global_load_u16 v8, v[9:10], off
	v_cmp_le_i32_e32 vcc_lo, s22, v1
	s_or_b32 s34, vcc_lo, s34
	s_waitcnt vmcnt(0)
	v_mul_f16_e32 v11, v5, v8
	v_mul_f16_e32 v8, v7, v8
	s_delay_alu instid0(VALU_DEP_2) | instskip(NEXT) | instid1(VALU_DEP_2)
	v_fma_f16 v7, v7, v6, -v11
	v_fmac_f16_e32 v8, v5, v6
	s_clause 0x1
	global_store_b16 v[3:4], v7, off
	global_store_b16 v[9:10], v8, off
	s_and_not1_b32 exec_lo, exec_lo, s34
	s_cbranch_execnz .LBB80_3
.LBB80_4:
	s_or_b32 exec_lo, exec_lo, s23
	s_load_b128 s[4:7], s[0:1], 0x68
	s_waitcnt lgkmcnt(0)
	s_ashr_i32 s31, s7, 31
	s_mov_b32 s30, s7
	s_delay_alu instid0(SALU_CYCLE_1) | instskip(SKIP_1) | instid1(SALU_CYCLE_1)
	s_or_b64 s[24:25], s[28:29], s[30:31]
	s_mov_b32 s24, 0
	s_cmp_lg_u64 s[24:25], 0
	s_cbranch_scc0 .LBB80_68
; %bb.5:
	s_add_u32 s34, s30, s31
	s_mov_b32 s22, s31
	s_mov_b32 s23, s31
	s_addc_u32 s35, s31, s31
	s_delay_alu instid0(SALU_CYCLE_1) | instskip(NEXT) | instid1(SALU_CYCLE_1)
	s_xor_b64 s[34:35], s[34:35], s[22:23]
	v_cvt_f32_u32_e32 v1, s34
	v_cvt_f32_u32_e32 v2, s35
	s_sub_u32 s25, 0, s34
	s_subb_u32 s36, 0, s35
	s_delay_alu instid0(VALU_DEP_1) | instskip(NEXT) | instid1(VALU_DEP_1)
	v_fmamk_f32 v1, v2, 0x4f800000, v1
	v_rcp_f32_e32 v1, v1
	s_waitcnt_depctr 0xfff
	v_mul_f32_e32 v1, 0x5f7ffffc, v1
	s_delay_alu instid0(VALU_DEP_1) | instskip(NEXT) | instid1(VALU_DEP_1)
	v_mul_f32_e32 v2, 0x2f800000, v1
	v_trunc_f32_e32 v2, v2
	s_delay_alu instid0(VALU_DEP_1) | instskip(SKIP_1) | instid1(VALU_DEP_2)
	v_fmamk_f32 v1, v2, 0xcf800000, v1
	v_cvt_u32_f32_e32 v2, v2
	v_cvt_u32_f32_e32 v1, v1
	s_delay_alu instid0(VALU_DEP_2) | instskip(NEXT) | instid1(VALU_DEP_2)
	v_readfirstlane_b32 s7, v2
	v_readfirstlane_b32 s21, v1
	s_delay_alu instid0(VALU_DEP_2) | instskip(NEXT) | instid1(VALU_DEP_1)
	s_mul_i32 s37, s25, s7
	s_mul_hi_u32 s39, s25, s21
	s_mul_i32 s38, s36, s21
	s_add_i32 s37, s39, s37
	s_mul_i32 s40, s25, s21
	s_add_i32 s37, s37, s38
	s_mul_hi_u32 s39, s21, s40
	s_mul_hi_u32 s41, s7, s40
	s_mul_i32 s38, s7, s40
	s_mul_hi_u32 s40, s21, s37
	s_mul_i32 s21, s21, s37
	s_mul_hi_u32 s42, s7, s37
	s_add_u32 s21, s39, s21
	s_addc_u32 s39, 0, s40
	s_add_u32 s21, s21, s38
	s_mul_i32 s37, s7, s37
	s_addc_u32 s21, s39, s41
	s_addc_u32 s38, s42, 0
	s_add_u32 s21, s21, s37
	s_addc_u32 s37, 0, s38
	v_add_co_u32 v1, s21, v1, s21
	s_delay_alu instid0(VALU_DEP_1) | instskip(SKIP_1) | instid1(VALU_DEP_1)
	s_cmp_lg_u32 s21, 0
	s_addc_u32 s7, s7, s37
	v_readfirstlane_b32 s21, v1
	s_mul_i32 s37, s25, s7
	s_delay_alu instid0(VALU_DEP_1)
	s_mul_hi_u32 s38, s25, s21
	s_mul_i32 s36, s36, s21
	s_add_i32 s37, s38, s37
	s_mul_i32 s25, s25, s21
	s_add_i32 s37, s37, s36
	s_mul_hi_u32 s38, s7, s25
	s_mul_i32 s39, s7, s25
	s_mul_hi_u32 s25, s21, s25
	s_mul_hi_u32 s40, s21, s37
	s_mul_i32 s21, s21, s37
	s_mul_hi_u32 s36, s7, s37
	s_add_u32 s21, s25, s21
	s_addc_u32 s25, 0, s40
	s_add_u32 s21, s21, s39
	s_mul_i32 s37, s7, s37
	s_addc_u32 s21, s25, s38
	s_addc_u32 s25, s36, 0
	s_add_u32 s21, s21, s37
	s_addc_u32 s25, 0, s25
	v_add_co_u32 v1, s21, v1, s21
	s_delay_alu instid0(VALU_DEP_1) | instskip(SKIP_2) | instid1(VALU_DEP_1)
	s_cmp_lg_u32 s21, 0
	s_addc_u32 s7, s7, s25
	s_ashr_i32 s36, s29, 31
	v_readfirstlane_b32 s21, v1
	s_add_u32 s38, s28, s36
	s_mov_b32 s37, s36
	s_addc_u32 s39, s29, s36
	s_delay_alu instid0(SALU_CYCLE_1) | instskip(NEXT) | instid1(SALU_CYCLE_1)
	s_xor_b64 s[38:39], s[38:39], s[36:37]
	s_mul_i32 s40, s38, s7
	s_mul_hi_u32 s41, s38, s21
	s_mul_hi_u32 s25, s38, s7
	;; [unrolled: 1-line block ×3, first 2 shown]
	s_mul_i32 s21, s39, s21
	s_add_u32 s40, s41, s40
	s_addc_u32 s25, 0, s25
	s_mul_hi_u32 s42, s39, s7
	s_add_u32 s21, s40, s21
	s_mul_i32 s7, s39, s7
	s_addc_u32 s21, s25, s43
	s_addc_u32 s25, s42, 0
	s_add_u32 s7, s21, s7
	s_addc_u32 s21, 0, s25
	s_mul_i32 s42, s34, s7
	s_mul_hi_u32 s25, s34, s7
	s_mul_i32 s41, s34, s21
	v_sub_co_u32 v1, s38, s38, s42
	s_mul_i32 s40, s35, s7
	s_add_i32 s25, s25, s41
	s_delay_alu instid0(SALU_CYCLE_1) | instskip(NEXT) | instid1(VALU_DEP_1)
	s_add_i32 s25, s25, s40
	v_sub_co_u32 v2, s41, v1, s34
	s_sub_i32 s40, s39, s25
	s_cmp_lg_u32 s38, 0
	s_subb_u32 s40, s40, s35
	s_cmp_lg_u32 s41, 0
	v_readfirstlane_b32 s41, v2
	s_subb_u32 s40, s40, 0
	s_delay_alu instid0(SALU_CYCLE_1) | instskip(SKIP_1) | instid1(VALU_DEP_1)
	s_cmp_ge_u32 s40, s35
	s_cselect_b32 s42, -1, 0
	s_cmp_ge_u32 s41, s34
	s_cselect_b32 s41, -1, 0
	s_cmp_eq_u32 s40, s35
	s_cselect_b32 s40, s41, s42
	s_add_u32 s41, s7, 1
	s_addc_u32 s42, s21, 0
	s_add_u32 s43, s7, 2
	s_addc_u32 s44, s21, 0
	s_cmp_lg_u32 s40, 0
	s_cselect_b32 s40, s43, s41
	s_cselect_b32 s41, s44, s42
	s_cmp_lg_u32 s38, 0
	v_readfirstlane_b32 s38, v1
	s_subb_u32 s25, s39, s25
	s_delay_alu instid0(SALU_CYCLE_1) | instskip(SKIP_1) | instid1(VALU_DEP_1)
	s_cmp_ge_u32 s25, s35
	s_cselect_b32 s39, -1, 0
	s_cmp_ge_u32 s38, s34
	s_cselect_b32 s34, -1, 0
	s_cmp_eq_u32 s25, s35
	s_cselect_b32 s25, s34, s39
	s_delay_alu instid0(SALU_CYCLE_1) | instskip(SKIP_3) | instid1(SALU_CYCLE_1)
	s_cmp_lg_u32 s25, 0
	s_cselect_b32 s35, s41, s21
	s_cselect_b32 s34, s40, s7
	s_xor_b64 s[22:23], s[36:37], s[22:23]
	s_xor_b64 s[34:35], s[34:35], s[22:23]
	s_delay_alu instid0(SALU_CYCLE_1)
	s_sub_u32 s22, s34, s22
	s_subb_u32 s23, s35, s23
	s_and_not1_b32 vcc_lo, exec_lo, s24
	s_cbranch_vccnz .LBB80_7
.LBB80_6:
	v_cvt_f32_u32_e32 v1, s30
	s_sub_i32 s21, 0, s30
	s_delay_alu instid0(VALU_DEP_1) | instskip(SKIP_2) | instid1(VALU_DEP_1)
	v_rcp_iflag_f32_e32 v1, v1
	s_waitcnt_depctr 0xfff
	v_mul_f32_e32 v1, 0x4f7ffffe, v1
	v_cvt_u32_f32_e32 v1, v1
	s_delay_alu instid0(VALU_DEP_1) | instskip(NEXT) | instid1(VALU_DEP_1)
	v_readfirstlane_b32 s7, v1
	s_mul_i32 s21, s21, s7
	s_delay_alu instid0(SALU_CYCLE_1) | instskip(NEXT) | instid1(SALU_CYCLE_1)
	s_mul_hi_u32 s21, s7, s21
	s_add_i32 s7, s7, s21
	s_delay_alu instid0(SALU_CYCLE_1) | instskip(NEXT) | instid1(SALU_CYCLE_1)
	s_mul_hi_u32 s7, s28, s7
	s_mul_i32 s21, s7, s30
	s_add_i32 s22, s7, 1
	s_sub_i32 s21, s28, s21
	s_delay_alu instid0(SALU_CYCLE_1)
	s_sub_i32 s23, s21, s30
	s_cmp_ge_u32 s21, s30
	s_cselect_b32 s7, s22, s7
	s_cselect_b32 s21, s23, s21
	s_add_i32 s22, s7, 1
	s_cmp_ge_u32 s21, s30
	s_mov_b32 s23, 0
	s_cselect_b32 s22, s22, s7
.LBB80_7:
	s_load_b64 s[24:25], s[0:1], 0x78
	s_mul_i32 s7, s22, s31
	s_mul_hi_u32 s21, s22, s30
	s_mul_i32 s31, s23, s4
	s_add_i32 s7, s21, s7
	s_mul_i32 s21, s23, s30
	s_mul_i32 s30, s22, s30
	s_add_i32 s21, s7, s21
	s_sub_u32 s7, s28, s30
	s_subb_u32 s21, s29, s21
	s_mul_hi_u32 s30, s22, s4
	s_mul_i32 s34, s22, s4
	s_mul_hi_u32 s29, s7, s5
	s_mul_i32 s23, s21, s5
	s_mul_i32 s28, s7, s5
	s_mov_b32 s35, exec_lo
	v_cmpx_gt_i32_e64 s20, v0
	s_cbranch_execz .LBB80_46
; %bb.8:
	s_load_b32 s38, s[0:1], 0x8c
	s_mul_i32 s9, s16, s9
	s_mul_hi_u32 s37, s16, s8
	s_mul_i32 s36, s16, s8
	s_add_i32 s37, s37, s9
	s_ashr_i32 s21, s20, 31
	s_lshl_b64 s[40:41], s[36:37], 1
	s_waitcnt lgkmcnt(0)
	s_load_b32 s8, s[24:25], 0x0
	s_add_u32 s9, s12, s40
	s_addc_u32 s36, s13, s41
	s_ashr_i32 s37, s4, 31
	s_ashr_i32 s39, s5, 31
	s_mul_i32 s37, s22, s37
	s_mul_i32 s39, s7, s39
	s_add_i32 s37, s30, s37
	s_add_i32 s39, s29, s39
	;; [unrolled: 1-line block ×3, first 2 shown]
	s_lshl_b64 s[42:43], s[20:21], 1
	s_ashr_i32 s44, s6, 31
	s_add_i32 s39, s39, s23
	s_and_b32 s37, s38, 0xffff
	v_dual_mov_b32 v2, 0 :: v_dual_lshlrev_b32 v9, 1, v0
	s_lshl_b32 s38, s37, 1
	s_add_u32 s26, s26, s42
	s_addc_u32 s27, s27, s43
	s_add_u32 s26, s2, s26
	s_addc_u32 s3, s3, s27
	;; [unrolled: 2-line block ×7, first 2 shown]
	v_add_co_u32 v3, s2, s2, v0
	s_delay_alu instid0(VALU_DEP_1)
	v_add_co_ci_u32_e64 v4, null, s27, 0, s2
	v_mov_b32_e32 v10, v0
	s_mov_b32 s27, 0
	s_branch .LBB80_10
.LBB80_9:                               ;   in Loop: Header=BB80_10 Depth=1
	s_or_b32 exec_lo, exec_lo, s2
	v_add_nc_u32_e32 v10, s37, v10
	v_add_co_u32 v5, vcc_lo, v3, s20
	s_add_u32 s17, s17, s38
	s_addc_u32 s33, s33, 0
	v_add_co_ci_u32_e32 v6, vcc_lo, s21, v4, vcc_lo
	s_add_u32 s26, s26, s38
	s_addc_u32 s3, s3, 0
	v_cmp_le_i32_e32 vcc_lo, s20, v10
	v_add_co_u32 v3, s2, v3, s37
	s_add_u32 s12, s12, s38
	s_addc_u32 s13, s13, 0
	v_add_co_ci_u32_e64 v4, s2, 0, v4, s2
	s_add_u32 s9, s9, s38
	s_addc_u32 s36, s36, 0
	s_or_b32 s27, vcc_lo, s27
	global_store_b8 v[5:6], v7, off
	s_and_not1_b32 exec_lo, exec_lo, s27
	s_cbranch_execz .LBB80_46
.LBB80_10:                              ; =>This Inner Loop Header: Depth=1
	v_add_co_u32 v5, s2, s26, v9
	s_delay_alu instid0(VALU_DEP_1) | instskip(SKIP_1) | instid1(VALU_DEP_1)
	v_add_co_ci_u32_e64 v6, null, s3, 0, s2
	v_add_co_u32 v7, s2, s17, v9
	v_add_co_ci_u32_e64 v8, null, s33, 0, s2
	v_add_co_u32 v13, s2, s12, v9
	s_delay_alu instid0(VALU_DEP_1) | instskip(SKIP_1) | instid1(VALU_DEP_1)
	v_add_co_ci_u32_e64 v14, null, s13, 0, s2
	v_add_co_u32 v15, s2, s9, v9
	v_add_co_ci_u32_e64 v16, null, s36, 0, s2
	global_load_u16 v1, v[5:6], off
	global_load_u16 v6, v[13:14], off
	;; [unrolled: 1-line block ×4, first 2 shown]
	s_mov_b32 s2, exec_lo
	s_waitcnt vmcnt(2)
	v_mul_f16_e32 v5, v1, v6
	s_waitcnt vmcnt(0)
	s_delay_alu instid0(VALU_DEP_1) | instskip(NEXT) | instid1(VALU_DEP_1)
	v_fma_f16 v20, v8, v19, -v5
	v_cvt_f32_f16_e32 v5, v20
	s_waitcnt lgkmcnt(0)
	s_delay_alu instid0(VALU_DEP_1) | instskip(NEXT) | instid1(VALU_DEP_1)
	v_div_scale_f32 v7, null, s8, s8, v5
	v_rcp_f32_e32 v11, v7
	s_waitcnt_depctr 0xfff
	v_fma_f32 v12, -v7, v11, 1.0
	s_delay_alu instid0(VALU_DEP_1) | instskip(SKIP_1) | instid1(VALU_DEP_1)
	v_fmac_f32_e32 v11, v12, v11
	v_div_scale_f32 v12, vcc_lo, v5, s8, v5
	v_mul_f32_e32 v17, v12, v11
	s_delay_alu instid0(VALU_DEP_1) | instskip(NEXT) | instid1(VALU_DEP_1)
	v_fma_f32 v18, -v7, v17, v12
	v_fmac_f32_e32 v17, v18, v11
	v_mov_b32_e32 v18, v2
	s_delay_alu instid0(VALU_DEP_2) | instskip(NEXT) | instid1(VALU_DEP_1)
	v_fma_f32 v7, -v7, v17, v12
	v_div_fmas_f32 v7, v7, v11, v17
	v_mul_f16_e32 v11, v8, v6
	s_delay_alu instid0(VALU_DEP_2) | instskip(NEXT) | instid1(VALU_DEP_2)
	v_div_fixup_f32 v5, v7, s8, v5
	v_fmac_f16_e32 v11, v1, v19
	global_store_b16 v[15:16], v20, off
	global_store_b16 v[13:14], v11, off
	v_cvt_f16_f32_e32 v5, v5
	s_delay_alu instid0(VALU_DEP_1) | instskip(NEXT) | instid1(VALU_DEP_1)
	v_cvt_f32_f16_e32 v5, v5
	v_lshrrev_b32_e32 v7, 24, v5
	v_and_b32_e32 v17, 0x7f800000, v5
	v_and_b32_e32 v1, 0x7fffff, v5
	s_delay_alu instid0(VALU_DEP_3) | instskip(NEXT) | instid1(VALU_DEP_1)
	v_and_b32_e32 v12, 0x80, v7
	v_or_b32_e32 v6, 0x7e, v12
	s_delay_alu instid0(VALU_DEP_4)
	v_cmpx_ne_u64_e32 0x7f800000, v[17:18]
	s_xor_b32 s39, exec_lo, s2
	s_cbranch_execz .LBB80_26
; %bb.11:                               ;   in Loop: Header=BB80_10 Depth=1
	v_dual_mov_b32 v8, v2 :: v_dual_and_b32 v7, 0x7fffffff, v5
	s_mov_b32 s2, exec_lo
	s_delay_alu instid0(VALU_DEP_1)
	v_cmpx_gt_u64_e32 0x43e00001, v[7:8]
	s_xor_b32 s40, exec_lo, s2
	s_cbranch_execz .LBB80_25
; %bb.12:                               ;   in Loop: Header=BB80_10 Depth=1
	v_mov_b32_e32 v6, 0
	s_mov_b32 s41, exec_lo
	v_cmpx_ne_u32_e32 0, v5
	s_cbranch_execz .LBB80_24
; %bb.13:                               ;   in Loop: Header=BB80_10 Depth=1
	v_bfe_u32 v13, v5, 23, 8
	v_or_b32_e32 v7, 0x800000, v1
	s_delay_alu instid0(VALU_DEP_2) | instskip(SKIP_1) | instid1(VALU_DEP_2)
	v_sub_nc_u32_e32 v5, 0x79, v13
	v_cmp_gt_u32_e32 vcc_lo, 0x7a, v13
	v_cndmask_b32_e32 v5, 0, v5, vcc_lo
	v_cmp_eq_u32_e32 vcc_lo, 0, v13
	s_delay_alu instid0(VALU_DEP_2) | instskip(SKIP_1) | instid1(VALU_DEP_2)
	v_cndmask_b32_e64 v14, v5, 0x78, vcc_lo
	v_cndmask_b32_e32 v1, v7, v1, vcc_lo
	v_add_nc_u32_e32 v5, 20, v14
	v_add_nc_u32_e32 v7, 19, v14
	s_delay_alu instid0(VALU_DEP_2) | instskip(NEXT) | instid1(VALU_DEP_2)
	v_lshlrev_b64 v[5:6], v5, -1
	v_lshlrev_b64 v[7:8], v7, 1
	s_delay_alu instid0(VALU_DEP_2) | instskip(NEXT) | instid1(VALU_DEP_3)
	v_not_b32_e32 v6, v6
	v_not_b32_e32 v5, v5
	s_delay_alu instid0(VALU_DEP_2) | instskip(NEXT) | instid1(VALU_DEP_2)
	v_and_b32_e32 v16, 0, v6
	v_and_b32_e32 v15, v1, v5
	v_lshrrev_b64 v[5:6], v14, v[1:2]
	s_delay_alu instid0(VALU_DEP_2) | instskip(NEXT) | instid1(VALU_DEP_2)
	v_cmp_eq_u64_e64 s2, v[15:16], v[7:8]
	v_dual_mov_b32 v8, v6 :: v_dual_mov_b32 v7, v5
	s_delay_alu instid0(VALU_DEP_2)
	s_and_saveexec_b32 s42, s2
; %bb.14:                               ;   in Loop: Header=BB80_10 Depth=1
	v_bfe_u32 v1, v5, 20, 1
	s_delay_alu instid0(VALU_DEP_1) | instskip(NEXT) | instid1(VALU_DEP_1)
	v_add_co_u32 v1, s2, v5, v1
	v_add_co_u32 v7, s2, v1, -1
; %bb.15:                               ;   in Loop: Header=BB80_10 Depth=1
	s_or_b32 exec_lo, exec_lo, s42
	v_add_nc_u32_e32 v1, 0xffffff81, v13
	v_lshrrev_b32_e32 v8, 23, v5
	s_mov_b32 s2, exec_lo
	s_delay_alu instid0(VALU_DEP_2) | instskip(NEXT) | instid1(VALU_DEP_1)
	v_cndmask_b32_e64 v1, v1, 0xffffff82, vcc_lo
	v_add3_u32 v8, v14, v1, v8
	v_and_b32_e32 v1, 0xfffff, v7
	s_delay_alu instid0(VALU_DEP_2) | instskip(NEXT) | instid1(VALU_DEP_2)
	v_add_nc_u32_e32 v7, 6, v8
	v_add_co_u32 v5, vcc_lo, v1, v5
	v_add_co_ci_u32_e32 v6, vcc_lo, 0, v6, vcc_lo
                                        ; implicit-def: $vgpr1
	s_delay_alu instid0(VALU_DEP_3)
	v_cmpx_ne_u32_e32 0, v7
	s_xor_b32 s2, exec_lo, s2
; %bb.16:                               ;   in Loop: Header=BB80_10 Depth=1
	s_delay_alu instid0(VALU_DEP_2) | instskip(SKIP_1) | instid1(VALU_DEP_1)
	v_cmp_lt_u64_e32 vcc_lo, 0xffffff, v[5:6]
	v_add_nc_u32_e32 v1, 7, v8
	v_cndmask_b32_e32 v1, v7, v1, vcc_lo
	v_cndmask_b32_e64 v7, 0, 1, vcc_lo
	s_delay_alu instid0(VALU_DEP_1)
	v_lshrrev_b64 v[5:6], v7, v[5:6]
; %bb.17:                               ;   in Loop: Header=BB80_10 Depth=1
	s_and_not1_saveexec_b32 s2, s2
; %bb.18:                               ;   in Loop: Header=BB80_10 Depth=1
	s_delay_alu instid0(VALU_DEP_1)
	v_bfe_u32 v1, v5, 23, 1
; %bb.19:                               ;   in Loop: Header=BB80_10 Depth=1
	s_or_b32 exec_lo, exec_lo, s2
	s_delay_alu instid0(VALU_DEP_2) | instskip(NEXT) | instid1(VALU_DEP_2)
	v_lshrrev_b64 v[5:6], 20, v[5:6]
	v_cmp_gt_i32_e32 vcc_lo, 16, v1
	v_cmp_ne_u32_e64 s2, 0, v1
	s_delay_alu instid0(VALU_DEP_3) | instskip(NEXT) | instid1(VALU_DEP_1)
	v_dual_cndmask_b32 v6, 0, v6 :: v_dual_cndmask_b32 v5, 7, v5
	v_cmp_ne_u64_e32 vcc_lo, 0, v[5:6]
                                        ; implicit-def: $vgpr6
	s_delay_alu instid0(VALU_DEP_3) | instskip(NEXT) | instid1(SALU_CYCLE_1)
	s_or_b32 s2, s2, vcc_lo
	s_and_saveexec_b32 s42, s2
	s_delay_alu instid0(SALU_CYCLE_1)
	s_xor_b32 s2, exec_lo, s42
; %bb.20:                               ;   in Loop: Header=BB80_10 Depth=1
	v_min_i32_e32 v1, 15, v1
	s_delay_alu instid0(VALU_DEP_1) | instskip(NEXT) | instid1(VALU_DEP_1)
	v_lshl_or_b32 v1, v1, 3, v12
                                        ; implicit-def: $vgpr12
	v_and_or_b32 v6, v5, 7, v1
; %bb.21:                               ;   in Loop: Header=BB80_10 Depth=1
	s_and_not1_saveexec_b32 s2, s2
; %bb.22:                               ;   in Loop: Header=BB80_10 Depth=1
	v_mov_b32_e32 v6, v12
; %bb.23:                               ;   in Loop: Header=BB80_10 Depth=1
	s_or_b32 exec_lo, exec_lo, s2
.LBB80_24:                              ;   in Loop: Header=BB80_10 Depth=1
	s_delay_alu instid0(SALU_CYCLE_1)
	s_or_b32 exec_lo, exec_lo, s41
.LBB80_25:                              ;   in Loop: Header=BB80_10 Depth=1
	s_and_not1_saveexec_b32 s2, s40
	s_delay_alu instid0(SALU_CYCLE_1)
	s_or_b32 exec_lo, exec_lo, s2
                                        ; implicit-def: $vgpr7
.LBB80_26:                              ;   in Loop: Header=BB80_10 Depth=1
	s_and_not1_saveexec_b32 s2, s39
; %bb.27:                               ;   in Loop: Header=BB80_10 Depth=1
	v_cmp_eq_u64_e32 vcc_lo, 0, v[1:2]
	v_or_b32_e32 v5, 0x7f, v7
	s_delay_alu instid0(VALU_DEP_1)
	v_cndmask_b32_e32 v6, v5, v6, vcc_lo
; %bb.28:                               ;   in Loop: Header=BB80_10 Depth=1
	s_or_b32 exec_lo, exec_lo, s2
	v_cvt_f32_f16_e32 v1, v11
	v_mov_b32_e32 v13, v2
	global_store_b8 v[3:4], v6, off
	s_mov_b32 s2, exec_lo
	v_div_scale_f32 v5, null, s8, s8, v1
	s_delay_alu instid0(VALU_DEP_1) | instskip(SKIP_2) | instid1(VALU_DEP_1)
	v_rcp_f32_e32 v7, v5
	s_waitcnt_depctr 0xfff
	v_fma_f32 v8, -v5, v7, 1.0
	v_fmac_f32_e32 v7, v8, v7
	v_div_scale_f32 v8, vcc_lo, v1, s8, v1
	s_delay_alu instid0(VALU_DEP_1) | instskip(NEXT) | instid1(VALU_DEP_1)
	v_mul_f32_e32 v11, v8, v7
	v_fma_f32 v12, -v5, v11, v8
	s_delay_alu instid0(VALU_DEP_1) | instskip(NEXT) | instid1(VALU_DEP_1)
	v_fmac_f32_e32 v11, v12, v7
	v_fma_f32 v5, -v5, v11, v8
	s_delay_alu instid0(VALU_DEP_1) | instskip(NEXT) | instid1(VALU_DEP_1)
	v_div_fmas_f32 v5, v5, v7, v11
	v_div_fixup_f32 v1, v5, s8, v1
	s_delay_alu instid0(VALU_DEP_1) | instskip(NEXT) | instid1(VALU_DEP_1)
	v_cvt_f16_f32_e32 v1, v1
	v_cvt_f32_f16_e32 v5, v1
	s_delay_alu instid0(VALU_DEP_1) | instskip(SKIP_2) | instid1(VALU_DEP_2)
	v_and_b32_e32 v12, 0x7f800000, v5
	v_lshrrev_b32_e32 v8, 24, v5
	v_and_b32_e32 v1, 0x7fffff, v5
	v_and_b32_e32 v11, 0x80, v8
	s_delay_alu instid0(VALU_DEP_1)
	v_or_b32_e32 v7, 0x7e, v11
	v_cmpx_ne_u64_e32 0x7f800000, v[12:13]
	s_xor_b32 s39, exec_lo, s2
	s_cbranch_execz .LBB80_44
; %bb.29:                               ;   in Loop: Header=BB80_10 Depth=1
	v_dual_mov_b32 v13, v2 :: v_dual_and_b32 v12, 0x7fffffff, v5
	s_mov_b32 s2, exec_lo
	s_delay_alu instid0(VALU_DEP_1)
	v_cmpx_gt_u64_e32 0x43e00001, v[12:13]
	s_xor_b32 s40, exec_lo, s2
	s_cbranch_execz .LBB80_43
; %bb.30:                               ;   in Loop: Header=BB80_10 Depth=1
	v_mov_b32_e32 v7, 0
	s_mov_b32 s41, exec_lo
	v_cmpx_ne_u32_e32 0, v5
	s_cbranch_execz .LBB80_42
; %bb.31:                               ;   in Loop: Header=BB80_10 Depth=1
	v_bfe_u32 v12, v5, 23, 8
	v_or_b32_e32 v7, 0x800000, v1
	s_delay_alu instid0(VALU_DEP_2) | instskip(SKIP_1) | instid1(VALU_DEP_2)
	v_sub_nc_u32_e32 v5, 0x79, v12
	v_cmp_gt_u32_e32 vcc_lo, 0x7a, v12
	v_cndmask_b32_e32 v5, 0, v5, vcc_lo
	v_cmp_eq_u32_e32 vcc_lo, 0, v12
	s_delay_alu instid0(VALU_DEP_2) | instskip(SKIP_1) | instid1(VALU_DEP_2)
	v_cndmask_b32_e64 v13, v5, 0x78, vcc_lo
	v_cndmask_b32_e32 v1, v7, v1, vcc_lo
	v_add_nc_u32_e32 v5, 20, v13
	v_add_nc_u32_e32 v7, 19, v13
	s_delay_alu instid0(VALU_DEP_2) | instskip(NEXT) | instid1(VALU_DEP_2)
	v_lshlrev_b64 v[5:6], v5, -1
	v_lshlrev_b64 v[7:8], v7, 1
	s_delay_alu instid0(VALU_DEP_2) | instskip(NEXT) | instid1(VALU_DEP_3)
	v_not_b32_e32 v6, v6
	v_not_b32_e32 v5, v5
	s_delay_alu instid0(VALU_DEP_2) | instskip(NEXT) | instid1(VALU_DEP_2)
	v_and_b32_e32 v15, 0, v6
	v_and_b32_e32 v14, v1, v5
	v_lshrrev_b64 v[5:6], v13, v[1:2]
	s_delay_alu instid0(VALU_DEP_2) | instskip(NEXT) | instid1(VALU_DEP_2)
	v_cmp_eq_u64_e64 s2, v[14:15], v[7:8]
	v_dual_mov_b32 v8, v6 :: v_dual_mov_b32 v7, v5
	s_delay_alu instid0(VALU_DEP_2)
	s_and_saveexec_b32 s42, s2
; %bb.32:                               ;   in Loop: Header=BB80_10 Depth=1
	v_bfe_u32 v1, v5, 20, 1
	s_delay_alu instid0(VALU_DEP_1) | instskip(NEXT) | instid1(VALU_DEP_1)
	v_add_co_u32 v1, s2, v5, v1
	v_add_co_u32 v7, s2, v1, -1
; %bb.33:                               ;   in Loop: Header=BB80_10 Depth=1
	s_or_b32 exec_lo, exec_lo, s42
	v_add_nc_u32_e32 v1, 0xffffff81, v12
	v_lshrrev_b32_e32 v8, 23, v5
	s_mov_b32 s2, exec_lo
	s_delay_alu instid0(VALU_DEP_2) | instskip(NEXT) | instid1(VALU_DEP_1)
	v_cndmask_b32_e64 v1, v1, 0xffffff82, vcc_lo
	v_add3_u32 v8, v13, v1, v8
	v_and_b32_e32 v1, 0xfffff, v7
	s_delay_alu instid0(VALU_DEP_2) | instskip(NEXT) | instid1(VALU_DEP_2)
	v_add_nc_u32_e32 v7, 6, v8
	v_add_co_u32 v5, vcc_lo, v1, v5
	v_add_co_ci_u32_e32 v6, vcc_lo, 0, v6, vcc_lo
                                        ; implicit-def: $vgpr1
	s_delay_alu instid0(VALU_DEP_3)
	v_cmpx_ne_u32_e32 0, v7
	s_xor_b32 s2, exec_lo, s2
; %bb.34:                               ;   in Loop: Header=BB80_10 Depth=1
	s_delay_alu instid0(VALU_DEP_2) | instskip(SKIP_1) | instid1(VALU_DEP_1)
	v_cmp_lt_u64_e32 vcc_lo, 0xffffff, v[5:6]
	v_add_nc_u32_e32 v1, 7, v8
	v_cndmask_b32_e32 v1, v7, v1, vcc_lo
	v_cndmask_b32_e64 v7, 0, 1, vcc_lo
	s_delay_alu instid0(VALU_DEP_1)
	v_lshrrev_b64 v[5:6], v7, v[5:6]
; %bb.35:                               ;   in Loop: Header=BB80_10 Depth=1
	s_and_not1_saveexec_b32 s2, s2
; %bb.36:                               ;   in Loop: Header=BB80_10 Depth=1
	s_delay_alu instid0(VALU_DEP_1)
	v_bfe_u32 v1, v5, 23, 1
; %bb.37:                               ;   in Loop: Header=BB80_10 Depth=1
	s_or_b32 exec_lo, exec_lo, s2
	s_delay_alu instid0(VALU_DEP_2) | instskip(NEXT) | instid1(VALU_DEP_2)
	v_lshrrev_b64 v[5:6], 20, v[5:6]
	v_cmp_gt_i32_e32 vcc_lo, 16, v1
	v_cmp_ne_u32_e64 s2, 0, v1
                                        ; implicit-def: $vgpr7
	s_delay_alu instid0(VALU_DEP_3) | instskip(NEXT) | instid1(VALU_DEP_1)
	v_dual_cndmask_b32 v6, 0, v6 :: v_dual_cndmask_b32 v5, 7, v5
	v_cmp_ne_u64_e32 vcc_lo, 0, v[5:6]
	s_delay_alu instid0(VALU_DEP_3) | instskip(NEXT) | instid1(SALU_CYCLE_1)
	s_or_b32 s2, s2, vcc_lo
	s_and_saveexec_b32 s42, s2
	s_delay_alu instid0(SALU_CYCLE_1)
	s_xor_b32 s2, exec_lo, s42
; %bb.38:                               ;   in Loop: Header=BB80_10 Depth=1
	v_min_i32_e32 v1, 15, v1
	s_delay_alu instid0(VALU_DEP_1) | instskip(NEXT) | instid1(VALU_DEP_1)
	v_lshl_or_b32 v1, v1, 3, v11
                                        ; implicit-def: $vgpr11
	v_and_or_b32 v7, v5, 7, v1
; %bb.39:                               ;   in Loop: Header=BB80_10 Depth=1
	s_and_not1_saveexec_b32 s2, s2
; %bb.40:                               ;   in Loop: Header=BB80_10 Depth=1
	v_mov_b32_e32 v7, v11
; %bb.41:                               ;   in Loop: Header=BB80_10 Depth=1
	s_or_b32 exec_lo, exec_lo, s2
.LBB80_42:                              ;   in Loop: Header=BB80_10 Depth=1
	s_delay_alu instid0(SALU_CYCLE_1)
	s_or_b32 exec_lo, exec_lo, s41
.LBB80_43:                              ;   in Loop: Header=BB80_10 Depth=1
	s_and_not1_saveexec_b32 s2, s40
	s_delay_alu instid0(SALU_CYCLE_1)
	s_or_b32 exec_lo, exec_lo, s2
                                        ; implicit-def: $vgpr8
.LBB80_44:                              ;   in Loop: Header=BB80_10 Depth=1
	s_and_not1_saveexec_b32 s2, s39
	s_cbranch_execz .LBB80_9
; %bb.45:                               ;   in Loop: Header=BB80_10 Depth=1
	v_cmp_eq_u64_e32 vcc_lo, 0, v[1:2]
	v_or_b32_e32 v5, 0x7f, v8
	s_delay_alu instid0(VALU_DEP_1)
	v_cndmask_b32_e32 v7, v5, v7, vcc_lo
	s_branch .LBB80_9
.LBB80_46:
	s_or_b32 exec_lo, exec_lo, s35
	s_delay_alu instid0(SALU_CYCLE_1)
	s_mov_b32 s2, exec_lo
	v_cmpx_gt_i32_e64 s6, v0
	s_cbranch_execz .LBB80_67
; %bb.47:
	s_mul_i32 s3, s16, s11
	s_mul_hi_u32 s8, s16, s10
	s_mul_i32 s2, s16, s10
	s_add_i32 s3, s8, s3
	s_load_b32 s0, s[0:1], 0x8c
	s_lshl_b64 s[2:3], s[2:3], 1
	v_mov_b32_e32 v3, 0
	s_add_u32 s1, s14, s2
	s_addc_u32 s2, s15, s3
	s_waitcnt lgkmcnt(0)
	s_load_b32 s3, s[24:25], 0x0
	s_ashr_i32 s4, s4, 31
	s_delay_alu instid0(SALU_CYCLE_1) | instskip(NEXT) | instid1(SALU_CYCLE_1)
	s_mul_i32 s4, s22, s4
	s_add_i32 s4, s30, s4
	s_delay_alu instid0(SALU_CYCLE_1) | instskip(SKIP_3) | instid1(SALU_CYCLE_1)
	s_add_i32 s4, s4, s31
	s_add_u32 s8, s18, s34
	s_addc_u32 s9, s19, s4
	s_ashr_i32 s4, s5, 31
	s_mul_i32 s7, s7, s4
	s_delay_alu instid0(SALU_CYCLE_1) | instskip(NEXT) | instid1(SALU_CYCLE_1)
	s_add_i32 s4, s29, s7
	s_add_i32 s5, s4, s23
	s_add_u32 s4, s8, s28
	s_addc_u32 s5, s9, s5
	s_and_b32 s7, s0, 0xffff
	s_mov_b32 s8, 0
	s_branch .LBB80_49
.LBB80_48:                              ;   in Loop: Header=BB80_49 Depth=1
	s_or_b32 exec_lo, exec_lo, s0
	v_add_co_u32 v6, vcc_lo, s4, v0
	v_add_nc_u32_e32 v0, s7, v0
	v_add_co_ci_u32_e32 v7, vcc_lo, s5, v1, vcc_lo
	s_delay_alu instid0(VALU_DEP_2) | instskip(SKIP_2) | instid1(SALU_CYCLE_1)
	v_cmp_le_i32_e32 vcc_lo, s6, v0
	global_store_b8 v[6:7], v5, off
	s_or_b32 s8, vcc_lo, s8
	s_and_not1_b32 exec_lo, exec_lo, s8
	s_cbranch_execz .LBB80_67
.LBB80_49:                              ; =>This Inner Loop Header: Depth=1
	v_ashrrev_i32_e32 v1, 31, v0
	s_mov_b32 s0, exec_lo
	v_mov_b32_e32 v10, v3
	s_delay_alu instid0(VALU_DEP_2) | instskip(NEXT) | instid1(VALU_DEP_1)
	v_lshlrev_b64 v[4:5], 1, v[0:1]
	v_add_co_u32 v4, vcc_lo, s1, v4
	s_delay_alu instid0(VALU_DEP_2) | instskip(SKIP_4) | instid1(VALU_DEP_1)
	v_add_co_ci_u32_e32 v5, vcc_lo, s2, v5, vcc_lo
	global_load_u16 v2, v[4:5], off
	s_waitcnt vmcnt(0)
	v_cvt_f32_f16_e32 v2, v2
	s_waitcnt lgkmcnt(0)
	v_div_scale_f32 v4, null, s3, s3, v2
	s_delay_alu instid0(VALU_DEP_1) | instskip(SKIP_2) | instid1(VALU_DEP_1)
	v_rcp_f32_e32 v5, v4
	s_waitcnt_depctr 0xfff
	v_fma_f32 v6, -v4, v5, 1.0
	v_fmac_f32_e32 v5, v6, v5
	v_div_scale_f32 v6, vcc_lo, v2, s3, v2
	s_delay_alu instid0(VALU_DEP_1) | instskip(NEXT) | instid1(VALU_DEP_1)
	v_mul_f32_e32 v7, v6, v5
	v_fma_f32 v8, -v4, v7, v6
	s_delay_alu instid0(VALU_DEP_1) | instskip(NEXT) | instid1(VALU_DEP_1)
	v_fmac_f32_e32 v7, v8, v5
	v_fma_f32 v4, -v4, v7, v6
	s_delay_alu instid0(VALU_DEP_1) | instskip(NEXT) | instid1(VALU_DEP_1)
	v_div_fmas_f32 v4, v4, v5, v7
	v_div_fixup_f32 v2, v4, s3, v2
	s_delay_alu instid0(VALU_DEP_1) | instskip(NEXT) | instid1(VALU_DEP_1)
	v_cvt_f16_f32_e32 v2, v2
	v_cvt_f32_f16_e32 v4, v2
	s_delay_alu instid0(VALU_DEP_1) | instskip(SKIP_2) | instid1(VALU_DEP_2)
	v_and_b32_e32 v2, 0x7fffff, v4
	v_lshrrev_b32_e32 v6, 24, v4
	v_and_b32_e32 v9, 0x7f800000, v4
	v_and_b32_e32 v8, 0x80, v6
	s_delay_alu instid0(VALU_DEP_1) | instskip(NEXT) | instid1(VALU_DEP_3)
	v_or_b32_e32 v5, 0x7e, v8
	v_cmpx_ne_u64_e32 0x7f800000, v[9:10]
	s_xor_b32 s9, exec_lo, s0
	s_cbranch_execz .LBB80_65
; %bb.50:                               ;   in Loop: Header=BB80_49 Depth=1
	v_dual_mov_b32 v7, v3 :: v_dual_and_b32 v6, 0x7fffffff, v4
	s_mov_b32 s0, exec_lo
	s_delay_alu instid0(VALU_DEP_1)
	v_cmpx_gt_u64_e32 0x43e00001, v[6:7]
	s_xor_b32 s10, exec_lo, s0
	s_cbranch_execz .LBB80_64
; %bb.51:                               ;   in Loop: Header=BB80_49 Depth=1
	v_mov_b32_e32 v5, 0
	s_mov_b32 s11, exec_lo
	v_cmpx_ne_u32_e32 0, v4
	s_cbranch_execz .LBB80_63
; %bb.52:                               ;   in Loop: Header=BB80_49 Depth=1
	v_bfe_u32 v9, v4, 23, 8
	v_or_b32_e32 v6, 0x800000, v2
	s_delay_alu instid0(VALU_DEP_2) | instskip(SKIP_1) | instid1(VALU_DEP_2)
	v_sub_nc_u32_e32 v4, 0x79, v9
	v_cmp_gt_u32_e32 vcc_lo, 0x7a, v9
	v_cndmask_b32_e32 v4, 0, v4, vcc_lo
	v_cmp_eq_u32_e32 vcc_lo, 0, v9
	s_delay_alu instid0(VALU_DEP_2) | instskip(SKIP_1) | instid1(VALU_DEP_2)
	v_cndmask_b32_e64 v10, v4, 0x78, vcc_lo
	v_cndmask_b32_e32 v2, v6, v2, vcc_lo
	v_add_nc_u32_e32 v4, 20, v10
	v_add_nc_u32_e32 v6, 19, v10
	s_delay_alu instid0(VALU_DEP_2) | instskip(NEXT) | instid1(VALU_DEP_2)
	v_lshlrev_b64 v[4:5], v4, -1
	v_lshlrev_b64 v[6:7], v6, 1
	s_delay_alu instid0(VALU_DEP_2) | instskip(NEXT) | instid1(VALU_DEP_3)
	v_not_b32_e32 v5, v5
	v_not_b32_e32 v4, v4
	s_delay_alu instid0(VALU_DEP_2) | instskip(NEXT) | instid1(VALU_DEP_2)
	v_and_b32_e32 v12, 0, v5
	v_and_b32_e32 v11, v2, v4
	v_lshrrev_b64 v[4:5], v10, v[2:3]
	s_delay_alu instid0(VALU_DEP_2) | instskip(NEXT) | instid1(VALU_DEP_2)
	v_cmp_eq_u64_e64 s0, v[11:12], v[6:7]
	v_dual_mov_b32 v7, v5 :: v_dual_mov_b32 v6, v4
	s_delay_alu instid0(VALU_DEP_2)
	s_and_saveexec_b32 s12, s0
; %bb.53:                               ;   in Loop: Header=BB80_49 Depth=1
	v_bfe_u32 v2, v4, 20, 1
	s_delay_alu instid0(VALU_DEP_1) | instskip(NEXT) | instid1(VALU_DEP_1)
	v_add_co_u32 v2, s0, v4, v2
	v_add_co_u32 v6, s0, v2, -1
; %bb.54:                               ;   in Loop: Header=BB80_49 Depth=1
	s_or_b32 exec_lo, exec_lo, s12
	v_add_nc_u32_e32 v2, 0xffffff81, v9
	v_lshrrev_b32_e32 v7, 23, v4
	s_mov_b32 s0, exec_lo
	s_delay_alu instid0(VALU_DEP_2) | instskip(NEXT) | instid1(VALU_DEP_1)
	v_cndmask_b32_e64 v2, v2, 0xffffff82, vcc_lo
	v_add3_u32 v7, v10, v2, v7
	v_and_b32_e32 v2, 0xfffff, v6
	s_delay_alu instid0(VALU_DEP_2) | instskip(NEXT) | instid1(VALU_DEP_2)
	v_add_nc_u32_e32 v6, 6, v7
	v_add_co_u32 v4, vcc_lo, v2, v4
	v_add_co_ci_u32_e32 v5, vcc_lo, 0, v5, vcc_lo
                                        ; implicit-def: $vgpr2
	s_delay_alu instid0(VALU_DEP_3)
	v_cmpx_ne_u32_e32 0, v6
	s_xor_b32 s0, exec_lo, s0
; %bb.55:                               ;   in Loop: Header=BB80_49 Depth=1
	s_delay_alu instid0(VALU_DEP_2) | instskip(SKIP_1) | instid1(VALU_DEP_1)
	v_cmp_lt_u64_e32 vcc_lo, 0xffffff, v[4:5]
	v_add_nc_u32_e32 v2, 7, v7
	v_cndmask_b32_e32 v2, v6, v2, vcc_lo
	v_cndmask_b32_e64 v6, 0, 1, vcc_lo
	s_delay_alu instid0(VALU_DEP_1)
	v_lshrrev_b64 v[4:5], v6, v[4:5]
; %bb.56:                               ;   in Loop: Header=BB80_49 Depth=1
	s_and_not1_saveexec_b32 s0, s0
; %bb.57:                               ;   in Loop: Header=BB80_49 Depth=1
	s_delay_alu instid0(VALU_DEP_1)
	v_bfe_u32 v2, v4, 23, 1
; %bb.58:                               ;   in Loop: Header=BB80_49 Depth=1
	s_or_b32 exec_lo, exec_lo, s0
	s_delay_alu instid0(VALU_DEP_2) | instskip(NEXT) | instid1(VALU_DEP_2)
	v_lshrrev_b64 v[4:5], 20, v[4:5]
	v_cmp_gt_i32_e32 vcc_lo, 16, v2
	v_cmp_ne_u32_e64 s0, 0, v2
	s_delay_alu instid0(VALU_DEP_3) | instskip(NEXT) | instid1(VALU_DEP_1)
	v_dual_cndmask_b32 v5, 0, v5 :: v_dual_cndmask_b32 v4, 7, v4
	v_cmp_ne_u64_e32 vcc_lo, 0, v[4:5]
                                        ; implicit-def: $vgpr5
	s_delay_alu instid0(VALU_DEP_3) | instskip(NEXT) | instid1(SALU_CYCLE_1)
	s_or_b32 s0, s0, vcc_lo
	s_and_saveexec_b32 s12, s0
	s_delay_alu instid0(SALU_CYCLE_1)
	s_xor_b32 s0, exec_lo, s12
; %bb.59:                               ;   in Loop: Header=BB80_49 Depth=1
	v_min_i32_e32 v2, 15, v2
	s_delay_alu instid0(VALU_DEP_1) | instskip(NEXT) | instid1(VALU_DEP_1)
	v_lshl_or_b32 v2, v2, 3, v8
                                        ; implicit-def: $vgpr8
	v_and_or_b32 v5, v4, 7, v2
; %bb.60:                               ;   in Loop: Header=BB80_49 Depth=1
	s_and_not1_saveexec_b32 s0, s0
; %bb.61:                               ;   in Loop: Header=BB80_49 Depth=1
	v_mov_b32_e32 v5, v8
; %bb.62:                               ;   in Loop: Header=BB80_49 Depth=1
	s_or_b32 exec_lo, exec_lo, s0
.LBB80_63:                              ;   in Loop: Header=BB80_49 Depth=1
	s_delay_alu instid0(SALU_CYCLE_1)
	s_or_b32 exec_lo, exec_lo, s11
.LBB80_64:                              ;   in Loop: Header=BB80_49 Depth=1
	s_and_not1_saveexec_b32 s0, s10
	s_delay_alu instid0(SALU_CYCLE_1)
	s_or_b32 exec_lo, exec_lo, s0
                                        ; implicit-def: $vgpr6
.LBB80_65:                              ;   in Loop: Header=BB80_49 Depth=1
	s_and_not1_saveexec_b32 s0, s9
	s_cbranch_execz .LBB80_48
; %bb.66:                               ;   in Loop: Header=BB80_49 Depth=1
	v_cmp_eq_u64_e32 vcc_lo, 0, v[2:3]
	v_or_b32_e32 v4, 0x7f, v6
	s_delay_alu instid0(VALU_DEP_1)
	v_cndmask_b32_e32 v5, v4, v5, vcc_lo
	s_branch .LBB80_48
.LBB80_67:
	s_nop 0
	s_sendmsg sendmsg(MSG_DEALLOC_VGPRS)
	s_endpgm
.LBB80_68:
                                        ; implicit-def: $sgpr22_sgpr23
	s_branch .LBB80_6
	.section	.rodata,"a",@progbits
	.p2align	6, 0x0
	.amdhsa_kernel _ZN4vllm38concat_and_cache_mla_rope_fused_kernelIN3c104HalfES2_Lb1EthLNS_18Fp8KVCacheDataTypeE1EEEvPKlPT_S7_PKS6_PKT0_illlliPT3_S5_iiiiPKf
		.amdhsa_group_segment_fixed_size 0
		.amdhsa_private_segment_fixed_size 0
		.amdhsa_kernarg_size 384
		.amdhsa_user_sgpr_count 15
		.amdhsa_user_sgpr_dispatch_ptr 0
		.amdhsa_user_sgpr_queue_ptr 0
		.amdhsa_user_sgpr_kernarg_segment_ptr 1
		.amdhsa_user_sgpr_dispatch_id 0
		.amdhsa_user_sgpr_private_segment_size 0
		.amdhsa_wavefront_size32 1
		.amdhsa_uses_dynamic_stack 0
		.amdhsa_enable_private_segment 0
		.amdhsa_system_sgpr_workgroup_id_x 1
		.amdhsa_system_sgpr_workgroup_id_y 0
		.amdhsa_system_sgpr_workgroup_id_z 0
		.amdhsa_system_sgpr_workgroup_info 0
		.amdhsa_system_vgpr_workitem_id 0
		.amdhsa_next_free_vgpr 21
		.amdhsa_next_free_sgpr 46
		.amdhsa_reserve_vcc 1
		.amdhsa_float_round_mode_32 0
		.amdhsa_float_round_mode_16_64 0
		.amdhsa_float_denorm_mode_32 3
		.amdhsa_float_denorm_mode_16_64 3
		.amdhsa_dx10_clamp 1
		.amdhsa_ieee_mode 1
		.amdhsa_fp16_overflow 0
		.amdhsa_workgroup_processor_mode 1
		.amdhsa_memory_ordered 1
		.amdhsa_forward_progress 0
		.amdhsa_shared_vgpr_count 0
		.amdhsa_exception_fp_ieee_invalid_op 0
		.amdhsa_exception_fp_denorm_src 0
		.amdhsa_exception_fp_ieee_div_zero 0
		.amdhsa_exception_fp_ieee_overflow 0
		.amdhsa_exception_fp_ieee_underflow 0
		.amdhsa_exception_fp_ieee_inexact 0
		.amdhsa_exception_int_div_zero 0
	.end_amdhsa_kernel
	.section	.text._ZN4vllm38concat_and_cache_mla_rope_fused_kernelIN3c104HalfES2_Lb1EthLNS_18Fp8KVCacheDataTypeE1EEEvPKlPT_S7_PKS6_PKT0_illlliPT3_S5_iiiiPKf,"axG",@progbits,_ZN4vllm38concat_and_cache_mla_rope_fused_kernelIN3c104HalfES2_Lb1EthLNS_18Fp8KVCacheDataTypeE1EEEvPKlPT_S7_PKS6_PKT0_illlliPT3_S5_iiiiPKf,comdat
.Lfunc_end80:
	.size	_ZN4vllm38concat_and_cache_mla_rope_fused_kernelIN3c104HalfES2_Lb1EthLNS_18Fp8KVCacheDataTypeE1EEEvPKlPT_S7_PKS6_PKT0_illlliPT3_S5_iiiiPKf, .Lfunc_end80-_ZN4vllm38concat_and_cache_mla_rope_fused_kernelIN3c104HalfES2_Lb1EthLNS_18Fp8KVCacheDataTypeE1EEEvPKlPT_S7_PKS6_PKT0_illlliPT3_S5_iiiiPKf
                                        ; -- End function
	.section	.AMDGPU.csdata,"",@progbits
; Kernel info:
; codeLenInByte = 4424
; NumSgprs: 48
; NumVgprs: 21
; ScratchSize: 0
; MemoryBound: 0
; FloatMode: 240
; IeeeMode: 1
; LDSByteSize: 0 bytes/workgroup (compile time only)
; SGPRBlocks: 5
; VGPRBlocks: 2
; NumSGPRsForWavesPerEU: 48
; NumVGPRsForWavesPerEU: 21
; Occupancy: 16
; WaveLimiterHint : 1
; COMPUTE_PGM_RSRC2:SCRATCH_EN: 0
; COMPUTE_PGM_RSRC2:USER_SGPR: 15
; COMPUTE_PGM_RSRC2:TRAP_HANDLER: 0
; COMPUTE_PGM_RSRC2:TGID_X_EN: 1
; COMPUTE_PGM_RSRC2:TGID_Y_EN: 0
; COMPUTE_PGM_RSRC2:TGID_Z_EN: 0
; COMPUTE_PGM_RSRC2:TIDIG_COMP_CNT: 0
	.section	.text._ZN4vllm38concat_and_cache_mla_rope_fused_kernelIN3c104HalfES2_Lb0EthLNS_18Fp8KVCacheDataTypeE1EEEvPKlPT_S7_PKS6_PKT0_illlliPT3_S5_iiiiPKf,"axG",@progbits,_ZN4vllm38concat_and_cache_mla_rope_fused_kernelIN3c104HalfES2_Lb0EthLNS_18Fp8KVCacheDataTypeE1EEEvPKlPT_S7_PKS6_PKT0_illlliPT3_S5_iiiiPKf,comdat
	.protected	_ZN4vllm38concat_and_cache_mla_rope_fused_kernelIN3c104HalfES2_Lb0EthLNS_18Fp8KVCacheDataTypeE1EEEvPKlPT_S7_PKS6_PKT0_illlliPT3_S5_iiiiPKf ; -- Begin function _ZN4vllm38concat_and_cache_mla_rope_fused_kernelIN3c104HalfES2_Lb0EthLNS_18Fp8KVCacheDataTypeE1EEEvPKlPT_S7_PKS6_PKT0_illlliPT3_S5_iiiiPKf
	.globl	_ZN4vllm38concat_and_cache_mla_rope_fused_kernelIN3c104HalfES2_Lb0EthLNS_18Fp8KVCacheDataTypeE1EEEvPKlPT_S7_PKS6_PKT0_illlliPT3_S5_iiiiPKf
	.p2align	8
	.type	_ZN4vllm38concat_and_cache_mla_rope_fused_kernelIN3c104HalfES2_Lb0EthLNS_18Fp8KVCacheDataTypeE1EEEvPKlPT_S7_PKS6_PKT0_illlliPT3_S5_iiiiPKf,@function
_ZN4vllm38concat_and_cache_mla_rope_fused_kernelIN3c104HalfES2_Lb0EthLNS_18Fp8KVCacheDataTypeE1EEEvPKlPT_S7_PKS6_PKT0_illlliPT3_S5_iiiiPKf: ; @_ZN4vllm38concat_and_cache_mla_rope_fused_kernelIN3c104HalfES2_Lb0EthLNS_18Fp8KVCacheDataTypeE1EEEvPKlPT_S7_PKS6_PKT0_illlliPT3_S5_iiiiPKf
; %bb.0:
	s_load_b64 s[4:5], s[0:1], 0x60
	s_mov_b32 s16, s15
	s_mov_b32 s17, 0
	s_delay_alu instid0(SALU_CYCLE_1)
	s_lshl_b64 s[2:3], s[16:17], 3
	s_waitcnt lgkmcnt(0)
	s_add_u32 s4, s4, s2
	s_addc_u32 s5, s5, s3
	s_load_b64 s[26:27], s[4:5], 0x0
	s_waitcnt lgkmcnt(0)
	v_cmp_lt_i64_e64 s4, s[26:27], 0
	s_delay_alu instid0(VALU_DEP_1)
	s_and_b32 vcc_lo, exec_lo, s4
	s_cbranch_vccnz .LBB81_67
; %bb.1:
	s_clause 0x3
	s_load_b32 s21, s[0:1], 0x28
	s_load_b64 s[4:5], s[0:1], 0x0
	s_load_b128 s[12:15], s[0:1], 0x10
	s_load_b32 s17, s[0:1], 0x50
	v_lshlrev_b32_e32 v3, 1, v0
	s_waitcnt lgkmcnt(0)
	s_ashr_i32 s24, s21, 31
	s_add_u32 s2, s4, s2
	s_addc_u32 s3, s5, s3
	s_lshr_b32 s20, s21, 31
	s_load_b64 s[22:23], s[2:3], 0x0
	s_clause 0x2
	s_load_b64 s[2:3], s[0:1], 0x20
	s_load_b64 s[18:19], s[0:1], 0x58
	s_load_b256 s[4:11], s[0:1], 0x30
	s_add_i32 s20, s21, s20
	s_delay_alu instid0(SALU_CYCLE_1) | instskip(NEXT) | instid1(SALU_CYCLE_1)
	s_ashr_i32 s20, s20, 1
	s_mul_i32 s17, s20, s17
	s_waitcnt lgkmcnt(0)
	s_mul_i32 s24, s22, s24
	s_mul_hi_u32 s25, s22, s21
	s_mul_i32 s23, s23, s21
	s_add_i32 s24, s25, s24
	s_mul_i32 s28, s22, s21
	s_add_i32 s29, s24, s23
	s_mov_b32 s22, exec_lo
	v_cmpx_gt_i32_e64 s17, v0
	s_cbranch_execz .LBB81_4
; %bb.2:
	s_clause 0x1
	s_load_b64 s[30:31], s[0:1], 0x8
	s_load_b32 s34, s[0:1], 0x8c
	s_lshl_b64 s[24:25], s[28:29], 1
	s_mul_i32 s5, s16, s5
	s_mul_hi_u32 s21, s16, s4
	s_add_u32 s23, s2, s24
	s_mul_i32 s4, s16, s4
	s_addc_u32 s24, s3, s25
	s_add_i32 s5, s21, s5
	s_ashr_i32 s21, s20, 31
	s_lshl_b64 s[4:5], s[4:5], 1
	s_mov_b32 s33, 0
	s_waitcnt lgkmcnt(0)
	s_add_u32 s25, s30, s4
	s_addc_u32 s30, s31, s5
	s_abs_i32 s31, s20
	s_and_b32 s34, s34, 0xffff
	v_cvt_f32_u32_e32 v1, s31
	s_sub_i32 s4, 0, s31
	s_sub_i32 s35, 0, s20
	s_lshl_b32 s37, s34, 1
	s_delay_alu instid0(VALU_DEP_1) | instskip(SKIP_2) | instid1(VALU_DEP_1)
	v_rcp_iflag_f32_e32 v1, v1
	s_waitcnt_depctr 0xfff
	v_mul_f32_e32 v1, 0x4f7ffffe, v1
	v_cvt_u32_f32_e32 v2, v1
	s_delay_alu instid0(VALU_DEP_1) | instskip(SKIP_1) | instid1(SALU_CYCLE_1)
	v_mul_lo_u32 v1, s4, v2
	s_lshl_b32 s4, s20, 1
	s_sub_i32 s36, 0, s4
	s_lshl_b64 s[4:5], s[20:21], 1
	s_delay_alu instid0(VALU_DEP_1) | instskip(NEXT) | instid1(VALU_DEP_1)
	v_mul_hi_u32 v4, v2, v1
	v_dual_mov_b32 v1, v3 :: v_dual_add_nc_u32 v4, v2, v4
	v_mov_b32_e32 v2, v0
.LBB81_3:                               ; =>This Inner Loop Header: Depth=1
	s_delay_alu instid0(VALU_DEP_1) | instskip(SKIP_1) | instid1(VALU_DEP_2)
	v_sub_nc_u32_e32 v5, 0, v2
	v_ashrrev_i32_e32 v6, 31, v2
	v_max_i32_e32 v5, v2, v5
	s_delay_alu instid0(VALU_DEP_2) | instskip(NEXT) | instid1(VALU_DEP_2)
	v_xor_b32_e32 v6, s21, v6
	v_mul_hi_u32 v7, v5, v4
	s_delay_alu instid0(VALU_DEP_1) | instskip(SKIP_1) | instid1(VALU_DEP_2)
	v_mul_lo_u32 v8, v7, s31
	v_add_nc_u32_e32 v9, 1, v7
	v_sub_nc_u32_e32 v5, v5, v8
	s_delay_alu instid0(VALU_DEP_1) | instskip(SKIP_1) | instid1(VALU_DEP_4)
	v_subrev_nc_u32_e32 v8, s31, v5
	v_cmp_le_u32_e32 vcc_lo, s31, v5
	v_cndmask_b32_e32 v7, v7, v9, vcc_lo
	s_delay_alu instid0(VALU_DEP_1) | instskip(NEXT) | instid1(VALU_DEP_1)
	v_dual_cndmask_b32 v5, v5, v8 :: v_dual_add_nc_u32 v8, 1, v7
	v_cmp_le_u32_e32 vcc_lo, s31, v5
	s_delay_alu instid0(VALU_DEP_2) | instskip(NEXT) | instid1(VALU_DEP_1)
	v_cndmask_b32_e32 v5, v7, v8, vcc_lo
	v_xor_b32_e32 v5, v5, v6
	s_delay_alu instid0(VALU_DEP_1) | instskip(NEXT) | instid1(VALU_DEP_1)
	v_sub_nc_u32_e32 v11, v5, v6
	v_mad_u64_u32 v[5:6], null, s35, v11, v[2:3]
	v_ashrrev_i32_e32 v6, 31, v11
	v_mul_lo_u32 v12, v11, s7
	v_mad_u64_u32 v[7:8], null, v11, s6, 0
	v_mad_u64_u32 v[9:10], null, s36, v11, v[1:2]
	s_delay_alu instid0(VALU_DEP_4) | instskip(SKIP_3) | instid1(VALU_DEP_3)
	v_mul_lo_u32 v11, v6, s6
	v_ashrrev_i32_e32 v6, 31, v5
	v_add_nc_u32_e32 v2, s34, v2
	v_add_nc_u32_e32 v1, s37, v1
	v_lshlrev_b64 v[5:6], 1, v[5:6]
	v_ashrrev_i32_e32 v10, 31, v9
	v_add3_u32 v8, v8, v12, v11
	s_delay_alu instid0(VALU_DEP_3) | instskip(NEXT) | instid1(VALU_DEP_2)
	v_add_co_u32 v5, vcc_lo, s23, v5
	v_lshlrev_b64 v[7:8], 1, v[7:8]
	s_delay_alu instid0(VALU_DEP_4) | instskip(SKIP_1) | instid1(VALU_DEP_3)
	v_lshlrev_b64 v[9:10], 1, v[9:10]
	v_add_co_ci_u32_e32 v6, vcc_lo, s24, v6, vcc_lo
	v_add_co_u32 v7, vcc_lo, s25, v7
	s_delay_alu instid0(VALU_DEP_4) | instskip(NEXT) | instid1(VALU_DEP_2)
	v_add_co_ci_u32_e32 v8, vcc_lo, s30, v8, vcc_lo
	v_add_co_u32 v7, vcc_lo, v7, v9
	s_delay_alu instid0(VALU_DEP_2)
	v_add_co_ci_u32_e32 v8, vcc_lo, v8, v10, vcc_lo
	v_add_co_u32 v9, vcc_lo, v5, s4
	v_add_co_ci_u32_e32 v10, vcc_lo, s5, v6, vcc_lo
	global_load_b32 v11, v[7:8], off
	s_clause 0x1
	global_load_u16 v5, v[5:6], off
	global_load_u16 v6, v[9:10], off
	v_cmp_le_i32_e32 vcc_lo, s17, v2
	s_or_b32 s33, vcc_lo, s33
	s_waitcnt vmcnt(2)
	v_lshrrev_b32_e32 v9, 16, v11
	s_waitcnt vmcnt(0)
	s_delay_alu instid0(VALU_DEP_1) | instskip(SKIP_1) | instid1(VALU_DEP_2)
	v_mul_f16_e32 v10, v6, v9
	v_mul_f16_e32 v9, v5, v9
	v_fma_f16 v5, v5, v11, -v10
	s_delay_alu instid0(VALU_DEP_2) | instskip(NEXT) | instid1(VALU_DEP_1)
	v_fmac_f16_e32 v9, v6, v11
	v_pack_b32_f16 v5, v5, v9
	global_store_b32 v[7:8], v5, off
	s_and_not1_b32 exec_lo, exec_lo, s33
	s_cbranch_execnz .LBB81_3
.LBB81_4:
	s_or_b32 exec_lo, exec_lo, s22
	s_load_b128 s[4:7], s[0:1], 0x68
	s_waitcnt lgkmcnt(0)
	s_ashr_i32 s31, s7, 31
	s_mov_b32 s30, s7
	s_delay_alu instid0(SALU_CYCLE_1) | instskip(SKIP_1) | instid1(SALU_CYCLE_1)
	s_or_b64 s[24:25], s[26:27], s[30:31]
	s_mov_b32 s24, 0
	s_cmp_lg_u64 s[24:25], 0
	s_cbranch_scc0 .LBB81_68
; %bb.5:
	s_add_u32 s34, s30, s31
	s_mov_b32 s22, s31
	s_mov_b32 s23, s31
	s_addc_u32 s35, s31, s31
	s_delay_alu instid0(SALU_CYCLE_1) | instskip(NEXT) | instid1(SALU_CYCLE_1)
	s_xor_b64 s[34:35], s[34:35], s[22:23]
	v_cvt_f32_u32_e32 v1, s34
	v_cvt_f32_u32_e32 v2, s35
	s_sub_u32 s21, 0, s34
	s_subb_u32 s25, 0, s35
	s_delay_alu instid0(VALU_DEP_1) | instskip(NEXT) | instid1(VALU_DEP_1)
	v_fmamk_f32 v1, v2, 0x4f800000, v1
	v_rcp_f32_e32 v1, v1
	s_waitcnt_depctr 0xfff
	v_mul_f32_e32 v1, 0x5f7ffffc, v1
	s_delay_alu instid0(VALU_DEP_1) | instskip(NEXT) | instid1(VALU_DEP_1)
	v_mul_f32_e32 v2, 0x2f800000, v1
	v_trunc_f32_e32 v2, v2
	s_delay_alu instid0(VALU_DEP_1) | instskip(SKIP_1) | instid1(VALU_DEP_2)
	v_fmamk_f32 v1, v2, 0xcf800000, v1
	v_cvt_u32_f32_e32 v2, v2
	v_cvt_u32_f32_e32 v1, v1
	s_delay_alu instid0(VALU_DEP_2) | instskip(NEXT) | instid1(VALU_DEP_2)
	v_readfirstlane_b32 s7, v2
	v_readfirstlane_b32 s17, v1
	s_delay_alu instid0(VALU_DEP_2) | instskip(NEXT) | instid1(VALU_DEP_1)
	s_mul_i32 s33, s21, s7
	s_mul_hi_u32 s37, s21, s17
	s_mul_i32 s36, s25, s17
	s_add_i32 s33, s37, s33
	s_mul_i32 s38, s21, s17
	s_add_i32 s33, s33, s36
	s_mul_hi_u32 s37, s17, s38
	s_mul_hi_u32 s39, s7, s38
	s_mul_i32 s36, s7, s38
	s_mul_hi_u32 s38, s17, s33
	s_mul_i32 s17, s17, s33
	s_mul_hi_u32 s40, s7, s33
	s_add_u32 s17, s37, s17
	s_addc_u32 s37, 0, s38
	s_add_u32 s17, s17, s36
	s_mul_i32 s33, s7, s33
	s_addc_u32 s17, s37, s39
	s_addc_u32 s36, s40, 0
	s_add_u32 s17, s17, s33
	s_addc_u32 s33, 0, s36
	v_add_co_u32 v1, s17, v1, s17
	s_delay_alu instid0(VALU_DEP_1) | instskip(SKIP_1) | instid1(VALU_DEP_1)
	s_cmp_lg_u32 s17, 0
	s_addc_u32 s7, s7, s33
	v_readfirstlane_b32 s17, v1
	s_mul_i32 s33, s21, s7
	s_delay_alu instid0(VALU_DEP_1)
	s_mul_hi_u32 s36, s21, s17
	s_mul_i32 s25, s25, s17
	s_add_i32 s33, s36, s33
	s_mul_i32 s21, s21, s17
	s_add_i32 s33, s33, s25
	s_mul_hi_u32 s36, s7, s21
	s_mul_i32 s37, s7, s21
	s_mul_hi_u32 s21, s17, s21
	s_mul_hi_u32 s38, s17, s33
	s_mul_i32 s17, s17, s33
	s_mul_hi_u32 s25, s7, s33
	s_add_u32 s17, s21, s17
	s_addc_u32 s21, 0, s38
	s_add_u32 s17, s17, s37
	s_mul_i32 s33, s7, s33
	s_addc_u32 s17, s21, s36
	s_addc_u32 s21, s25, 0
	s_add_u32 s17, s17, s33
	s_addc_u32 s21, 0, s21
	v_add_co_u32 v1, s17, v1, s17
	s_delay_alu instid0(VALU_DEP_1) | instskip(SKIP_2) | instid1(VALU_DEP_1)
	s_cmp_lg_u32 s17, 0
	s_addc_u32 s7, s7, s21
	s_ashr_i32 s36, s27, 31
	v_readfirstlane_b32 s17, v1
	s_add_u32 s38, s26, s36
	s_mov_b32 s37, s36
	s_addc_u32 s39, s27, s36
	s_delay_alu instid0(SALU_CYCLE_1) | instskip(NEXT) | instid1(SALU_CYCLE_1)
	s_xor_b64 s[38:39], s[38:39], s[36:37]
	s_mul_i32 s25, s38, s7
	s_mul_hi_u32 s33, s38, s17
	s_mul_hi_u32 s21, s38, s7
	;; [unrolled: 1-line block ×3, first 2 shown]
	s_mul_i32 s17, s39, s17
	s_add_u32 s25, s33, s25
	s_addc_u32 s21, 0, s21
	s_mul_hi_u32 s40, s39, s7
	s_add_u32 s17, s25, s17
	s_mul_i32 s7, s39, s7
	s_addc_u32 s17, s21, s41
	s_addc_u32 s21, s40, 0
	s_add_u32 s7, s17, s7
	s_addc_u32 s17, 0, s21
	s_mul_hi_u32 s21, s34, s7
	s_mul_i32 s33, s34, s17
	s_mul_i32 s40, s34, s7
	s_add_i32 s21, s21, s33
	v_sub_co_u32 v1, s33, s38, s40
	s_mul_i32 s25, s35, s7
	s_delay_alu instid0(SALU_CYCLE_1) | instskip(NEXT) | instid1(VALU_DEP_1)
	s_add_i32 s21, s21, s25
	v_sub_co_u32 v2, s38, v1, s34
	s_sub_i32 s25, s39, s21
	s_cmp_lg_u32 s33, 0
	s_subb_u32 s25, s25, s35
	s_cmp_lg_u32 s38, 0
	v_readfirstlane_b32 s38, v2
	s_subb_u32 s25, s25, 0
	s_delay_alu instid0(SALU_CYCLE_1) | instskip(SKIP_1) | instid1(VALU_DEP_1)
	s_cmp_ge_u32 s25, s35
	s_cselect_b32 s40, -1, 0
	s_cmp_ge_u32 s38, s34
	s_cselect_b32 s38, -1, 0
	s_cmp_eq_u32 s25, s35
	s_cselect_b32 s25, s38, s40
	s_add_u32 s38, s7, 1
	s_addc_u32 s40, s17, 0
	s_add_u32 s41, s7, 2
	s_addc_u32 s42, s17, 0
	s_cmp_lg_u32 s25, 0
	s_cselect_b32 s25, s41, s38
	s_cselect_b32 s38, s42, s40
	s_cmp_lg_u32 s33, 0
	v_readfirstlane_b32 s33, v1
	s_subb_u32 s21, s39, s21
	s_delay_alu instid0(SALU_CYCLE_1) | instskip(SKIP_1) | instid1(VALU_DEP_1)
	s_cmp_ge_u32 s21, s35
	s_cselect_b32 s39, -1, 0
	s_cmp_ge_u32 s33, s34
	s_cselect_b32 s33, -1, 0
	s_cmp_eq_u32 s21, s35
	s_cselect_b32 s21, s33, s39
	s_delay_alu instid0(SALU_CYCLE_1) | instskip(SKIP_3) | instid1(SALU_CYCLE_1)
	s_cmp_lg_u32 s21, 0
	s_cselect_b32 s35, s38, s17
	s_cselect_b32 s34, s25, s7
	s_xor_b64 s[22:23], s[36:37], s[22:23]
	s_xor_b64 s[34:35], s[34:35], s[22:23]
	s_delay_alu instid0(SALU_CYCLE_1)
	s_sub_u32 s22, s34, s22
	s_subb_u32 s23, s35, s23
	s_and_not1_b32 vcc_lo, exec_lo, s24
	s_cbranch_vccnz .LBB81_7
.LBB81_6:
	v_cvt_f32_u32_e32 v1, s30
	s_sub_i32 s17, 0, s30
	s_mov_b32 s23, 0
	s_delay_alu instid0(VALU_DEP_1) | instskip(SKIP_2) | instid1(VALU_DEP_1)
	v_rcp_iflag_f32_e32 v1, v1
	s_waitcnt_depctr 0xfff
	v_mul_f32_e32 v1, 0x4f7ffffe, v1
	v_cvt_u32_f32_e32 v1, v1
	s_delay_alu instid0(VALU_DEP_1) | instskip(NEXT) | instid1(VALU_DEP_1)
	v_readfirstlane_b32 s7, v1
	s_mul_i32 s17, s17, s7
	s_delay_alu instid0(SALU_CYCLE_1) | instskip(NEXT) | instid1(SALU_CYCLE_1)
	s_mul_hi_u32 s17, s7, s17
	s_add_i32 s7, s7, s17
	s_delay_alu instid0(SALU_CYCLE_1) | instskip(NEXT) | instid1(SALU_CYCLE_1)
	s_mul_hi_u32 s7, s26, s7
	s_mul_i32 s17, s7, s30
	s_add_i32 s21, s7, 1
	s_sub_i32 s17, s26, s17
	s_delay_alu instid0(SALU_CYCLE_1)
	s_sub_i32 s22, s17, s30
	s_cmp_ge_u32 s17, s30
	s_cselect_b32 s7, s21, s7
	s_cselect_b32 s17, s22, s17
	s_add_i32 s21, s7, 1
	s_cmp_ge_u32 s17, s30
	s_cselect_b32 s22, s21, s7
.LBB81_7:
	s_load_b64 s[24:25], s[0:1], 0x78
	s_mul_i32 s7, s22, s31
	s_mul_hi_u32 s17, s22, s30
	s_mul_i32 s21, s22, s30
	s_add_i32 s7, s17, s7
	s_mul_i32 s17, s23, s30
	s_mul_i32 s30, s23, s4
	s_add_i32 s17, s7, s17
	s_sub_u32 s7, s26, s21
	s_subb_u32 s17, s27, s17
	s_mul_hi_u32 s27, s22, s4
	s_mul_i32 s31, s22, s4
	s_mul_hi_u32 s26, s7, s5
	s_mul_i32 s17, s17, s5
	s_mul_i32 s23, s7, s5
	s_mov_b32 s33, exec_lo
	v_cmpx_gt_i32_e64 s20, v0
	s_cbranch_execz .LBB81_46
; %bb.8:
	s_load_b32 s35, s[0:1], 0x8c
	s_ashr_i32 s38, s4, 31
	s_ashr_i32 s39, s5, 31
	s_lshl_b64 s[36:37], s[28:29], 1
	s_mul_i32 s28, s22, s38
	s_mul_i32 s29, s7, s39
	s_add_i32 s28, s27, s28
	s_add_i32 s29, s26, s29
	s_ashr_i32 s21, s20, 31
	s_ashr_i32 s40, s6, 31
	s_add_i32 s38, s28, s30
	s_add_i32 s29, s29, s17
	s_waitcnt lgkmcnt(0)
	s_load_b32 s34, s[24:25], 0x0
	s_mul_i32 s9, s9, s16
	v_lshlrev_b32_e32 v1, 2, v0
	v_mov_b32_e32 v17, v0
	s_and_b32 s28, s35, 0xffff
	s_add_u32 s2, s2, s36
	s_addc_u32 s35, s3, s37
	s_lshl_b32 s3, s28, 1
	s_lshl_b64 s[36:37], s[20:21], 1
	v_add_co_u32 v11, s2, s2, v3
	s_add_u32 s21, s31, s23
	v_add_co_ci_u32_e64 v12, null, s35, 0, s2
	s_addc_u32 s2, s38, s29
	s_add_u32 s29, s18, s6
	s_addc_u32 s35, s19, s40
	s_add_u32 s21, s29, s21
	s_mul_hi_u32 s29, s8, s16
	s_addc_u32 s2, s35, s2
	s_add_i32 s9, s29, s9
	s_mul_i32 s8, s8, s16
	v_add_co_u32 v2, s21, s21, v3
	s_lshl_b64 s[8:9], s[8:9], 1
	v_add_co_ci_u32_e64 v3, null, s2, 0, s21
	s_add_u32 s2, s12, s8
	v_add_co_u32 v13, vcc_lo, v11, s36
	s_addc_u32 s8, s13, s9
	v_add_co_u32 v1, s2, s2, v1
	v_add_co_ci_u32_e32 v14, vcc_lo, s37, v12, vcc_lo
	v_add_co_ci_u32_e64 v4, null, s8, 0, s2
	v_add_co_u32 v15, vcc_lo, v2, 1
	v_add_co_ci_u32_e32 v16, vcc_lo, 0, v3, vcc_lo
	v_add_co_u32 v1, vcc_lo, v1, 2
	s_delay_alu instid0(VALU_DEP_4)
	v_add_co_ci_u32_e32 v2, vcc_lo, 0, v4, vcc_lo
	v_mov_b32_e32 v4, 0
	s_mov_b32 s12, 0
	s_lshl_b32 s13, s28, 2
	s_mov_b64 s[8:9], 0
	s_branch .LBB81_10
.LBB81_9:                               ;   in Loop: Header=BB81_10 Depth=1
	s_or_b32 exec_lo, exec_lo, s2
	v_add_nc_u32_e32 v17, s28, v17
	v_add_co_u32 v1, s2, v1, s13
	s_delay_alu instid0(VALU_DEP_1) | instskip(NEXT) | instid1(VALU_DEP_3)
	v_add_co_ci_u32_e64 v2, s2, 0, v2, s2
	v_cmp_le_i32_e32 vcc_lo, s20, v17
	s_add_u32 s8, s8, s3
	s_addc_u32 s9, s9, 0
	global_store_b8 v[5:6], v8, off
	s_or_b32 s12, vcc_lo, s12
	s_delay_alu instid0(SALU_CYCLE_1)
	s_and_not1_b32 exec_lo, exec_lo, s12
	s_cbranch_execz .LBB81_46
.LBB81_10:                              ; =>This Inner Loop Header: Depth=1
	v_add_co_u32 v5, vcc_lo, v13, s8
	v_add_co_ci_u32_e32 v6, vcc_lo, s9, v14, vcc_lo
	global_load_b32 v3, v[1:2], off offset:-2
	v_add_co_u32 v7, vcc_lo, v11, s8
	v_add_co_ci_u32_e32 v8, vcc_lo, s9, v12, vcc_lo
	s_clause 0x1
	global_load_u16 v10, v[5:6], off
	global_load_u16 v6, v[7:8], off
	s_waitcnt vmcnt(2)
	v_lshrrev_b32_e32 v7, 16, v3
	s_waitcnt vmcnt(1)
	s_delay_alu instid0(VALU_DEP_1) | instskip(SKIP_1) | instid1(VALU_DEP_1)
	v_mul_f16_e32 v5, v10, v7
	s_waitcnt vmcnt(0)
	v_fma_f16 v18, v6, v3, -v5
	s_delay_alu instid0(VALU_DEP_1) | instskip(SKIP_1) | instid1(VALU_DEP_1)
	v_cvt_f32_f16_e32 v5, v18
	s_waitcnt lgkmcnt(0)
	v_div_scale_f32 v8, null, s34, s34, v5
	s_delay_alu instid0(VALU_DEP_1) | instskip(SKIP_2) | instid1(VALU_DEP_1)
	v_rcp_f32_e32 v9, v8
	s_waitcnt_depctr 0xfff
	v_fma_f32 v19, -v8, v9, 1.0
	v_fmac_f32_e32 v9, v19, v9
	v_div_scale_f32 v19, vcc_lo, v5, s34, v5
	s_delay_alu instid0(VALU_DEP_1) | instskip(NEXT) | instid1(VALU_DEP_1)
	v_mul_f32_e32 v20, v19, v9
	v_fma_f32 v21, -v8, v20, v19
	s_delay_alu instid0(VALU_DEP_1) | instskip(NEXT) | instid1(VALU_DEP_1)
	v_fmac_f32_e32 v20, v21, v9
	v_fma_f32 v8, -v8, v20, v19
	s_delay_alu instid0(VALU_DEP_1) | instskip(SKIP_1) | instid1(VALU_DEP_2)
	v_div_fmas_f32 v8, v8, v9, v20
	v_mul_f16_e32 v9, v6, v7
	v_div_fixup_f32 v5, v8, s34, v5
	v_mov_b32_e32 v8, v4
	s_delay_alu instid0(VALU_DEP_3) | instskip(NEXT) | instid1(VALU_DEP_3)
	v_fmac_f16_e32 v9, v10, v3
	v_cvt_f16_f32_e32 v5, v5
	s_delay_alu instid0(VALU_DEP_2) | instskip(NEXT) | instid1(VALU_DEP_2)
	v_pack_b32_f16 v18, v18, v9
	v_cvt_f32_f16_e32 v5, v5
	global_store_b32 v[1:2], v18, off offset:-2
	v_lshrrev_b32_e32 v6, 24, v5
	v_and_b32_e32 v7, 0x7f800000, v5
	v_and_b32_e32 v3, 0x7fffff, v5
	s_delay_alu instid0(VALU_DEP_3) | instskip(NEXT) | instid1(VALU_DEP_3)
	v_and_b32_e32 v10, 0x80, v6
	v_cmp_ne_u64_e32 vcc_lo, 0x7f800000, v[7:8]
	s_delay_alu instid0(VALU_DEP_2) | instskip(SKIP_1) | instid1(SALU_CYCLE_1)
	v_or_b32_e32 v7, 0x7e, v10
	s_and_saveexec_b32 s2, vcc_lo
	s_xor_b32 s21, exec_lo, s2
	s_cbranch_execz .LBB81_26
; %bb.11:                               ;   in Loop: Header=BB81_10 Depth=1
	v_dual_mov_b32 v19, v4 :: v_dual_and_b32 v18, 0x7fffffff, v5
	s_mov_b32 s2, exec_lo
	s_delay_alu instid0(VALU_DEP_1)
	v_cmpx_gt_u64_e32 0x43e00001, v[18:19]
	s_xor_b32 s29, exec_lo, s2
	s_cbranch_execz .LBB81_25
; %bb.12:                               ;   in Loop: Header=BB81_10 Depth=1
	v_mov_b32_e32 v7, 0
	s_mov_b32 s35, exec_lo
	v_cmpx_ne_u32_e32 0, v5
	s_cbranch_execz .LBB81_24
; %bb.13:                               ;   in Loop: Header=BB81_10 Depth=1
	v_bfe_u32 v18, v5, 23, 8
	v_or_b32_e32 v7, 0x800000, v3
	s_delay_alu instid0(VALU_DEP_2) | instskip(SKIP_1) | instid1(VALU_DEP_2)
	v_sub_nc_u32_e32 v5, 0x79, v18
	v_cmp_gt_u32_e32 vcc_lo, 0x7a, v18
	v_cndmask_b32_e32 v5, 0, v5, vcc_lo
	v_cmp_eq_u32_e32 vcc_lo, 0, v18
	s_delay_alu instid0(VALU_DEP_2) | instskip(SKIP_1) | instid1(VALU_DEP_2)
	v_cndmask_b32_e64 v19, v5, 0x78, vcc_lo
	v_cndmask_b32_e32 v3, v7, v3, vcc_lo
	v_add_nc_u32_e32 v5, 20, v19
	v_add_nc_u32_e32 v7, 19, v19
	s_delay_alu instid0(VALU_DEP_2) | instskip(NEXT) | instid1(VALU_DEP_2)
	v_lshlrev_b64 v[5:6], v5, -1
	v_lshlrev_b64 v[7:8], v7, 1
	s_delay_alu instid0(VALU_DEP_2) | instskip(NEXT) | instid1(VALU_DEP_3)
	v_not_b32_e32 v6, v6
	v_not_b32_e32 v5, v5
	s_delay_alu instid0(VALU_DEP_2) | instskip(NEXT) | instid1(VALU_DEP_2)
	v_and_b32_e32 v21, 0, v6
	v_and_b32_e32 v20, v3, v5
	v_lshrrev_b64 v[5:6], v19, v[3:4]
	s_delay_alu instid0(VALU_DEP_2) | instskip(NEXT) | instid1(VALU_DEP_2)
	v_cmp_eq_u64_e64 s2, v[20:21], v[7:8]
	v_dual_mov_b32 v8, v6 :: v_dual_mov_b32 v7, v5
	s_delay_alu instid0(VALU_DEP_2)
	s_and_saveexec_b32 s36, s2
; %bb.14:                               ;   in Loop: Header=BB81_10 Depth=1
	v_bfe_u32 v3, v5, 20, 1
	s_delay_alu instid0(VALU_DEP_1) | instskip(NEXT) | instid1(VALU_DEP_1)
	v_add_co_u32 v3, s2, v5, v3
	v_add_co_u32 v7, s2, v3, -1
; %bb.15:                               ;   in Loop: Header=BB81_10 Depth=1
	s_or_b32 exec_lo, exec_lo, s36
	v_add_nc_u32_e32 v3, 0xffffff81, v18
	v_lshrrev_b32_e32 v8, 23, v5
	s_mov_b32 s2, exec_lo
	s_delay_alu instid0(VALU_DEP_2) | instskip(NEXT) | instid1(VALU_DEP_1)
	v_cndmask_b32_e64 v3, v3, 0xffffff82, vcc_lo
	v_add3_u32 v8, v19, v3, v8
	v_and_b32_e32 v3, 0xfffff, v7
	s_delay_alu instid0(VALU_DEP_2) | instskip(NEXT) | instid1(VALU_DEP_2)
	v_add_nc_u32_e32 v7, 6, v8
	v_add_co_u32 v5, vcc_lo, v3, v5
	v_add_co_ci_u32_e32 v6, vcc_lo, 0, v6, vcc_lo
                                        ; implicit-def: $vgpr3
	s_delay_alu instid0(VALU_DEP_3)
	v_cmpx_ne_u32_e32 0, v7
	s_xor_b32 s2, exec_lo, s2
; %bb.16:                               ;   in Loop: Header=BB81_10 Depth=1
	s_delay_alu instid0(VALU_DEP_2) | instskip(SKIP_1) | instid1(VALU_DEP_1)
	v_cmp_lt_u64_e32 vcc_lo, 0xffffff, v[5:6]
	v_add_nc_u32_e32 v3, 7, v8
	v_cndmask_b32_e32 v3, v7, v3, vcc_lo
	v_cndmask_b32_e64 v7, 0, 1, vcc_lo
	s_delay_alu instid0(VALU_DEP_1)
	v_lshrrev_b64 v[5:6], v7, v[5:6]
; %bb.17:                               ;   in Loop: Header=BB81_10 Depth=1
	s_and_not1_saveexec_b32 s2, s2
; %bb.18:                               ;   in Loop: Header=BB81_10 Depth=1
	s_delay_alu instid0(VALU_DEP_1)
	v_bfe_u32 v3, v5, 23, 1
; %bb.19:                               ;   in Loop: Header=BB81_10 Depth=1
	s_or_b32 exec_lo, exec_lo, s2
	s_delay_alu instid0(VALU_DEP_2) | instskip(NEXT) | instid1(VALU_DEP_2)
	v_lshrrev_b64 v[5:6], 20, v[5:6]
	v_cmp_gt_i32_e32 vcc_lo, 16, v3
	v_cmp_ne_u32_e64 s2, 0, v3
                                        ; implicit-def: $vgpr7
	s_delay_alu instid0(VALU_DEP_3) | instskip(NEXT) | instid1(VALU_DEP_1)
	v_dual_cndmask_b32 v6, 0, v6 :: v_dual_cndmask_b32 v5, 7, v5
	v_cmp_ne_u64_e32 vcc_lo, 0, v[5:6]
	s_delay_alu instid0(VALU_DEP_3) | instskip(NEXT) | instid1(SALU_CYCLE_1)
	s_or_b32 s2, s2, vcc_lo
	s_and_saveexec_b32 s36, s2
	s_delay_alu instid0(SALU_CYCLE_1)
	s_xor_b32 s2, exec_lo, s36
; %bb.20:                               ;   in Loop: Header=BB81_10 Depth=1
	v_min_i32_e32 v3, 15, v3
	s_delay_alu instid0(VALU_DEP_1) | instskip(NEXT) | instid1(VALU_DEP_1)
	v_lshl_or_b32 v3, v3, 3, v10
                                        ; implicit-def: $vgpr10
	v_and_or_b32 v7, v5, 7, v3
; %bb.21:                               ;   in Loop: Header=BB81_10 Depth=1
	s_and_not1_saveexec_b32 s2, s2
; %bb.22:                               ;   in Loop: Header=BB81_10 Depth=1
	v_mov_b32_e32 v7, v10
; %bb.23:                               ;   in Loop: Header=BB81_10 Depth=1
	s_or_b32 exec_lo, exec_lo, s2
.LBB81_24:                              ;   in Loop: Header=BB81_10 Depth=1
	s_delay_alu instid0(SALU_CYCLE_1)
	s_or_b32 exec_lo, exec_lo, s35
.LBB81_25:                              ;   in Loop: Header=BB81_10 Depth=1
	s_and_not1_saveexec_b32 s2, s29
	s_delay_alu instid0(SALU_CYCLE_1)
	s_or_b32 exec_lo, exec_lo, s2
                                        ; implicit-def: $vgpr6
.LBB81_26:                              ;   in Loop: Header=BB81_10 Depth=1
	s_and_not1_saveexec_b32 s2, s21
; %bb.27:                               ;   in Loop: Header=BB81_10 Depth=1
	v_cmp_eq_u64_e32 vcc_lo, 0, v[3:4]
	v_or_b32_e32 v5, 0x7f, v6
	s_delay_alu instid0(VALU_DEP_1)
	v_cndmask_b32_e32 v7, v5, v7, vcc_lo
; %bb.28:                               ;   in Loop: Header=BB81_10 Depth=1
	s_or_b32 exec_lo, exec_lo, s2
	v_cvt_f32_f16_e32 v3, v9
	v_mov_b32_e32 v20, v4
	s_mov_b32 s2, exec_lo
	s_delay_alu instid0(VALU_DEP_2) | instskip(SKIP_1) | instid1(VALU_DEP_2)
	v_div_scale_f32 v5, null, s34, s34, v3
	v_div_scale_f32 v9, vcc_lo, v3, s34, v3
	v_rcp_f32_e32 v6, v5
	s_waitcnt_depctr 0xfff
	v_fma_f32 v8, -v5, v6, 1.0
	s_delay_alu instid0(VALU_DEP_1) | instskip(NEXT) | instid1(VALU_DEP_1)
	v_fmac_f32_e32 v6, v8, v6
	v_mul_f32_e32 v8, v9, v6
	s_delay_alu instid0(VALU_DEP_1) | instskip(NEXT) | instid1(VALU_DEP_1)
	v_fma_f32 v10, -v5, v8, v9
	v_fmac_f32_e32 v8, v10, v6
	s_delay_alu instid0(VALU_DEP_1) | instskip(NEXT) | instid1(VALU_DEP_1)
	v_fma_f32 v5, -v5, v8, v9
	v_div_fmas_f32 v5, v5, v6, v8
	s_delay_alu instid0(VALU_DEP_1) | instskip(SKIP_2) | instid1(VALU_DEP_3)
	v_div_fixup_f32 v3, v5, s34, v3
	v_add_co_u32 v5, vcc_lo, v15, s8
	v_add_co_ci_u32_e32 v6, vcc_lo, s9, v16, vcc_lo
	v_cvt_f16_f32_e32 v3, v3
	global_store_b8 v[5:6], v7, off offset:-1
	v_cvt_f32_f16_e32 v9, v3
	s_delay_alu instid0(VALU_DEP_1) | instskip(SKIP_2) | instid1(VALU_DEP_2)
	v_and_b32_e32 v3, 0x7fffff, v9
	v_lshrrev_b32_e32 v10, 24, v9
	v_and_b32_e32 v19, 0x7f800000, v9
	v_and_b32_e32 v18, 0x80, v10
	s_delay_alu instid0(VALU_DEP_1) | instskip(NEXT) | instid1(VALU_DEP_3)
	v_or_b32_e32 v8, 0x7e, v18
	v_cmpx_ne_u64_e32 0x7f800000, v[19:20]
	s_xor_b32 s21, exec_lo, s2
	s_cbranch_execz .LBB81_44
; %bb.29:                               ;   in Loop: Header=BB81_10 Depth=1
	v_dual_mov_b32 v20, v4 :: v_dual_and_b32 v19, 0x7fffffff, v9
	s_mov_b32 s2, exec_lo
	s_delay_alu instid0(VALU_DEP_1)
	v_cmpx_gt_u64_e32 0x43e00001, v[19:20]
	s_xor_b32 s29, exec_lo, s2
	s_cbranch_execz .LBB81_43
; %bb.30:                               ;   in Loop: Header=BB81_10 Depth=1
	v_mov_b32_e32 v8, 0
	s_mov_b32 s35, exec_lo
	v_cmpx_ne_u32_e32 0, v9
	s_cbranch_execz .LBB81_42
; %bb.31:                               ;   in Loop: Header=BB81_10 Depth=1
	v_bfe_u32 v19, v9, 23, 8
	v_or_b32_e32 v9, 0x800000, v3
	s_delay_alu instid0(VALU_DEP_2) | instskip(SKIP_1) | instid1(VALU_DEP_2)
	v_sub_nc_u32_e32 v7, 0x79, v19
	v_cmp_gt_u32_e32 vcc_lo, 0x7a, v19
	v_cndmask_b32_e32 v7, 0, v7, vcc_lo
	v_cmp_eq_u32_e32 vcc_lo, 0, v19
	s_delay_alu instid0(VALU_DEP_2) | instskip(SKIP_1) | instid1(VALU_DEP_2)
	v_cndmask_b32_e64 v20, v7, 0x78, vcc_lo
	v_cndmask_b32_e32 v3, v9, v3, vcc_lo
	v_add_nc_u32_e32 v7, 20, v20
	v_add_nc_u32_e32 v9, 19, v20
	s_delay_alu instid0(VALU_DEP_2) | instskip(NEXT) | instid1(VALU_DEP_2)
	v_lshlrev_b64 v[7:8], v7, -1
	v_lshlrev_b64 v[9:10], v9, 1
	s_delay_alu instid0(VALU_DEP_2) | instskip(NEXT) | instid1(VALU_DEP_3)
	v_not_b32_e32 v8, v8
	v_not_b32_e32 v7, v7
	s_delay_alu instid0(VALU_DEP_2) | instskip(NEXT) | instid1(VALU_DEP_2)
	v_and_b32_e32 v22, 0, v8
	v_and_b32_e32 v21, v3, v7
	v_lshrrev_b64 v[7:8], v20, v[3:4]
	s_delay_alu instid0(VALU_DEP_2) | instskip(NEXT) | instid1(VALU_DEP_2)
	v_cmp_eq_u64_e64 s2, v[21:22], v[9:10]
	v_dual_mov_b32 v10, v8 :: v_dual_mov_b32 v9, v7
	s_delay_alu instid0(VALU_DEP_2)
	s_and_saveexec_b32 s36, s2
; %bb.32:                               ;   in Loop: Header=BB81_10 Depth=1
	v_bfe_u32 v3, v7, 20, 1
	s_delay_alu instid0(VALU_DEP_1) | instskip(NEXT) | instid1(VALU_DEP_1)
	v_add_co_u32 v3, s2, v7, v3
	v_add_co_u32 v9, s2, v3, -1
; %bb.33:                               ;   in Loop: Header=BB81_10 Depth=1
	s_or_b32 exec_lo, exec_lo, s36
	v_add_nc_u32_e32 v3, 0xffffff81, v19
	v_lshrrev_b32_e32 v10, 23, v7
	s_mov_b32 s2, exec_lo
	s_delay_alu instid0(VALU_DEP_2) | instskip(NEXT) | instid1(VALU_DEP_1)
	v_cndmask_b32_e64 v3, v3, 0xffffff82, vcc_lo
	v_add3_u32 v10, v20, v3, v10
	v_and_b32_e32 v3, 0xfffff, v9
	s_delay_alu instid0(VALU_DEP_2) | instskip(NEXT) | instid1(VALU_DEP_2)
	v_add_nc_u32_e32 v9, 6, v10
	v_add_co_u32 v7, vcc_lo, v3, v7
	v_add_co_ci_u32_e32 v8, vcc_lo, 0, v8, vcc_lo
                                        ; implicit-def: $vgpr3
	s_delay_alu instid0(VALU_DEP_3)
	v_cmpx_ne_u32_e32 0, v9
	s_xor_b32 s2, exec_lo, s2
; %bb.34:                               ;   in Loop: Header=BB81_10 Depth=1
	s_delay_alu instid0(VALU_DEP_2) | instskip(SKIP_1) | instid1(VALU_DEP_1)
	v_cmp_lt_u64_e32 vcc_lo, 0xffffff, v[7:8]
	v_add_nc_u32_e32 v3, 7, v10
	v_cndmask_b32_e32 v3, v9, v3, vcc_lo
	v_cndmask_b32_e64 v9, 0, 1, vcc_lo
	s_delay_alu instid0(VALU_DEP_1)
	v_lshrrev_b64 v[7:8], v9, v[7:8]
; %bb.35:                               ;   in Loop: Header=BB81_10 Depth=1
	s_and_not1_saveexec_b32 s2, s2
; %bb.36:                               ;   in Loop: Header=BB81_10 Depth=1
	s_delay_alu instid0(VALU_DEP_1)
	v_bfe_u32 v3, v7, 23, 1
; %bb.37:                               ;   in Loop: Header=BB81_10 Depth=1
	s_or_b32 exec_lo, exec_lo, s2
	s_delay_alu instid0(VALU_DEP_2) | instskip(NEXT) | instid1(VALU_DEP_2)
	v_lshrrev_b64 v[7:8], 20, v[7:8]
	v_cmp_gt_i32_e32 vcc_lo, 16, v3
	v_cmp_ne_u32_e64 s2, 0, v3
	s_delay_alu instid0(VALU_DEP_3) | instskip(NEXT) | instid1(VALU_DEP_1)
	v_dual_cndmask_b32 v8, 0, v8 :: v_dual_cndmask_b32 v7, 7, v7
	v_cmp_ne_u64_e32 vcc_lo, 0, v[7:8]
                                        ; implicit-def: $vgpr8
	s_delay_alu instid0(VALU_DEP_3) | instskip(NEXT) | instid1(SALU_CYCLE_1)
	s_or_b32 s2, s2, vcc_lo
	s_and_saveexec_b32 s36, s2
	s_delay_alu instid0(SALU_CYCLE_1)
	s_xor_b32 s2, exec_lo, s36
; %bb.38:                               ;   in Loop: Header=BB81_10 Depth=1
	v_min_i32_e32 v3, 15, v3
	s_delay_alu instid0(VALU_DEP_1) | instskip(NEXT) | instid1(VALU_DEP_1)
	v_lshl_or_b32 v3, v3, 3, v18
                                        ; implicit-def: $vgpr18
	v_and_or_b32 v8, v7, 7, v3
; %bb.39:                               ;   in Loop: Header=BB81_10 Depth=1
	s_and_not1_saveexec_b32 s2, s2
; %bb.40:                               ;   in Loop: Header=BB81_10 Depth=1
	v_mov_b32_e32 v8, v18
; %bb.41:                               ;   in Loop: Header=BB81_10 Depth=1
	s_or_b32 exec_lo, exec_lo, s2
.LBB81_42:                              ;   in Loop: Header=BB81_10 Depth=1
	s_delay_alu instid0(SALU_CYCLE_1)
	s_or_b32 exec_lo, exec_lo, s35
.LBB81_43:                              ;   in Loop: Header=BB81_10 Depth=1
	s_and_not1_saveexec_b32 s2, s29
	s_delay_alu instid0(SALU_CYCLE_1)
	s_or_b32 exec_lo, exec_lo, s2
                                        ; implicit-def: $vgpr10
.LBB81_44:                              ;   in Loop: Header=BB81_10 Depth=1
	s_and_not1_saveexec_b32 s2, s21
	s_cbranch_execz .LBB81_9
; %bb.45:                               ;   in Loop: Header=BB81_10 Depth=1
	v_cmp_eq_u64_e32 vcc_lo, 0, v[3:4]
	v_or_b32_e32 v7, 0x7f, v10
	s_delay_alu instid0(VALU_DEP_1)
	v_cndmask_b32_e32 v8, v7, v8, vcc_lo
	s_branch .LBB81_9
.LBB81_46:
	s_or_b32 exec_lo, exec_lo, s33
	s_delay_alu instid0(SALU_CYCLE_1)
	s_mov_b32 s2, exec_lo
	v_cmpx_gt_i32_e64 s6, v0
	s_cbranch_execz .LBB81_67
; %bb.47:
	s_mul_i32 s3, s16, s11
	s_mul_hi_u32 s8, s16, s10
	s_mul_i32 s2, s16, s10
	s_add_i32 s3, s8, s3
	s_load_b32 s0, s[0:1], 0x8c
	s_lshl_b64 s[2:3], s[2:3], 1
	v_mov_b32_e32 v3, 0
	s_add_u32 s1, s14, s2
	s_addc_u32 s2, s15, s3
	s_waitcnt lgkmcnt(0)
	s_load_b32 s3, s[24:25], 0x0
	s_ashr_i32 s4, s4, 31
	s_delay_alu instid0(SALU_CYCLE_1) | instskip(NEXT) | instid1(SALU_CYCLE_1)
	s_mul_i32 s4, s22, s4
	s_add_i32 s4, s27, s4
	s_delay_alu instid0(SALU_CYCLE_1) | instskip(SKIP_3) | instid1(SALU_CYCLE_1)
	s_add_i32 s4, s4, s30
	s_add_u32 s8, s18, s31
	s_addc_u32 s9, s19, s4
	s_ashr_i32 s4, s5, 31
	s_mul_i32 s7, s7, s4
	s_delay_alu instid0(SALU_CYCLE_1) | instskip(NEXT) | instid1(SALU_CYCLE_1)
	s_add_i32 s4, s26, s7
	s_add_i32 s5, s4, s17
	s_add_u32 s4, s8, s23
	s_addc_u32 s5, s9, s5
	s_and_b32 s7, s0, 0xffff
	s_mov_b32 s8, 0
	s_branch .LBB81_49
.LBB81_48:                              ;   in Loop: Header=BB81_49 Depth=1
	s_or_b32 exec_lo, exec_lo, s0
	v_add_co_u32 v6, vcc_lo, s4, v0
	v_add_nc_u32_e32 v0, s7, v0
	v_add_co_ci_u32_e32 v7, vcc_lo, s5, v1, vcc_lo
	s_delay_alu instid0(VALU_DEP_2) | instskip(SKIP_2) | instid1(SALU_CYCLE_1)
	v_cmp_le_i32_e32 vcc_lo, s6, v0
	global_store_b8 v[6:7], v5, off
	s_or_b32 s8, vcc_lo, s8
	s_and_not1_b32 exec_lo, exec_lo, s8
	s_cbranch_execz .LBB81_67
.LBB81_49:                              ; =>This Inner Loop Header: Depth=1
	v_ashrrev_i32_e32 v1, 31, v0
	s_mov_b32 s0, exec_lo
	v_mov_b32_e32 v10, v3
	s_delay_alu instid0(VALU_DEP_2) | instskip(NEXT) | instid1(VALU_DEP_1)
	v_lshlrev_b64 v[4:5], 1, v[0:1]
	v_add_co_u32 v4, vcc_lo, s1, v4
	s_delay_alu instid0(VALU_DEP_2) | instskip(SKIP_4) | instid1(VALU_DEP_1)
	v_add_co_ci_u32_e32 v5, vcc_lo, s2, v5, vcc_lo
	global_load_u16 v2, v[4:5], off
	s_waitcnt vmcnt(0)
	v_cvt_f32_f16_e32 v2, v2
	s_waitcnt lgkmcnt(0)
	v_div_scale_f32 v4, null, s3, s3, v2
	s_delay_alu instid0(VALU_DEP_1) | instskip(SKIP_2) | instid1(VALU_DEP_1)
	v_rcp_f32_e32 v5, v4
	s_waitcnt_depctr 0xfff
	v_fma_f32 v6, -v4, v5, 1.0
	v_fmac_f32_e32 v5, v6, v5
	v_div_scale_f32 v6, vcc_lo, v2, s3, v2
	s_delay_alu instid0(VALU_DEP_1) | instskip(NEXT) | instid1(VALU_DEP_1)
	v_mul_f32_e32 v7, v6, v5
	v_fma_f32 v8, -v4, v7, v6
	s_delay_alu instid0(VALU_DEP_1) | instskip(NEXT) | instid1(VALU_DEP_1)
	v_fmac_f32_e32 v7, v8, v5
	v_fma_f32 v4, -v4, v7, v6
	s_delay_alu instid0(VALU_DEP_1) | instskip(NEXT) | instid1(VALU_DEP_1)
	v_div_fmas_f32 v4, v4, v5, v7
	v_div_fixup_f32 v2, v4, s3, v2
	s_delay_alu instid0(VALU_DEP_1) | instskip(NEXT) | instid1(VALU_DEP_1)
	v_cvt_f16_f32_e32 v2, v2
	v_cvt_f32_f16_e32 v4, v2
	s_delay_alu instid0(VALU_DEP_1) | instskip(SKIP_2) | instid1(VALU_DEP_2)
	v_and_b32_e32 v2, 0x7fffff, v4
	v_lshrrev_b32_e32 v6, 24, v4
	v_and_b32_e32 v9, 0x7f800000, v4
	v_and_b32_e32 v8, 0x80, v6
	s_delay_alu instid0(VALU_DEP_1) | instskip(NEXT) | instid1(VALU_DEP_3)
	v_or_b32_e32 v5, 0x7e, v8
	v_cmpx_ne_u64_e32 0x7f800000, v[9:10]
	s_xor_b32 s9, exec_lo, s0
	s_cbranch_execz .LBB81_65
; %bb.50:                               ;   in Loop: Header=BB81_49 Depth=1
	v_dual_mov_b32 v7, v3 :: v_dual_and_b32 v6, 0x7fffffff, v4
	s_mov_b32 s0, exec_lo
	s_delay_alu instid0(VALU_DEP_1)
	v_cmpx_gt_u64_e32 0x43e00001, v[6:7]
	s_xor_b32 s10, exec_lo, s0
	s_cbranch_execz .LBB81_64
; %bb.51:                               ;   in Loop: Header=BB81_49 Depth=1
	v_mov_b32_e32 v5, 0
	s_mov_b32 s11, exec_lo
	v_cmpx_ne_u32_e32 0, v4
	s_cbranch_execz .LBB81_63
; %bb.52:                               ;   in Loop: Header=BB81_49 Depth=1
	v_bfe_u32 v9, v4, 23, 8
	v_or_b32_e32 v6, 0x800000, v2
	s_delay_alu instid0(VALU_DEP_2) | instskip(SKIP_1) | instid1(VALU_DEP_2)
	v_sub_nc_u32_e32 v4, 0x79, v9
	v_cmp_gt_u32_e32 vcc_lo, 0x7a, v9
	v_cndmask_b32_e32 v4, 0, v4, vcc_lo
	v_cmp_eq_u32_e32 vcc_lo, 0, v9
	s_delay_alu instid0(VALU_DEP_2) | instskip(SKIP_1) | instid1(VALU_DEP_2)
	v_cndmask_b32_e64 v10, v4, 0x78, vcc_lo
	v_cndmask_b32_e32 v2, v6, v2, vcc_lo
	v_add_nc_u32_e32 v4, 20, v10
	v_add_nc_u32_e32 v6, 19, v10
	s_delay_alu instid0(VALU_DEP_2) | instskip(NEXT) | instid1(VALU_DEP_2)
	v_lshlrev_b64 v[4:5], v4, -1
	v_lshlrev_b64 v[6:7], v6, 1
	s_delay_alu instid0(VALU_DEP_2) | instskip(NEXT) | instid1(VALU_DEP_3)
	v_not_b32_e32 v5, v5
	v_not_b32_e32 v4, v4
	s_delay_alu instid0(VALU_DEP_2) | instskip(NEXT) | instid1(VALU_DEP_2)
	v_and_b32_e32 v12, 0, v5
	v_and_b32_e32 v11, v2, v4
	v_lshrrev_b64 v[4:5], v10, v[2:3]
	s_delay_alu instid0(VALU_DEP_2) | instskip(NEXT) | instid1(VALU_DEP_2)
	v_cmp_eq_u64_e64 s0, v[11:12], v[6:7]
	v_dual_mov_b32 v7, v5 :: v_dual_mov_b32 v6, v4
	s_delay_alu instid0(VALU_DEP_2)
	s_and_saveexec_b32 s12, s0
; %bb.53:                               ;   in Loop: Header=BB81_49 Depth=1
	v_bfe_u32 v2, v4, 20, 1
	s_delay_alu instid0(VALU_DEP_1) | instskip(NEXT) | instid1(VALU_DEP_1)
	v_add_co_u32 v2, s0, v4, v2
	v_add_co_u32 v6, s0, v2, -1
; %bb.54:                               ;   in Loop: Header=BB81_49 Depth=1
	s_or_b32 exec_lo, exec_lo, s12
	v_add_nc_u32_e32 v2, 0xffffff81, v9
	v_lshrrev_b32_e32 v7, 23, v4
	s_mov_b32 s0, exec_lo
	s_delay_alu instid0(VALU_DEP_2) | instskip(NEXT) | instid1(VALU_DEP_1)
	v_cndmask_b32_e64 v2, v2, 0xffffff82, vcc_lo
	v_add3_u32 v7, v10, v2, v7
	v_and_b32_e32 v2, 0xfffff, v6
	s_delay_alu instid0(VALU_DEP_2) | instskip(NEXT) | instid1(VALU_DEP_2)
	v_add_nc_u32_e32 v6, 6, v7
	v_add_co_u32 v4, vcc_lo, v2, v4
	v_add_co_ci_u32_e32 v5, vcc_lo, 0, v5, vcc_lo
                                        ; implicit-def: $vgpr2
	s_delay_alu instid0(VALU_DEP_3)
	v_cmpx_ne_u32_e32 0, v6
	s_xor_b32 s0, exec_lo, s0
; %bb.55:                               ;   in Loop: Header=BB81_49 Depth=1
	s_delay_alu instid0(VALU_DEP_2) | instskip(SKIP_1) | instid1(VALU_DEP_1)
	v_cmp_lt_u64_e32 vcc_lo, 0xffffff, v[4:5]
	v_add_nc_u32_e32 v2, 7, v7
	v_cndmask_b32_e32 v2, v6, v2, vcc_lo
	v_cndmask_b32_e64 v6, 0, 1, vcc_lo
	s_delay_alu instid0(VALU_DEP_1)
	v_lshrrev_b64 v[4:5], v6, v[4:5]
; %bb.56:                               ;   in Loop: Header=BB81_49 Depth=1
	s_and_not1_saveexec_b32 s0, s0
; %bb.57:                               ;   in Loop: Header=BB81_49 Depth=1
	s_delay_alu instid0(VALU_DEP_1)
	v_bfe_u32 v2, v4, 23, 1
; %bb.58:                               ;   in Loop: Header=BB81_49 Depth=1
	s_or_b32 exec_lo, exec_lo, s0
	s_delay_alu instid0(VALU_DEP_2) | instskip(NEXT) | instid1(VALU_DEP_2)
	v_lshrrev_b64 v[4:5], 20, v[4:5]
	v_cmp_gt_i32_e32 vcc_lo, 16, v2
	v_cmp_ne_u32_e64 s0, 0, v2
	s_delay_alu instid0(VALU_DEP_3) | instskip(NEXT) | instid1(VALU_DEP_1)
	v_dual_cndmask_b32 v5, 0, v5 :: v_dual_cndmask_b32 v4, 7, v4
	v_cmp_ne_u64_e32 vcc_lo, 0, v[4:5]
                                        ; implicit-def: $vgpr5
	s_delay_alu instid0(VALU_DEP_3) | instskip(NEXT) | instid1(SALU_CYCLE_1)
	s_or_b32 s0, s0, vcc_lo
	s_and_saveexec_b32 s12, s0
	s_delay_alu instid0(SALU_CYCLE_1)
	s_xor_b32 s0, exec_lo, s12
; %bb.59:                               ;   in Loop: Header=BB81_49 Depth=1
	v_min_i32_e32 v2, 15, v2
	s_delay_alu instid0(VALU_DEP_1) | instskip(NEXT) | instid1(VALU_DEP_1)
	v_lshl_or_b32 v2, v2, 3, v8
                                        ; implicit-def: $vgpr8
	v_and_or_b32 v5, v4, 7, v2
; %bb.60:                               ;   in Loop: Header=BB81_49 Depth=1
	s_and_not1_saveexec_b32 s0, s0
; %bb.61:                               ;   in Loop: Header=BB81_49 Depth=1
	v_mov_b32_e32 v5, v8
; %bb.62:                               ;   in Loop: Header=BB81_49 Depth=1
	s_or_b32 exec_lo, exec_lo, s0
.LBB81_63:                              ;   in Loop: Header=BB81_49 Depth=1
	s_delay_alu instid0(SALU_CYCLE_1)
	s_or_b32 exec_lo, exec_lo, s11
.LBB81_64:                              ;   in Loop: Header=BB81_49 Depth=1
	s_and_not1_saveexec_b32 s0, s10
	s_delay_alu instid0(SALU_CYCLE_1)
	s_or_b32 exec_lo, exec_lo, s0
                                        ; implicit-def: $vgpr6
.LBB81_65:                              ;   in Loop: Header=BB81_49 Depth=1
	s_and_not1_saveexec_b32 s0, s9
	s_cbranch_execz .LBB81_48
; %bb.66:                               ;   in Loop: Header=BB81_49 Depth=1
	v_cmp_eq_u64_e32 vcc_lo, 0, v[2:3]
	v_or_b32_e32 v4, 0x7f, v6
	s_delay_alu instid0(VALU_DEP_1)
	v_cndmask_b32_e32 v5, v4, v5, vcc_lo
	s_branch .LBB81_48
.LBB81_67:
	s_nop 0
	s_sendmsg sendmsg(MSG_DEALLOC_VGPRS)
	s_endpgm
.LBB81_68:
                                        ; implicit-def: $sgpr22_sgpr23
	s_branch .LBB81_6
	.section	.rodata,"a",@progbits
	.p2align	6, 0x0
	.amdhsa_kernel _ZN4vllm38concat_and_cache_mla_rope_fused_kernelIN3c104HalfES2_Lb0EthLNS_18Fp8KVCacheDataTypeE1EEEvPKlPT_S7_PKS6_PKT0_illlliPT3_S5_iiiiPKf
		.amdhsa_group_segment_fixed_size 0
		.amdhsa_private_segment_fixed_size 0
		.amdhsa_kernarg_size 384
		.amdhsa_user_sgpr_count 15
		.amdhsa_user_sgpr_dispatch_ptr 0
		.amdhsa_user_sgpr_queue_ptr 0
		.amdhsa_user_sgpr_kernarg_segment_ptr 1
		.amdhsa_user_sgpr_dispatch_id 0
		.amdhsa_user_sgpr_private_segment_size 0
		.amdhsa_wavefront_size32 1
		.amdhsa_uses_dynamic_stack 0
		.amdhsa_enable_private_segment 0
		.amdhsa_system_sgpr_workgroup_id_x 1
		.amdhsa_system_sgpr_workgroup_id_y 0
		.amdhsa_system_sgpr_workgroup_id_z 0
		.amdhsa_system_sgpr_workgroup_info 0
		.amdhsa_system_vgpr_workitem_id 0
		.amdhsa_next_free_vgpr 23
		.amdhsa_next_free_sgpr 43
		.amdhsa_reserve_vcc 1
		.amdhsa_float_round_mode_32 0
		.amdhsa_float_round_mode_16_64 0
		.amdhsa_float_denorm_mode_32 3
		.amdhsa_float_denorm_mode_16_64 3
		.amdhsa_dx10_clamp 1
		.amdhsa_ieee_mode 1
		.amdhsa_fp16_overflow 0
		.amdhsa_workgroup_processor_mode 1
		.amdhsa_memory_ordered 1
		.amdhsa_forward_progress 0
		.amdhsa_shared_vgpr_count 0
		.amdhsa_exception_fp_ieee_invalid_op 0
		.amdhsa_exception_fp_denorm_src 0
		.amdhsa_exception_fp_ieee_div_zero 0
		.amdhsa_exception_fp_ieee_overflow 0
		.amdhsa_exception_fp_ieee_underflow 0
		.amdhsa_exception_fp_ieee_inexact 0
		.amdhsa_exception_int_div_zero 0
	.end_amdhsa_kernel
	.section	.text._ZN4vllm38concat_and_cache_mla_rope_fused_kernelIN3c104HalfES2_Lb0EthLNS_18Fp8KVCacheDataTypeE1EEEvPKlPT_S7_PKS6_PKT0_illlliPT3_S5_iiiiPKf,"axG",@progbits,_ZN4vllm38concat_and_cache_mla_rope_fused_kernelIN3c104HalfES2_Lb0EthLNS_18Fp8KVCacheDataTypeE1EEEvPKlPT_S7_PKS6_PKT0_illlliPT3_S5_iiiiPKf,comdat
.Lfunc_end81:
	.size	_ZN4vllm38concat_and_cache_mla_rope_fused_kernelIN3c104HalfES2_Lb0EthLNS_18Fp8KVCacheDataTypeE1EEEvPKlPT_S7_PKS6_PKT0_illlliPT3_S5_iiiiPKf, .Lfunc_end81-_ZN4vllm38concat_and_cache_mla_rope_fused_kernelIN3c104HalfES2_Lb0EthLNS_18Fp8KVCacheDataTypeE1EEEvPKlPT_S7_PKS6_PKT0_illlliPT3_S5_iiiiPKf
                                        ; -- End function
	.section	.AMDGPU.csdata,"",@progbits
; Kernel info:
; codeLenInByte = 4436
; NumSgprs: 45
; NumVgprs: 23
; ScratchSize: 0
; MemoryBound: 0
; FloatMode: 240
; IeeeMode: 1
; LDSByteSize: 0 bytes/workgroup (compile time only)
; SGPRBlocks: 5
; VGPRBlocks: 2
; NumSGPRsForWavesPerEU: 45
; NumVGPRsForWavesPerEU: 23
; Occupancy: 16
; WaveLimiterHint : 1
; COMPUTE_PGM_RSRC2:SCRATCH_EN: 0
; COMPUTE_PGM_RSRC2:USER_SGPR: 15
; COMPUTE_PGM_RSRC2:TRAP_HANDLER: 0
; COMPUTE_PGM_RSRC2:TGID_X_EN: 1
; COMPUTE_PGM_RSRC2:TGID_Y_EN: 0
; COMPUTE_PGM_RSRC2:TGID_Z_EN: 0
; COMPUTE_PGM_RSRC2:TIDIG_COMP_CNT: 0
	.section	.text._ZN4vllm38concat_and_cache_mla_rope_fused_kernelIN3c104HalfENS1_8BFloat16ELb1EthLNS_18Fp8KVCacheDataTypeE1EEEvPKlPT_S8_PKS7_PKT0_illlliPT3_S6_iiiiPKf,"axG",@progbits,_ZN4vllm38concat_and_cache_mla_rope_fused_kernelIN3c104HalfENS1_8BFloat16ELb1EthLNS_18Fp8KVCacheDataTypeE1EEEvPKlPT_S8_PKS7_PKT0_illlliPT3_S6_iiiiPKf,comdat
	.protected	_ZN4vllm38concat_and_cache_mla_rope_fused_kernelIN3c104HalfENS1_8BFloat16ELb1EthLNS_18Fp8KVCacheDataTypeE1EEEvPKlPT_S8_PKS7_PKT0_illlliPT3_S6_iiiiPKf ; -- Begin function _ZN4vllm38concat_and_cache_mla_rope_fused_kernelIN3c104HalfENS1_8BFloat16ELb1EthLNS_18Fp8KVCacheDataTypeE1EEEvPKlPT_S8_PKS7_PKT0_illlliPT3_S6_iiiiPKf
	.globl	_ZN4vllm38concat_and_cache_mla_rope_fused_kernelIN3c104HalfENS1_8BFloat16ELb1EthLNS_18Fp8KVCacheDataTypeE1EEEvPKlPT_S8_PKS7_PKT0_illlliPT3_S6_iiiiPKf
	.p2align	8
	.type	_ZN4vllm38concat_and_cache_mla_rope_fused_kernelIN3c104HalfENS1_8BFloat16ELb1EthLNS_18Fp8KVCacheDataTypeE1EEEvPKlPT_S8_PKS7_PKT0_illlliPT3_S6_iiiiPKf,@function
_ZN4vllm38concat_and_cache_mla_rope_fused_kernelIN3c104HalfENS1_8BFloat16ELb1EthLNS_18Fp8KVCacheDataTypeE1EEEvPKlPT_S8_PKS7_PKT0_illlliPT3_S6_iiiiPKf: ; @_ZN4vllm38concat_and_cache_mla_rope_fused_kernelIN3c104HalfENS1_8BFloat16ELb1EthLNS_18Fp8KVCacheDataTypeE1EEEvPKlPT_S8_PKS7_PKT0_illlliPT3_S6_iiiiPKf
; %bb.0:
	s_load_b64 s[4:5], s[0:1], 0x60
	s_mov_b32 s16, s15
	s_mov_b32 s17, 0
	s_delay_alu instid0(SALU_CYCLE_1)
	s_lshl_b64 s[2:3], s[16:17], 3
	s_waitcnt lgkmcnt(0)
	s_add_u32 s4, s4, s2
	s_addc_u32 s5, s5, s3
	s_load_b64 s[28:29], s[4:5], 0x0
	s_waitcnt lgkmcnt(0)
	v_cmp_lt_i64_e64 s4, s[28:29], 0
	s_delay_alu instid0(VALU_DEP_1)
	s_and_b32 vcc_lo, exec_lo, s4
	s_cbranch_vccnz .LBB82_67
; %bb.1:
	s_clause 0x2
	s_load_b32 s22, s[0:1], 0x28
	s_load_b64 s[4:5], s[0:1], 0x0
	s_load_b128 s[12:15], s[0:1], 0x10
	s_waitcnt lgkmcnt(0)
	s_ashr_i32 s17, s22, 31
	s_add_u32 s2, s4, s2
	s_addc_u32 s3, s5, s3
	s_load_b64 s[20:21], s[2:3], 0x0
	s_clause 0x3
	s_load_b64 s[2:3], s[0:1], 0x20
	s_load_b32 s23, s[0:1], 0x50
	s_load_b64 s[18:19], s[0:1], 0x58
	s_load_b256 s[4:11], s[0:1], 0x30
	s_waitcnt lgkmcnt(0)
	s_mul_i32 s17, s20, s17
	s_mul_hi_u32 s24, s20, s22
	s_mul_i32 s21, s21, s22
	s_add_i32 s17, s24, s17
	s_mul_i32 s20, s20, s22
	s_add_i32 s21, s17, s21
	s_delay_alu instid0(SALU_CYCLE_1) | instskip(NEXT) | instid1(SALU_CYCLE_1)
	s_lshl_b64 s[26:27], s[20:21], 1
	s_add_u32 s17, s2, s26
	s_addc_u32 s33, s3, s27
	s_lshr_b32 s20, s22, 31
	s_delay_alu instid0(SALU_CYCLE_1) | instskip(NEXT) | instid1(SALU_CYCLE_1)
	s_add_i32 s22, s22, s20
	s_ashr_i32 s20, s22, 1
	s_delay_alu instid0(SALU_CYCLE_1)
	s_mul_i32 s22, s20, s23
	s_mov_b32 s23, exec_lo
	v_cmpx_gt_i32_e64 s22, v0
	s_cbranch_execz .LBB82_4
; %bb.2:
	s_clause 0x1
	s_load_b64 s[24:25], s[0:1], 0x8
	s_load_b32 s31, s[0:1], 0x8c
	s_mul_i32 s5, s16, s5
	s_mul_hi_u32 s21, s16, s4
	s_mul_i32 s4, s16, s4
	s_add_i32 s5, s21, s5
	s_ashr_i32 s21, s20, 31
	s_lshl_b64 s[4:5], s[4:5], 1
	s_mov_b32 s34, 0
	s_waitcnt lgkmcnt(0)
	s_add_u32 s24, s24, s4
	s_addc_u32 s25, s25, s5
	s_abs_i32 s30, s20
	s_and_b32 s31, s31, 0xffff
	v_cvt_f32_u32_e32 v1, s30
	s_sub_i32 s4, 0, s30
	s_sub_i32 s35, 0, s20
	s_delay_alu instid0(VALU_DEP_1) | instskip(SKIP_2) | instid1(VALU_DEP_1)
	v_rcp_iflag_f32_e32 v1, v1
	s_waitcnt_depctr 0xfff
	v_mul_f32_e32 v1, 0x4f7ffffe, v1
	v_cvt_u32_f32_e32 v1, v1
	s_delay_alu instid0(VALU_DEP_1) | instskip(SKIP_1) | instid1(VALU_DEP_1)
	v_mul_lo_u32 v2, s4, v1
	s_lshl_b64 s[4:5], s[20:21], 1
	v_mul_hi_u32 v2, v1, v2
	s_delay_alu instid0(VALU_DEP_1)
	v_dual_mov_b32 v1, v0 :: v_dual_add_nc_u32 v2, v1, v2
.LBB82_3:                               ; =>This Inner Loop Header: Depth=1
	s_delay_alu instid0(VALU_DEP_1) | instskip(SKIP_1) | instid1(VALU_DEP_2)
	v_sub_nc_u32_e32 v3, 0, v1
	v_ashrrev_i32_e32 v4, 31, v1
	v_max_i32_e32 v3, v1, v3
	s_delay_alu instid0(VALU_DEP_2) | instskip(NEXT) | instid1(VALU_DEP_2)
	v_xor_b32_e32 v4, s21, v4
	v_mul_hi_u32 v5, v3, v2
	s_delay_alu instid0(VALU_DEP_1) | instskip(SKIP_1) | instid1(VALU_DEP_2)
	v_mul_lo_u32 v6, v5, s30
	v_add_nc_u32_e32 v7, 1, v5
	v_sub_nc_u32_e32 v3, v3, v6
	s_delay_alu instid0(VALU_DEP_1) | instskip(SKIP_1) | instid1(VALU_DEP_4)
	v_subrev_nc_u32_e32 v6, s30, v3
	v_cmp_le_u32_e32 vcc_lo, s30, v3
	v_cndmask_b32_e32 v5, v5, v7, vcc_lo
	s_delay_alu instid0(VALU_DEP_1) | instskip(NEXT) | instid1(VALU_DEP_1)
	v_dual_cndmask_b32 v3, v3, v6 :: v_dual_add_nc_u32 v6, 1, v5
	v_cmp_le_u32_e32 vcc_lo, s30, v3
	s_delay_alu instid0(VALU_DEP_2) | instskip(NEXT) | instid1(VALU_DEP_1)
	v_cndmask_b32_e32 v3, v5, v6, vcc_lo
	v_xor_b32_e32 v3, v3, v4
	s_delay_alu instid0(VALU_DEP_1) | instskip(NEXT) | instid1(VALU_DEP_1)
	v_sub_nc_u32_e32 v7, v3, v4
	v_mad_u64_u32 v[3:4], null, s35, v7, v[1:2]
	v_ashrrev_i32_e32 v8, 31, v7
	v_mul_lo_u32 v9, v7, s7
	v_mad_u64_u32 v[5:6], null, v7, s6, 0
	v_add_nc_u32_e32 v1, s31, v1
	s_delay_alu instid0(VALU_DEP_4) | instskip(SKIP_1) | instid1(VALU_DEP_1)
	v_mul_lo_u32 v7, v8, s6
	v_ashrrev_i32_e32 v4, 31, v3
	v_lshlrev_b64 v[3:4], 1, v[3:4]
	s_delay_alu instid0(VALU_DEP_3) | instskip(NEXT) | instid1(VALU_DEP_2)
	v_add3_u32 v6, v6, v9, v7
	v_add_co_u32 v7, vcc_lo, s17, v3
	s_delay_alu instid0(VALU_DEP_2) | instskip(NEXT) | instid1(VALU_DEP_4)
	v_lshlrev_b64 v[5:6], 1, v[5:6]
	v_add_co_ci_u32_e32 v8, vcc_lo, s33, v4, vcc_lo
	s_delay_alu instid0(VALU_DEP_3) | instskip(NEXT) | instid1(VALU_DEP_2)
	v_add_co_u32 v9, vcc_lo, v7, s4
	v_add_co_ci_u32_e32 v10, vcc_lo, s5, v8, vcc_lo
	s_delay_alu instid0(VALU_DEP_4)
	v_add_co_u32 v5, vcc_lo, s24, v5
	v_add_co_ci_u32_e32 v6, vcc_lo, s25, v6, vcc_lo
	s_clause 0x1
	global_load_u16 v7, v[7:8], off
	global_load_u16 v8, v[9:10], off
	v_add_co_u32 v3, vcc_lo, v5, v3
	v_add_co_ci_u32_e32 v4, vcc_lo, v6, v4, vcc_lo
	s_delay_alu instid0(VALU_DEP_2) | instskip(NEXT) | instid1(VALU_DEP_2)
	v_add_co_u32 v5, vcc_lo, v3, s4
	v_add_co_ci_u32_e32 v6, vcc_lo, s5, v4, vcc_lo
	s_clause 0x1
	global_load_u16 v9, v[3:4], off
	global_load_u16 v10, v[5:6], off
	v_cmp_le_i32_e32 vcc_lo, s22, v1
	s_or_b32 s34, vcc_lo, s34
	s_waitcnt vmcnt(3)
	v_lshlrev_b32_e32 v7, 16, v7
	s_waitcnt vmcnt(2)
	v_lshlrev_b32_e32 v8, 16, v8
	s_delay_alu instid0(VALU_DEP_2) | instskip(NEXT) | instid1(VALU_DEP_2)
	v_cvt_f16_f32_e32 v7, v7
	v_cvt_f16_f32_e32 v8, v8
	s_waitcnt vmcnt(0)
	s_delay_alu instid0(VALU_DEP_1) | instskip(SKIP_1) | instid1(VALU_DEP_2)
	v_mul_f16_e32 v11, v10, v8
	v_mul_f16_e32 v8, v9, v8
	v_fma_f16 v9, v9, v7, -v11
	s_delay_alu instid0(VALU_DEP_2)
	v_fmac_f16_e32 v8, v10, v7
	s_clause 0x1
	global_store_b16 v[3:4], v9, off
	global_store_b16 v[5:6], v8, off
	s_and_not1_b32 exec_lo, exec_lo, s34
	s_cbranch_execnz .LBB82_3
.LBB82_4:
	s_or_b32 exec_lo, exec_lo, s23
	s_load_b128 s[4:7], s[0:1], 0x68
	s_waitcnt lgkmcnt(0)
	s_ashr_i32 s31, s7, 31
	s_mov_b32 s30, s7
	s_delay_alu instid0(SALU_CYCLE_1) | instskip(SKIP_1) | instid1(SALU_CYCLE_1)
	s_or_b64 s[24:25], s[28:29], s[30:31]
	s_mov_b32 s24, 0
	s_cmp_lg_u64 s[24:25], 0
	s_cbranch_scc0 .LBB82_68
; %bb.5:
	s_add_u32 s34, s30, s31
	s_mov_b32 s22, s31
	s_mov_b32 s23, s31
	s_addc_u32 s35, s31, s31
	s_delay_alu instid0(SALU_CYCLE_1) | instskip(NEXT) | instid1(SALU_CYCLE_1)
	s_xor_b64 s[34:35], s[34:35], s[22:23]
	v_cvt_f32_u32_e32 v1, s34
	v_cvt_f32_u32_e32 v2, s35
	s_sub_u32 s25, 0, s34
	s_subb_u32 s36, 0, s35
	s_delay_alu instid0(VALU_DEP_1) | instskip(NEXT) | instid1(VALU_DEP_1)
	v_fmamk_f32 v1, v2, 0x4f800000, v1
	v_rcp_f32_e32 v1, v1
	s_waitcnt_depctr 0xfff
	v_mul_f32_e32 v1, 0x5f7ffffc, v1
	s_delay_alu instid0(VALU_DEP_1) | instskip(NEXT) | instid1(VALU_DEP_1)
	v_mul_f32_e32 v2, 0x2f800000, v1
	v_trunc_f32_e32 v2, v2
	s_delay_alu instid0(VALU_DEP_1) | instskip(SKIP_1) | instid1(VALU_DEP_2)
	v_fmamk_f32 v1, v2, 0xcf800000, v1
	v_cvt_u32_f32_e32 v2, v2
	v_cvt_u32_f32_e32 v1, v1
	s_delay_alu instid0(VALU_DEP_2) | instskip(NEXT) | instid1(VALU_DEP_2)
	v_readfirstlane_b32 s7, v2
	v_readfirstlane_b32 s21, v1
	s_delay_alu instid0(VALU_DEP_2) | instskip(NEXT) | instid1(VALU_DEP_1)
	s_mul_i32 s37, s25, s7
	s_mul_hi_u32 s39, s25, s21
	s_mul_i32 s38, s36, s21
	s_add_i32 s37, s39, s37
	s_mul_i32 s40, s25, s21
	s_add_i32 s37, s37, s38
	s_mul_hi_u32 s39, s21, s40
	s_mul_hi_u32 s41, s7, s40
	s_mul_i32 s38, s7, s40
	s_mul_hi_u32 s40, s21, s37
	s_mul_i32 s21, s21, s37
	s_mul_hi_u32 s42, s7, s37
	s_add_u32 s21, s39, s21
	s_addc_u32 s39, 0, s40
	s_add_u32 s21, s21, s38
	s_mul_i32 s37, s7, s37
	s_addc_u32 s21, s39, s41
	s_addc_u32 s38, s42, 0
	s_add_u32 s21, s21, s37
	s_addc_u32 s37, 0, s38
	v_add_co_u32 v1, s21, v1, s21
	s_delay_alu instid0(VALU_DEP_1) | instskip(SKIP_1) | instid1(VALU_DEP_1)
	s_cmp_lg_u32 s21, 0
	s_addc_u32 s7, s7, s37
	v_readfirstlane_b32 s21, v1
	s_mul_i32 s37, s25, s7
	s_delay_alu instid0(VALU_DEP_1)
	s_mul_hi_u32 s38, s25, s21
	s_mul_i32 s36, s36, s21
	s_add_i32 s37, s38, s37
	s_mul_i32 s25, s25, s21
	s_add_i32 s37, s37, s36
	s_mul_hi_u32 s38, s7, s25
	s_mul_i32 s39, s7, s25
	s_mul_hi_u32 s25, s21, s25
	s_mul_hi_u32 s40, s21, s37
	s_mul_i32 s21, s21, s37
	s_mul_hi_u32 s36, s7, s37
	s_add_u32 s21, s25, s21
	s_addc_u32 s25, 0, s40
	s_add_u32 s21, s21, s39
	s_mul_i32 s37, s7, s37
	s_addc_u32 s21, s25, s38
	s_addc_u32 s25, s36, 0
	s_add_u32 s21, s21, s37
	s_addc_u32 s25, 0, s25
	v_add_co_u32 v1, s21, v1, s21
	s_delay_alu instid0(VALU_DEP_1) | instskip(SKIP_2) | instid1(VALU_DEP_1)
	s_cmp_lg_u32 s21, 0
	s_addc_u32 s7, s7, s25
	s_ashr_i32 s36, s29, 31
	v_readfirstlane_b32 s21, v1
	s_add_u32 s38, s28, s36
	s_mov_b32 s37, s36
	s_addc_u32 s39, s29, s36
	s_delay_alu instid0(SALU_CYCLE_1) | instskip(NEXT) | instid1(SALU_CYCLE_1)
	s_xor_b64 s[38:39], s[38:39], s[36:37]
	s_mul_i32 s40, s38, s7
	s_mul_hi_u32 s41, s38, s21
	s_mul_hi_u32 s25, s38, s7
	;; [unrolled: 1-line block ×3, first 2 shown]
	s_mul_i32 s21, s39, s21
	s_add_u32 s40, s41, s40
	s_addc_u32 s25, 0, s25
	s_mul_hi_u32 s42, s39, s7
	s_add_u32 s21, s40, s21
	s_mul_i32 s7, s39, s7
	s_addc_u32 s21, s25, s43
	s_addc_u32 s25, s42, 0
	s_add_u32 s7, s21, s7
	s_addc_u32 s21, 0, s25
	s_mul_i32 s42, s34, s7
	s_mul_hi_u32 s25, s34, s7
	s_mul_i32 s41, s34, s21
	v_sub_co_u32 v1, s38, s38, s42
	s_mul_i32 s40, s35, s7
	s_add_i32 s25, s25, s41
	s_delay_alu instid0(SALU_CYCLE_1) | instskip(NEXT) | instid1(VALU_DEP_1)
	s_add_i32 s25, s25, s40
	v_sub_co_u32 v2, s41, v1, s34
	s_sub_i32 s40, s39, s25
	s_cmp_lg_u32 s38, 0
	s_subb_u32 s40, s40, s35
	s_cmp_lg_u32 s41, 0
	v_readfirstlane_b32 s41, v2
	s_subb_u32 s40, s40, 0
	s_delay_alu instid0(SALU_CYCLE_1) | instskip(SKIP_1) | instid1(VALU_DEP_1)
	s_cmp_ge_u32 s40, s35
	s_cselect_b32 s42, -1, 0
	s_cmp_ge_u32 s41, s34
	s_cselect_b32 s41, -1, 0
	s_cmp_eq_u32 s40, s35
	s_cselect_b32 s40, s41, s42
	s_add_u32 s41, s7, 1
	s_addc_u32 s42, s21, 0
	s_add_u32 s43, s7, 2
	s_addc_u32 s44, s21, 0
	s_cmp_lg_u32 s40, 0
	s_cselect_b32 s40, s43, s41
	s_cselect_b32 s41, s44, s42
	s_cmp_lg_u32 s38, 0
	v_readfirstlane_b32 s38, v1
	s_subb_u32 s25, s39, s25
	s_delay_alu instid0(SALU_CYCLE_1) | instskip(SKIP_1) | instid1(VALU_DEP_1)
	s_cmp_ge_u32 s25, s35
	s_cselect_b32 s39, -1, 0
	s_cmp_ge_u32 s38, s34
	s_cselect_b32 s34, -1, 0
	s_cmp_eq_u32 s25, s35
	s_cselect_b32 s25, s34, s39
	s_delay_alu instid0(SALU_CYCLE_1) | instskip(SKIP_3) | instid1(SALU_CYCLE_1)
	s_cmp_lg_u32 s25, 0
	s_cselect_b32 s35, s41, s21
	s_cselect_b32 s34, s40, s7
	s_xor_b64 s[22:23], s[36:37], s[22:23]
	s_xor_b64 s[34:35], s[34:35], s[22:23]
	s_delay_alu instid0(SALU_CYCLE_1)
	s_sub_u32 s22, s34, s22
	s_subb_u32 s23, s35, s23
	s_and_not1_b32 vcc_lo, exec_lo, s24
	s_cbranch_vccnz .LBB82_7
.LBB82_6:
	v_cvt_f32_u32_e32 v1, s30
	s_sub_i32 s21, 0, s30
	s_delay_alu instid0(VALU_DEP_1) | instskip(SKIP_2) | instid1(VALU_DEP_1)
	v_rcp_iflag_f32_e32 v1, v1
	s_waitcnt_depctr 0xfff
	v_mul_f32_e32 v1, 0x4f7ffffe, v1
	v_cvt_u32_f32_e32 v1, v1
	s_delay_alu instid0(VALU_DEP_1) | instskip(NEXT) | instid1(VALU_DEP_1)
	v_readfirstlane_b32 s7, v1
	s_mul_i32 s21, s21, s7
	s_delay_alu instid0(SALU_CYCLE_1) | instskip(NEXT) | instid1(SALU_CYCLE_1)
	s_mul_hi_u32 s21, s7, s21
	s_add_i32 s7, s7, s21
	s_delay_alu instid0(SALU_CYCLE_1) | instskip(NEXT) | instid1(SALU_CYCLE_1)
	s_mul_hi_u32 s7, s28, s7
	s_mul_i32 s21, s7, s30
	s_add_i32 s22, s7, 1
	s_sub_i32 s21, s28, s21
	s_delay_alu instid0(SALU_CYCLE_1)
	s_sub_i32 s23, s21, s30
	s_cmp_ge_u32 s21, s30
	s_cselect_b32 s7, s22, s7
	s_cselect_b32 s21, s23, s21
	s_add_i32 s22, s7, 1
	s_cmp_ge_u32 s21, s30
	s_mov_b32 s23, 0
	s_cselect_b32 s22, s22, s7
.LBB82_7:
	s_load_b64 s[24:25], s[0:1], 0x78
	s_mul_i32 s7, s22, s31
	s_mul_hi_u32 s21, s22, s30
	s_mul_i32 s31, s23, s4
	s_add_i32 s7, s21, s7
	s_mul_i32 s21, s23, s30
	s_mul_i32 s30, s22, s30
	s_add_i32 s21, s7, s21
	s_sub_u32 s7, s28, s30
	s_subb_u32 s21, s29, s21
	s_mul_hi_u32 s30, s22, s4
	s_mul_i32 s34, s22, s4
	s_mul_hi_u32 s29, s7, s5
	s_mul_i32 s23, s21, s5
	s_mul_i32 s28, s7, s5
	s_mov_b32 s35, exec_lo
	v_cmpx_gt_i32_e64 s20, v0
	s_cbranch_execz .LBB82_46
; %bb.8:
	s_load_b32 s38, s[0:1], 0x8c
	s_mul_i32 s9, s16, s9
	s_mul_hi_u32 s37, s16, s8
	s_mul_i32 s36, s16, s8
	s_add_i32 s37, s37, s9
	s_ashr_i32 s21, s20, 31
	s_lshl_b64 s[40:41], s[36:37], 1
	s_waitcnt lgkmcnt(0)
	s_load_b32 s8, s[24:25], 0x0
	s_add_u32 s9, s12, s40
	s_addc_u32 s36, s13, s41
	s_ashr_i32 s37, s4, 31
	s_ashr_i32 s39, s5, 31
	s_mul_i32 s37, s22, s37
	s_mul_i32 s39, s7, s39
	s_add_i32 s37, s30, s37
	s_add_i32 s39, s29, s39
	;; [unrolled: 1-line block ×3, first 2 shown]
	s_lshl_b64 s[42:43], s[20:21], 1
	s_ashr_i32 s44, s6, 31
	s_add_i32 s39, s39, s23
	s_and_b32 s37, s38, 0xffff
	v_dual_mov_b32 v2, 0 :: v_dual_lshlrev_b32 v9, 1, v0
	s_lshl_b32 s38, s37, 1
	s_add_u32 s26, s26, s42
	s_addc_u32 s27, s27, s43
	s_add_u32 s26, s2, s26
	s_addc_u32 s3, s3, s27
	;; [unrolled: 2-line block ×7, first 2 shown]
	v_add_co_u32 v3, s2, s2, v0
	s_delay_alu instid0(VALU_DEP_1)
	v_add_co_ci_u32_e64 v4, null, s27, 0, s2
	v_mov_b32_e32 v10, v0
	s_mov_b32 s27, 0
	s_branch .LBB82_10
.LBB82_9:                               ;   in Loop: Header=BB82_10 Depth=1
	s_or_b32 exec_lo, exec_lo, s2
	v_add_nc_u32_e32 v10, s37, v10
	v_add_co_u32 v5, vcc_lo, v3, s20
	s_add_u32 s17, s17, s38
	s_addc_u32 s33, s33, 0
	v_add_co_ci_u32_e32 v6, vcc_lo, s21, v4, vcc_lo
	s_add_u32 s26, s26, s38
	s_addc_u32 s3, s3, 0
	v_cmp_le_i32_e32 vcc_lo, s20, v10
	v_add_co_u32 v3, s2, v3, s37
	s_add_u32 s12, s12, s38
	s_addc_u32 s13, s13, 0
	v_add_co_ci_u32_e64 v4, s2, 0, v4, s2
	s_add_u32 s9, s9, s38
	s_addc_u32 s36, s36, 0
	s_or_b32 s27, vcc_lo, s27
	global_store_b8 v[5:6], v7, off
	s_and_not1_b32 exec_lo, exec_lo, s27
	s_cbranch_execz .LBB82_46
.LBB82_10:                              ; =>This Inner Loop Header: Depth=1
	v_add_co_u32 v5, s2, s26, v9
	s_delay_alu instid0(VALU_DEP_1) | instskip(SKIP_1) | instid1(VALU_DEP_1)
	v_add_co_ci_u32_e64 v6, null, s3, 0, s2
	v_add_co_u32 v7, s2, s17, v9
	v_add_co_ci_u32_e64 v8, null, s33, 0, s2
	global_load_u16 v1, v[5:6], off
	global_load_u16 v5, v[7:8], off
	v_add_co_u32 v13, s2, s12, v9
	s_delay_alu instid0(VALU_DEP_1) | instskip(SKIP_1) | instid1(VALU_DEP_1)
	v_add_co_ci_u32_e64 v14, null, s13, 0, s2
	v_add_co_u32 v15, s2, s9, v9
	v_add_co_ci_u32_e64 v16, null, s36, 0, s2
	global_load_u16 v6, v[13:14], off
	global_load_u16 v8, v[15:16], off
	s_mov_b32 s2, exec_lo
	s_waitcnt vmcnt(3)
	v_lshlrev_b32_e32 v1, 16, v1
	s_waitcnt vmcnt(2)
	v_lshlrev_b32_e32 v5, 16, v5
	s_delay_alu instid0(VALU_DEP_2) | instskip(NEXT) | instid1(VALU_DEP_2)
	v_cvt_f16_f32_e32 v1, v1
	v_cvt_f16_f32_e32 v19, v5
	s_waitcnt vmcnt(1)
	s_delay_alu instid0(VALU_DEP_2) | instskip(SKIP_1) | instid1(VALU_DEP_1)
	v_mul_f16_e32 v5, v6, v1
	s_waitcnt vmcnt(0)
	v_fma_f16 v20, v8, v19, -v5
	s_delay_alu instid0(VALU_DEP_1) | instskip(SKIP_1) | instid1(VALU_DEP_1)
	v_cvt_f32_f16_e32 v5, v20
	s_waitcnt lgkmcnt(0)
	v_div_scale_f32 v7, null, s8, s8, v5
	s_delay_alu instid0(VALU_DEP_1) | instskip(SKIP_2) | instid1(VALU_DEP_1)
	v_rcp_f32_e32 v11, v7
	s_waitcnt_depctr 0xfff
	v_fma_f32 v12, -v7, v11, 1.0
	v_fmac_f32_e32 v11, v12, v11
	v_div_scale_f32 v12, vcc_lo, v5, s8, v5
	s_delay_alu instid0(VALU_DEP_1) | instskip(NEXT) | instid1(VALU_DEP_1)
	v_mul_f32_e32 v17, v12, v11
	v_fma_f32 v18, -v7, v17, v12
	s_delay_alu instid0(VALU_DEP_1) | instskip(SKIP_1) | instid1(VALU_DEP_2)
	v_fmac_f32_e32 v17, v18, v11
	v_mov_b32_e32 v18, v2
	v_fma_f32 v7, -v7, v17, v12
	s_delay_alu instid0(VALU_DEP_1) | instskip(SKIP_1) | instid1(VALU_DEP_2)
	v_div_fmas_f32 v7, v7, v11, v17
	v_mul_f16_e32 v11, v8, v1
	v_div_fixup_f32 v5, v7, s8, v5
	s_delay_alu instid0(VALU_DEP_2) | instskip(SKIP_3) | instid1(VALU_DEP_1)
	v_fmac_f16_e32 v11, v6, v19
	global_store_b16 v[15:16], v20, off
	global_store_b16 v[13:14], v11, off
	v_cvt_f16_f32_e32 v5, v5
	v_cvt_f32_f16_e32 v5, v5
	s_delay_alu instid0(VALU_DEP_1) | instskip(SKIP_2) | instid1(VALU_DEP_3)
	v_lshrrev_b32_e32 v7, 24, v5
	v_and_b32_e32 v17, 0x7f800000, v5
	v_and_b32_e32 v1, 0x7fffff, v5
	;; [unrolled: 1-line block ×3, first 2 shown]
	s_delay_alu instid0(VALU_DEP_1) | instskip(NEXT) | instid1(VALU_DEP_4)
	v_or_b32_e32 v6, 0x7e, v12
	v_cmpx_ne_u64_e32 0x7f800000, v[17:18]
	s_xor_b32 s39, exec_lo, s2
	s_cbranch_execz .LBB82_26
; %bb.11:                               ;   in Loop: Header=BB82_10 Depth=1
	v_dual_mov_b32 v8, v2 :: v_dual_and_b32 v7, 0x7fffffff, v5
	s_mov_b32 s2, exec_lo
	s_delay_alu instid0(VALU_DEP_1)
	v_cmpx_gt_u64_e32 0x43e00001, v[7:8]
	s_xor_b32 s40, exec_lo, s2
	s_cbranch_execz .LBB82_25
; %bb.12:                               ;   in Loop: Header=BB82_10 Depth=1
	v_mov_b32_e32 v6, 0
	s_mov_b32 s41, exec_lo
	v_cmpx_ne_u32_e32 0, v5
	s_cbranch_execz .LBB82_24
; %bb.13:                               ;   in Loop: Header=BB82_10 Depth=1
	v_bfe_u32 v13, v5, 23, 8
	v_or_b32_e32 v7, 0x800000, v1
	s_delay_alu instid0(VALU_DEP_2) | instskip(SKIP_1) | instid1(VALU_DEP_2)
	v_sub_nc_u32_e32 v5, 0x79, v13
	v_cmp_gt_u32_e32 vcc_lo, 0x7a, v13
	v_cndmask_b32_e32 v5, 0, v5, vcc_lo
	v_cmp_eq_u32_e32 vcc_lo, 0, v13
	s_delay_alu instid0(VALU_DEP_2) | instskip(SKIP_1) | instid1(VALU_DEP_2)
	v_cndmask_b32_e64 v14, v5, 0x78, vcc_lo
	v_cndmask_b32_e32 v1, v7, v1, vcc_lo
	v_add_nc_u32_e32 v5, 20, v14
	v_add_nc_u32_e32 v7, 19, v14
	s_delay_alu instid0(VALU_DEP_2) | instskip(NEXT) | instid1(VALU_DEP_2)
	v_lshlrev_b64 v[5:6], v5, -1
	v_lshlrev_b64 v[7:8], v7, 1
	s_delay_alu instid0(VALU_DEP_2) | instskip(NEXT) | instid1(VALU_DEP_3)
	v_not_b32_e32 v6, v6
	v_not_b32_e32 v5, v5
	s_delay_alu instid0(VALU_DEP_2) | instskip(NEXT) | instid1(VALU_DEP_2)
	v_and_b32_e32 v16, 0, v6
	v_and_b32_e32 v15, v1, v5
	v_lshrrev_b64 v[5:6], v14, v[1:2]
	s_delay_alu instid0(VALU_DEP_2) | instskip(NEXT) | instid1(VALU_DEP_2)
	v_cmp_eq_u64_e64 s2, v[15:16], v[7:8]
	v_dual_mov_b32 v8, v6 :: v_dual_mov_b32 v7, v5
	s_delay_alu instid0(VALU_DEP_2)
	s_and_saveexec_b32 s42, s2
; %bb.14:                               ;   in Loop: Header=BB82_10 Depth=1
	v_bfe_u32 v1, v5, 20, 1
	s_delay_alu instid0(VALU_DEP_1) | instskip(NEXT) | instid1(VALU_DEP_1)
	v_add_co_u32 v1, s2, v5, v1
	v_add_co_u32 v7, s2, v1, -1
; %bb.15:                               ;   in Loop: Header=BB82_10 Depth=1
	s_or_b32 exec_lo, exec_lo, s42
	v_add_nc_u32_e32 v1, 0xffffff81, v13
	v_lshrrev_b32_e32 v8, 23, v5
	s_mov_b32 s2, exec_lo
	s_delay_alu instid0(VALU_DEP_2) | instskip(NEXT) | instid1(VALU_DEP_1)
	v_cndmask_b32_e64 v1, v1, 0xffffff82, vcc_lo
	v_add3_u32 v8, v14, v1, v8
	v_and_b32_e32 v1, 0xfffff, v7
	s_delay_alu instid0(VALU_DEP_2) | instskip(NEXT) | instid1(VALU_DEP_2)
	v_add_nc_u32_e32 v7, 6, v8
	v_add_co_u32 v5, vcc_lo, v1, v5
	v_add_co_ci_u32_e32 v6, vcc_lo, 0, v6, vcc_lo
                                        ; implicit-def: $vgpr1
	s_delay_alu instid0(VALU_DEP_3)
	v_cmpx_ne_u32_e32 0, v7
	s_xor_b32 s2, exec_lo, s2
; %bb.16:                               ;   in Loop: Header=BB82_10 Depth=1
	s_delay_alu instid0(VALU_DEP_2) | instskip(SKIP_1) | instid1(VALU_DEP_1)
	v_cmp_lt_u64_e32 vcc_lo, 0xffffff, v[5:6]
	v_add_nc_u32_e32 v1, 7, v8
	v_cndmask_b32_e32 v1, v7, v1, vcc_lo
	v_cndmask_b32_e64 v7, 0, 1, vcc_lo
	s_delay_alu instid0(VALU_DEP_1)
	v_lshrrev_b64 v[5:6], v7, v[5:6]
; %bb.17:                               ;   in Loop: Header=BB82_10 Depth=1
	s_and_not1_saveexec_b32 s2, s2
; %bb.18:                               ;   in Loop: Header=BB82_10 Depth=1
	s_delay_alu instid0(VALU_DEP_1)
	v_bfe_u32 v1, v5, 23, 1
; %bb.19:                               ;   in Loop: Header=BB82_10 Depth=1
	s_or_b32 exec_lo, exec_lo, s2
	s_delay_alu instid0(VALU_DEP_2) | instskip(NEXT) | instid1(VALU_DEP_2)
	v_lshrrev_b64 v[5:6], 20, v[5:6]
	v_cmp_gt_i32_e32 vcc_lo, 16, v1
	v_cmp_ne_u32_e64 s2, 0, v1
	s_delay_alu instid0(VALU_DEP_3) | instskip(NEXT) | instid1(VALU_DEP_1)
	v_dual_cndmask_b32 v6, 0, v6 :: v_dual_cndmask_b32 v5, 7, v5
	v_cmp_ne_u64_e32 vcc_lo, 0, v[5:6]
                                        ; implicit-def: $vgpr6
	s_delay_alu instid0(VALU_DEP_3) | instskip(NEXT) | instid1(SALU_CYCLE_1)
	s_or_b32 s2, s2, vcc_lo
	s_and_saveexec_b32 s42, s2
	s_delay_alu instid0(SALU_CYCLE_1)
	s_xor_b32 s2, exec_lo, s42
; %bb.20:                               ;   in Loop: Header=BB82_10 Depth=1
	v_min_i32_e32 v1, 15, v1
	s_delay_alu instid0(VALU_DEP_1) | instskip(NEXT) | instid1(VALU_DEP_1)
	v_lshl_or_b32 v1, v1, 3, v12
                                        ; implicit-def: $vgpr12
	v_and_or_b32 v6, v5, 7, v1
; %bb.21:                               ;   in Loop: Header=BB82_10 Depth=1
	s_and_not1_saveexec_b32 s2, s2
; %bb.22:                               ;   in Loop: Header=BB82_10 Depth=1
	v_mov_b32_e32 v6, v12
; %bb.23:                               ;   in Loop: Header=BB82_10 Depth=1
	s_or_b32 exec_lo, exec_lo, s2
.LBB82_24:                              ;   in Loop: Header=BB82_10 Depth=1
	s_delay_alu instid0(SALU_CYCLE_1)
	s_or_b32 exec_lo, exec_lo, s41
.LBB82_25:                              ;   in Loop: Header=BB82_10 Depth=1
	s_and_not1_saveexec_b32 s2, s40
	s_delay_alu instid0(SALU_CYCLE_1)
	s_or_b32 exec_lo, exec_lo, s2
                                        ; implicit-def: $vgpr7
.LBB82_26:                              ;   in Loop: Header=BB82_10 Depth=1
	s_and_not1_saveexec_b32 s2, s39
; %bb.27:                               ;   in Loop: Header=BB82_10 Depth=1
	v_cmp_eq_u64_e32 vcc_lo, 0, v[1:2]
	v_or_b32_e32 v5, 0x7f, v7
	s_delay_alu instid0(VALU_DEP_1)
	v_cndmask_b32_e32 v6, v5, v6, vcc_lo
; %bb.28:                               ;   in Loop: Header=BB82_10 Depth=1
	s_or_b32 exec_lo, exec_lo, s2
	v_cvt_f32_f16_e32 v1, v11
	v_mov_b32_e32 v13, v2
	global_store_b8 v[3:4], v6, off
	s_mov_b32 s2, exec_lo
	v_div_scale_f32 v5, null, s8, s8, v1
	s_delay_alu instid0(VALU_DEP_1) | instskip(SKIP_2) | instid1(VALU_DEP_1)
	v_rcp_f32_e32 v7, v5
	s_waitcnt_depctr 0xfff
	v_fma_f32 v8, -v5, v7, 1.0
	v_fmac_f32_e32 v7, v8, v7
	v_div_scale_f32 v8, vcc_lo, v1, s8, v1
	s_delay_alu instid0(VALU_DEP_1) | instskip(NEXT) | instid1(VALU_DEP_1)
	v_mul_f32_e32 v11, v8, v7
	v_fma_f32 v12, -v5, v11, v8
	s_delay_alu instid0(VALU_DEP_1) | instskip(NEXT) | instid1(VALU_DEP_1)
	v_fmac_f32_e32 v11, v12, v7
	v_fma_f32 v5, -v5, v11, v8
	s_delay_alu instid0(VALU_DEP_1) | instskip(NEXT) | instid1(VALU_DEP_1)
	v_div_fmas_f32 v5, v5, v7, v11
	v_div_fixup_f32 v1, v5, s8, v1
	s_delay_alu instid0(VALU_DEP_1) | instskip(NEXT) | instid1(VALU_DEP_1)
	v_cvt_f16_f32_e32 v1, v1
	v_cvt_f32_f16_e32 v5, v1
	s_delay_alu instid0(VALU_DEP_1) | instskip(SKIP_2) | instid1(VALU_DEP_2)
	v_and_b32_e32 v12, 0x7f800000, v5
	v_lshrrev_b32_e32 v8, 24, v5
	v_and_b32_e32 v1, 0x7fffff, v5
	v_and_b32_e32 v11, 0x80, v8
	s_delay_alu instid0(VALU_DEP_1)
	v_or_b32_e32 v7, 0x7e, v11
	v_cmpx_ne_u64_e32 0x7f800000, v[12:13]
	s_xor_b32 s39, exec_lo, s2
	s_cbranch_execz .LBB82_44
; %bb.29:                               ;   in Loop: Header=BB82_10 Depth=1
	v_dual_mov_b32 v13, v2 :: v_dual_and_b32 v12, 0x7fffffff, v5
	s_mov_b32 s2, exec_lo
	s_delay_alu instid0(VALU_DEP_1)
	v_cmpx_gt_u64_e32 0x43e00001, v[12:13]
	s_xor_b32 s40, exec_lo, s2
	s_cbranch_execz .LBB82_43
; %bb.30:                               ;   in Loop: Header=BB82_10 Depth=1
	v_mov_b32_e32 v7, 0
	s_mov_b32 s41, exec_lo
	v_cmpx_ne_u32_e32 0, v5
	s_cbranch_execz .LBB82_42
; %bb.31:                               ;   in Loop: Header=BB82_10 Depth=1
	v_bfe_u32 v12, v5, 23, 8
	v_or_b32_e32 v7, 0x800000, v1
	s_delay_alu instid0(VALU_DEP_2) | instskip(SKIP_1) | instid1(VALU_DEP_2)
	v_sub_nc_u32_e32 v5, 0x79, v12
	v_cmp_gt_u32_e32 vcc_lo, 0x7a, v12
	v_cndmask_b32_e32 v5, 0, v5, vcc_lo
	v_cmp_eq_u32_e32 vcc_lo, 0, v12
	s_delay_alu instid0(VALU_DEP_2) | instskip(SKIP_1) | instid1(VALU_DEP_2)
	v_cndmask_b32_e64 v13, v5, 0x78, vcc_lo
	v_cndmask_b32_e32 v1, v7, v1, vcc_lo
	v_add_nc_u32_e32 v5, 20, v13
	v_add_nc_u32_e32 v7, 19, v13
	s_delay_alu instid0(VALU_DEP_2) | instskip(NEXT) | instid1(VALU_DEP_2)
	v_lshlrev_b64 v[5:6], v5, -1
	v_lshlrev_b64 v[7:8], v7, 1
	s_delay_alu instid0(VALU_DEP_2) | instskip(NEXT) | instid1(VALU_DEP_3)
	v_not_b32_e32 v6, v6
	v_not_b32_e32 v5, v5
	s_delay_alu instid0(VALU_DEP_2) | instskip(NEXT) | instid1(VALU_DEP_2)
	v_and_b32_e32 v15, 0, v6
	v_and_b32_e32 v14, v1, v5
	v_lshrrev_b64 v[5:6], v13, v[1:2]
	s_delay_alu instid0(VALU_DEP_2) | instskip(NEXT) | instid1(VALU_DEP_2)
	v_cmp_eq_u64_e64 s2, v[14:15], v[7:8]
	v_dual_mov_b32 v8, v6 :: v_dual_mov_b32 v7, v5
	s_delay_alu instid0(VALU_DEP_2)
	s_and_saveexec_b32 s42, s2
; %bb.32:                               ;   in Loop: Header=BB82_10 Depth=1
	v_bfe_u32 v1, v5, 20, 1
	s_delay_alu instid0(VALU_DEP_1) | instskip(NEXT) | instid1(VALU_DEP_1)
	v_add_co_u32 v1, s2, v5, v1
	v_add_co_u32 v7, s2, v1, -1
; %bb.33:                               ;   in Loop: Header=BB82_10 Depth=1
	s_or_b32 exec_lo, exec_lo, s42
	v_add_nc_u32_e32 v1, 0xffffff81, v12
	v_lshrrev_b32_e32 v8, 23, v5
	s_mov_b32 s2, exec_lo
	s_delay_alu instid0(VALU_DEP_2) | instskip(NEXT) | instid1(VALU_DEP_1)
	v_cndmask_b32_e64 v1, v1, 0xffffff82, vcc_lo
	v_add3_u32 v8, v13, v1, v8
	v_and_b32_e32 v1, 0xfffff, v7
	s_delay_alu instid0(VALU_DEP_2) | instskip(NEXT) | instid1(VALU_DEP_2)
	v_add_nc_u32_e32 v7, 6, v8
	v_add_co_u32 v5, vcc_lo, v1, v5
	v_add_co_ci_u32_e32 v6, vcc_lo, 0, v6, vcc_lo
                                        ; implicit-def: $vgpr1
	s_delay_alu instid0(VALU_DEP_3)
	v_cmpx_ne_u32_e32 0, v7
	s_xor_b32 s2, exec_lo, s2
; %bb.34:                               ;   in Loop: Header=BB82_10 Depth=1
	s_delay_alu instid0(VALU_DEP_2) | instskip(SKIP_1) | instid1(VALU_DEP_1)
	v_cmp_lt_u64_e32 vcc_lo, 0xffffff, v[5:6]
	v_add_nc_u32_e32 v1, 7, v8
	v_cndmask_b32_e32 v1, v7, v1, vcc_lo
	v_cndmask_b32_e64 v7, 0, 1, vcc_lo
	s_delay_alu instid0(VALU_DEP_1)
	v_lshrrev_b64 v[5:6], v7, v[5:6]
; %bb.35:                               ;   in Loop: Header=BB82_10 Depth=1
	s_and_not1_saveexec_b32 s2, s2
; %bb.36:                               ;   in Loop: Header=BB82_10 Depth=1
	s_delay_alu instid0(VALU_DEP_1)
	v_bfe_u32 v1, v5, 23, 1
; %bb.37:                               ;   in Loop: Header=BB82_10 Depth=1
	s_or_b32 exec_lo, exec_lo, s2
	s_delay_alu instid0(VALU_DEP_2) | instskip(NEXT) | instid1(VALU_DEP_2)
	v_lshrrev_b64 v[5:6], 20, v[5:6]
	v_cmp_gt_i32_e32 vcc_lo, 16, v1
	v_cmp_ne_u32_e64 s2, 0, v1
                                        ; implicit-def: $vgpr7
	s_delay_alu instid0(VALU_DEP_3) | instskip(NEXT) | instid1(VALU_DEP_1)
	v_dual_cndmask_b32 v6, 0, v6 :: v_dual_cndmask_b32 v5, 7, v5
	v_cmp_ne_u64_e32 vcc_lo, 0, v[5:6]
	s_delay_alu instid0(VALU_DEP_3) | instskip(NEXT) | instid1(SALU_CYCLE_1)
	s_or_b32 s2, s2, vcc_lo
	s_and_saveexec_b32 s42, s2
	s_delay_alu instid0(SALU_CYCLE_1)
	s_xor_b32 s2, exec_lo, s42
; %bb.38:                               ;   in Loop: Header=BB82_10 Depth=1
	v_min_i32_e32 v1, 15, v1
	s_delay_alu instid0(VALU_DEP_1) | instskip(NEXT) | instid1(VALU_DEP_1)
	v_lshl_or_b32 v1, v1, 3, v11
                                        ; implicit-def: $vgpr11
	v_and_or_b32 v7, v5, 7, v1
; %bb.39:                               ;   in Loop: Header=BB82_10 Depth=1
	s_and_not1_saveexec_b32 s2, s2
; %bb.40:                               ;   in Loop: Header=BB82_10 Depth=1
	v_mov_b32_e32 v7, v11
; %bb.41:                               ;   in Loop: Header=BB82_10 Depth=1
	s_or_b32 exec_lo, exec_lo, s2
.LBB82_42:                              ;   in Loop: Header=BB82_10 Depth=1
	s_delay_alu instid0(SALU_CYCLE_1)
	s_or_b32 exec_lo, exec_lo, s41
.LBB82_43:                              ;   in Loop: Header=BB82_10 Depth=1
	s_and_not1_saveexec_b32 s2, s40
	s_delay_alu instid0(SALU_CYCLE_1)
	s_or_b32 exec_lo, exec_lo, s2
                                        ; implicit-def: $vgpr8
.LBB82_44:                              ;   in Loop: Header=BB82_10 Depth=1
	s_and_not1_saveexec_b32 s2, s39
	s_cbranch_execz .LBB82_9
; %bb.45:                               ;   in Loop: Header=BB82_10 Depth=1
	v_cmp_eq_u64_e32 vcc_lo, 0, v[1:2]
	v_or_b32_e32 v5, 0x7f, v8
	s_delay_alu instid0(VALU_DEP_1)
	v_cndmask_b32_e32 v7, v5, v7, vcc_lo
	s_branch .LBB82_9
.LBB82_46:
	s_or_b32 exec_lo, exec_lo, s35
	s_delay_alu instid0(SALU_CYCLE_1)
	s_mov_b32 s2, exec_lo
	v_cmpx_gt_i32_e64 s6, v0
	s_cbranch_execz .LBB82_67
; %bb.47:
	s_mul_i32 s3, s16, s11
	s_mul_hi_u32 s8, s16, s10
	s_mul_i32 s2, s16, s10
	s_add_i32 s3, s8, s3
	s_load_b32 s0, s[0:1], 0x8c
	s_lshl_b64 s[2:3], s[2:3], 1
	v_mov_b32_e32 v3, 0
	s_add_u32 s1, s14, s2
	s_addc_u32 s2, s15, s3
	s_waitcnt lgkmcnt(0)
	s_load_b32 s3, s[24:25], 0x0
	s_ashr_i32 s4, s4, 31
	s_delay_alu instid0(SALU_CYCLE_1) | instskip(NEXT) | instid1(SALU_CYCLE_1)
	s_mul_i32 s4, s22, s4
	s_add_i32 s4, s30, s4
	s_delay_alu instid0(SALU_CYCLE_1) | instskip(SKIP_3) | instid1(SALU_CYCLE_1)
	s_add_i32 s4, s4, s31
	s_add_u32 s8, s18, s34
	s_addc_u32 s9, s19, s4
	s_ashr_i32 s4, s5, 31
	s_mul_i32 s7, s7, s4
	s_delay_alu instid0(SALU_CYCLE_1) | instskip(NEXT) | instid1(SALU_CYCLE_1)
	s_add_i32 s4, s29, s7
	s_add_i32 s5, s4, s23
	s_add_u32 s4, s8, s28
	s_addc_u32 s5, s9, s5
	s_and_b32 s7, s0, 0xffff
	s_mov_b32 s8, 0
	s_branch .LBB82_49
.LBB82_48:                              ;   in Loop: Header=BB82_49 Depth=1
	s_or_b32 exec_lo, exec_lo, s0
	v_add_co_u32 v6, vcc_lo, s4, v0
	v_add_nc_u32_e32 v0, s7, v0
	v_add_co_ci_u32_e32 v7, vcc_lo, s5, v1, vcc_lo
	s_delay_alu instid0(VALU_DEP_2) | instskip(SKIP_2) | instid1(SALU_CYCLE_1)
	v_cmp_le_i32_e32 vcc_lo, s6, v0
	global_store_b8 v[6:7], v5, off
	s_or_b32 s8, vcc_lo, s8
	s_and_not1_b32 exec_lo, exec_lo, s8
	s_cbranch_execz .LBB82_67
.LBB82_49:                              ; =>This Inner Loop Header: Depth=1
	v_ashrrev_i32_e32 v1, 31, v0
	s_mov_b32 s0, exec_lo
	v_mov_b32_e32 v10, v3
	s_delay_alu instid0(VALU_DEP_2) | instskip(NEXT) | instid1(VALU_DEP_1)
	v_lshlrev_b64 v[4:5], 1, v[0:1]
	v_add_co_u32 v4, vcc_lo, s1, v4
	s_delay_alu instid0(VALU_DEP_2) | instskip(SKIP_4) | instid1(VALU_DEP_1)
	v_add_co_ci_u32_e32 v5, vcc_lo, s2, v5, vcc_lo
	global_load_u16 v2, v[4:5], off
	s_waitcnt vmcnt(0)
	v_cvt_f32_f16_e32 v2, v2
	s_waitcnt lgkmcnt(0)
	v_div_scale_f32 v4, null, s3, s3, v2
	s_delay_alu instid0(VALU_DEP_1) | instskip(SKIP_2) | instid1(VALU_DEP_1)
	v_rcp_f32_e32 v5, v4
	s_waitcnt_depctr 0xfff
	v_fma_f32 v6, -v4, v5, 1.0
	v_fmac_f32_e32 v5, v6, v5
	v_div_scale_f32 v6, vcc_lo, v2, s3, v2
	s_delay_alu instid0(VALU_DEP_1) | instskip(NEXT) | instid1(VALU_DEP_1)
	v_mul_f32_e32 v7, v6, v5
	v_fma_f32 v8, -v4, v7, v6
	s_delay_alu instid0(VALU_DEP_1) | instskip(NEXT) | instid1(VALU_DEP_1)
	v_fmac_f32_e32 v7, v8, v5
	v_fma_f32 v4, -v4, v7, v6
	s_delay_alu instid0(VALU_DEP_1) | instskip(NEXT) | instid1(VALU_DEP_1)
	v_div_fmas_f32 v4, v4, v5, v7
	v_div_fixup_f32 v2, v4, s3, v2
	s_delay_alu instid0(VALU_DEP_1) | instskip(NEXT) | instid1(VALU_DEP_1)
	v_cvt_f16_f32_e32 v2, v2
	v_cvt_f32_f16_e32 v4, v2
	s_delay_alu instid0(VALU_DEP_1) | instskip(SKIP_2) | instid1(VALU_DEP_2)
	v_and_b32_e32 v2, 0x7fffff, v4
	v_lshrrev_b32_e32 v6, 24, v4
	v_and_b32_e32 v9, 0x7f800000, v4
	v_and_b32_e32 v8, 0x80, v6
	s_delay_alu instid0(VALU_DEP_1) | instskip(NEXT) | instid1(VALU_DEP_3)
	v_or_b32_e32 v5, 0x7e, v8
	v_cmpx_ne_u64_e32 0x7f800000, v[9:10]
	s_xor_b32 s9, exec_lo, s0
	s_cbranch_execz .LBB82_65
; %bb.50:                               ;   in Loop: Header=BB82_49 Depth=1
	v_dual_mov_b32 v7, v3 :: v_dual_and_b32 v6, 0x7fffffff, v4
	s_mov_b32 s0, exec_lo
	s_delay_alu instid0(VALU_DEP_1)
	v_cmpx_gt_u64_e32 0x43e00001, v[6:7]
	s_xor_b32 s10, exec_lo, s0
	s_cbranch_execz .LBB82_64
; %bb.51:                               ;   in Loop: Header=BB82_49 Depth=1
	v_mov_b32_e32 v5, 0
	s_mov_b32 s11, exec_lo
	v_cmpx_ne_u32_e32 0, v4
	s_cbranch_execz .LBB82_63
; %bb.52:                               ;   in Loop: Header=BB82_49 Depth=1
	v_bfe_u32 v9, v4, 23, 8
	v_or_b32_e32 v6, 0x800000, v2
	s_delay_alu instid0(VALU_DEP_2) | instskip(SKIP_1) | instid1(VALU_DEP_2)
	v_sub_nc_u32_e32 v4, 0x79, v9
	v_cmp_gt_u32_e32 vcc_lo, 0x7a, v9
	v_cndmask_b32_e32 v4, 0, v4, vcc_lo
	v_cmp_eq_u32_e32 vcc_lo, 0, v9
	s_delay_alu instid0(VALU_DEP_2) | instskip(SKIP_1) | instid1(VALU_DEP_2)
	v_cndmask_b32_e64 v10, v4, 0x78, vcc_lo
	v_cndmask_b32_e32 v2, v6, v2, vcc_lo
	v_add_nc_u32_e32 v4, 20, v10
	v_add_nc_u32_e32 v6, 19, v10
	s_delay_alu instid0(VALU_DEP_2) | instskip(NEXT) | instid1(VALU_DEP_2)
	v_lshlrev_b64 v[4:5], v4, -1
	v_lshlrev_b64 v[6:7], v6, 1
	s_delay_alu instid0(VALU_DEP_2) | instskip(NEXT) | instid1(VALU_DEP_3)
	v_not_b32_e32 v5, v5
	v_not_b32_e32 v4, v4
	s_delay_alu instid0(VALU_DEP_2) | instskip(NEXT) | instid1(VALU_DEP_2)
	v_and_b32_e32 v12, 0, v5
	v_and_b32_e32 v11, v2, v4
	v_lshrrev_b64 v[4:5], v10, v[2:3]
	s_delay_alu instid0(VALU_DEP_2) | instskip(NEXT) | instid1(VALU_DEP_2)
	v_cmp_eq_u64_e64 s0, v[11:12], v[6:7]
	v_dual_mov_b32 v7, v5 :: v_dual_mov_b32 v6, v4
	s_delay_alu instid0(VALU_DEP_2)
	s_and_saveexec_b32 s12, s0
; %bb.53:                               ;   in Loop: Header=BB82_49 Depth=1
	v_bfe_u32 v2, v4, 20, 1
	s_delay_alu instid0(VALU_DEP_1) | instskip(NEXT) | instid1(VALU_DEP_1)
	v_add_co_u32 v2, s0, v4, v2
	v_add_co_u32 v6, s0, v2, -1
; %bb.54:                               ;   in Loop: Header=BB82_49 Depth=1
	s_or_b32 exec_lo, exec_lo, s12
	v_add_nc_u32_e32 v2, 0xffffff81, v9
	v_lshrrev_b32_e32 v7, 23, v4
	s_mov_b32 s0, exec_lo
	s_delay_alu instid0(VALU_DEP_2) | instskip(NEXT) | instid1(VALU_DEP_1)
	v_cndmask_b32_e64 v2, v2, 0xffffff82, vcc_lo
	v_add3_u32 v7, v10, v2, v7
	v_and_b32_e32 v2, 0xfffff, v6
	s_delay_alu instid0(VALU_DEP_2) | instskip(NEXT) | instid1(VALU_DEP_2)
	v_add_nc_u32_e32 v6, 6, v7
	v_add_co_u32 v4, vcc_lo, v2, v4
	v_add_co_ci_u32_e32 v5, vcc_lo, 0, v5, vcc_lo
                                        ; implicit-def: $vgpr2
	s_delay_alu instid0(VALU_DEP_3)
	v_cmpx_ne_u32_e32 0, v6
	s_xor_b32 s0, exec_lo, s0
; %bb.55:                               ;   in Loop: Header=BB82_49 Depth=1
	s_delay_alu instid0(VALU_DEP_2) | instskip(SKIP_1) | instid1(VALU_DEP_1)
	v_cmp_lt_u64_e32 vcc_lo, 0xffffff, v[4:5]
	v_add_nc_u32_e32 v2, 7, v7
	v_cndmask_b32_e32 v2, v6, v2, vcc_lo
	v_cndmask_b32_e64 v6, 0, 1, vcc_lo
	s_delay_alu instid0(VALU_DEP_1)
	v_lshrrev_b64 v[4:5], v6, v[4:5]
; %bb.56:                               ;   in Loop: Header=BB82_49 Depth=1
	s_and_not1_saveexec_b32 s0, s0
; %bb.57:                               ;   in Loop: Header=BB82_49 Depth=1
	s_delay_alu instid0(VALU_DEP_1)
	v_bfe_u32 v2, v4, 23, 1
; %bb.58:                               ;   in Loop: Header=BB82_49 Depth=1
	s_or_b32 exec_lo, exec_lo, s0
	s_delay_alu instid0(VALU_DEP_2) | instskip(NEXT) | instid1(VALU_DEP_2)
	v_lshrrev_b64 v[4:5], 20, v[4:5]
	v_cmp_gt_i32_e32 vcc_lo, 16, v2
	v_cmp_ne_u32_e64 s0, 0, v2
	s_delay_alu instid0(VALU_DEP_3) | instskip(NEXT) | instid1(VALU_DEP_1)
	v_dual_cndmask_b32 v5, 0, v5 :: v_dual_cndmask_b32 v4, 7, v4
	v_cmp_ne_u64_e32 vcc_lo, 0, v[4:5]
                                        ; implicit-def: $vgpr5
	s_delay_alu instid0(VALU_DEP_3) | instskip(NEXT) | instid1(SALU_CYCLE_1)
	s_or_b32 s0, s0, vcc_lo
	s_and_saveexec_b32 s12, s0
	s_delay_alu instid0(SALU_CYCLE_1)
	s_xor_b32 s0, exec_lo, s12
; %bb.59:                               ;   in Loop: Header=BB82_49 Depth=1
	v_min_i32_e32 v2, 15, v2
	s_delay_alu instid0(VALU_DEP_1) | instskip(NEXT) | instid1(VALU_DEP_1)
	v_lshl_or_b32 v2, v2, 3, v8
                                        ; implicit-def: $vgpr8
	v_and_or_b32 v5, v4, 7, v2
; %bb.60:                               ;   in Loop: Header=BB82_49 Depth=1
	s_and_not1_saveexec_b32 s0, s0
; %bb.61:                               ;   in Loop: Header=BB82_49 Depth=1
	v_mov_b32_e32 v5, v8
; %bb.62:                               ;   in Loop: Header=BB82_49 Depth=1
	s_or_b32 exec_lo, exec_lo, s0
.LBB82_63:                              ;   in Loop: Header=BB82_49 Depth=1
	s_delay_alu instid0(SALU_CYCLE_1)
	s_or_b32 exec_lo, exec_lo, s11
.LBB82_64:                              ;   in Loop: Header=BB82_49 Depth=1
	s_and_not1_saveexec_b32 s0, s10
	s_delay_alu instid0(SALU_CYCLE_1)
	s_or_b32 exec_lo, exec_lo, s0
                                        ; implicit-def: $vgpr6
.LBB82_65:                              ;   in Loop: Header=BB82_49 Depth=1
	s_and_not1_saveexec_b32 s0, s9
	s_cbranch_execz .LBB82_48
; %bb.66:                               ;   in Loop: Header=BB82_49 Depth=1
	v_cmp_eq_u64_e32 vcc_lo, 0, v[2:3]
	v_or_b32_e32 v4, 0x7f, v6
	s_delay_alu instid0(VALU_DEP_1)
	v_cndmask_b32_e32 v5, v4, v5, vcc_lo
	s_branch .LBB82_48
.LBB82_67:
	s_nop 0
	s_sendmsg sendmsg(MSG_DEALLOC_VGPRS)
	s_endpgm
.LBB82_68:
                                        ; implicit-def: $sgpr22_sgpr23
	s_branch .LBB82_6
	.section	.rodata,"a",@progbits
	.p2align	6, 0x0
	.amdhsa_kernel _ZN4vllm38concat_and_cache_mla_rope_fused_kernelIN3c104HalfENS1_8BFloat16ELb1EthLNS_18Fp8KVCacheDataTypeE1EEEvPKlPT_S8_PKS7_PKT0_illlliPT3_S6_iiiiPKf
		.amdhsa_group_segment_fixed_size 0
		.amdhsa_private_segment_fixed_size 0
		.amdhsa_kernarg_size 384
		.amdhsa_user_sgpr_count 15
		.amdhsa_user_sgpr_dispatch_ptr 0
		.amdhsa_user_sgpr_queue_ptr 0
		.amdhsa_user_sgpr_kernarg_segment_ptr 1
		.amdhsa_user_sgpr_dispatch_id 0
		.amdhsa_user_sgpr_private_segment_size 0
		.amdhsa_wavefront_size32 1
		.amdhsa_uses_dynamic_stack 0
		.amdhsa_enable_private_segment 0
		.amdhsa_system_sgpr_workgroup_id_x 1
		.amdhsa_system_sgpr_workgroup_id_y 0
		.amdhsa_system_sgpr_workgroup_id_z 0
		.amdhsa_system_sgpr_workgroup_info 0
		.amdhsa_system_vgpr_workitem_id 0
		.amdhsa_next_free_vgpr 21
		.amdhsa_next_free_sgpr 46
		.amdhsa_reserve_vcc 1
		.amdhsa_float_round_mode_32 0
		.amdhsa_float_round_mode_16_64 0
		.amdhsa_float_denorm_mode_32 3
		.amdhsa_float_denorm_mode_16_64 3
		.amdhsa_dx10_clamp 1
		.amdhsa_ieee_mode 1
		.amdhsa_fp16_overflow 0
		.amdhsa_workgroup_processor_mode 1
		.amdhsa_memory_ordered 1
		.amdhsa_forward_progress 0
		.amdhsa_shared_vgpr_count 0
		.amdhsa_exception_fp_ieee_invalid_op 0
		.amdhsa_exception_fp_denorm_src 0
		.amdhsa_exception_fp_ieee_div_zero 0
		.amdhsa_exception_fp_ieee_overflow 0
		.amdhsa_exception_fp_ieee_underflow 0
		.amdhsa_exception_fp_ieee_inexact 0
		.amdhsa_exception_int_div_zero 0
	.end_amdhsa_kernel
	.section	.text._ZN4vllm38concat_and_cache_mla_rope_fused_kernelIN3c104HalfENS1_8BFloat16ELb1EthLNS_18Fp8KVCacheDataTypeE1EEEvPKlPT_S8_PKS7_PKT0_illlliPT3_S6_iiiiPKf,"axG",@progbits,_ZN4vllm38concat_and_cache_mla_rope_fused_kernelIN3c104HalfENS1_8BFloat16ELb1EthLNS_18Fp8KVCacheDataTypeE1EEEvPKlPT_S8_PKS7_PKT0_illlliPT3_S6_iiiiPKf,comdat
.Lfunc_end82:
	.size	_ZN4vllm38concat_and_cache_mla_rope_fused_kernelIN3c104HalfENS1_8BFloat16ELb1EthLNS_18Fp8KVCacheDataTypeE1EEEvPKlPT_S8_PKS7_PKT0_illlliPT3_S6_iiiiPKf, .Lfunc_end82-_ZN4vllm38concat_and_cache_mla_rope_fused_kernelIN3c104HalfENS1_8BFloat16ELb1EthLNS_18Fp8KVCacheDataTypeE1EEEvPKlPT_S8_PKS7_PKT0_illlliPT3_S6_iiiiPKf
                                        ; -- End function
	.section	.AMDGPU.csdata,"",@progbits
; Kernel info:
; codeLenInByte = 4480
; NumSgprs: 48
; NumVgprs: 21
; ScratchSize: 0
; MemoryBound: 0
; FloatMode: 240
; IeeeMode: 1
; LDSByteSize: 0 bytes/workgroup (compile time only)
; SGPRBlocks: 5
; VGPRBlocks: 2
; NumSGPRsForWavesPerEU: 48
; NumVGPRsForWavesPerEU: 21
; Occupancy: 16
; WaveLimiterHint : 1
; COMPUTE_PGM_RSRC2:SCRATCH_EN: 0
; COMPUTE_PGM_RSRC2:USER_SGPR: 15
; COMPUTE_PGM_RSRC2:TRAP_HANDLER: 0
; COMPUTE_PGM_RSRC2:TGID_X_EN: 1
; COMPUTE_PGM_RSRC2:TGID_Y_EN: 0
; COMPUTE_PGM_RSRC2:TGID_Z_EN: 0
; COMPUTE_PGM_RSRC2:TIDIG_COMP_CNT: 0
	.section	.text._ZN4vllm38concat_and_cache_mla_rope_fused_kernelIN3c104HalfENS1_8BFloat16ELb0EthLNS_18Fp8KVCacheDataTypeE1EEEvPKlPT_S8_PKS7_PKT0_illlliPT3_S6_iiiiPKf,"axG",@progbits,_ZN4vllm38concat_and_cache_mla_rope_fused_kernelIN3c104HalfENS1_8BFloat16ELb0EthLNS_18Fp8KVCacheDataTypeE1EEEvPKlPT_S8_PKS7_PKT0_illlliPT3_S6_iiiiPKf,comdat
	.protected	_ZN4vllm38concat_and_cache_mla_rope_fused_kernelIN3c104HalfENS1_8BFloat16ELb0EthLNS_18Fp8KVCacheDataTypeE1EEEvPKlPT_S8_PKS7_PKT0_illlliPT3_S6_iiiiPKf ; -- Begin function _ZN4vllm38concat_and_cache_mla_rope_fused_kernelIN3c104HalfENS1_8BFloat16ELb0EthLNS_18Fp8KVCacheDataTypeE1EEEvPKlPT_S8_PKS7_PKT0_illlliPT3_S6_iiiiPKf
	.globl	_ZN4vllm38concat_and_cache_mla_rope_fused_kernelIN3c104HalfENS1_8BFloat16ELb0EthLNS_18Fp8KVCacheDataTypeE1EEEvPKlPT_S8_PKS7_PKT0_illlliPT3_S6_iiiiPKf
	.p2align	8
	.type	_ZN4vllm38concat_and_cache_mla_rope_fused_kernelIN3c104HalfENS1_8BFloat16ELb0EthLNS_18Fp8KVCacheDataTypeE1EEEvPKlPT_S8_PKS7_PKT0_illlliPT3_S6_iiiiPKf,@function
_ZN4vllm38concat_and_cache_mla_rope_fused_kernelIN3c104HalfENS1_8BFloat16ELb0EthLNS_18Fp8KVCacheDataTypeE1EEEvPKlPT_S8_PKS7_PKT0_illlliPT3_S6_iiiiPKf: ; @_ZN4vllm38concat_and_cache_mla_rope_fused_kernelIN3c104HalfENS1_8BFloat16ELb0EthLNS_18Fp8KVCacheDataTypeE1EEEvPKlPT_S8_PKS7_PKT0_illlliPT3_S6_iiiiPKf
; %bb.0:
	s_load_b64 s[4:5], s[0:1], 0x60
	s_mov_b32 s16, s15
	s_mov_b32 s17, 0
	s_delay_alu instid0(SALU_CYCLE_1)
	s_lshl_b64 s[2:3], s[16:17], 3
	s_waitcnt lgkmcnt(0)
	s_add_u32 s4, s4, s2
	s_addc_u32 s5, s5, s3
	s_load_b64 s[26:27], s[4:5], 0x0
	s_waitcnt lgkmcnt(0)
	v_cmp_lt_i64_e64 s4, s[26:27], 0
	s_delay_alu instid0(VALU_DEP_1)
	s_and_b32 vcc_lo, exec_lo, s4
	s_cbranch_vccnz .LBB83_67
; %bb.1:
	s_clause 0x3
	s_load_b32 s21, s[0:1], 0x28
	s_load_b64 s[4:5], s[0:1], 0x0
	s_load_b128 s[12:15], s[0:1], 0x10
	s_load_b32 s17, s[0:1], 0x50
	v_lshlrev_b32_e32 v3, 1, v0
	s_waitcnt lgkmcnt(0)
	s_ashr_i32 s24, s21, 31
	s_add_u32 s2, s4, s2
	s_addc_u32 s3, s5, s3
	s_lshr_b32 s20, s21, 31
	s_load_b64 s[22:23], s[2:3], 0x0
	s_clause 0x2
	s_load_b64 s[2:3], s[0:1], 0x20
	s_load_b64 s[18:19], s[0:1], 0x58
	s_load_b256 s[4:11], s[0:1], 0x30
	s_add_i32 s20, s21, s20
	s_delay_alu instid0(SALU_CYCLE_1) | instskip(NEXT) | instid1(SALU_CYCLE_1)
	s_ashr_i32 s20, s20, 1
	s_mul_i32 s17, s20, s17
	s_waitcnt lgkmcnt(0)
	s_mul_i32 s24, s22, s24
	s_mul_hi_u32 s25, s22, s21
	s_mul_i32 s23, s23, s21
	s_add_i32 s24, s25, s24
	s_mul_i32 s28, s22, s21
	s_add_i32 s29, s24, s23
	s_mov_b32 s22, exec_lo
	v_cmpx_gt_i32_e64 s17, v0
	s_cbranch_execz .LBB83_4
; %bb.2:
	s_clause 0x1
	s_load_b64 s[30:31], s[0:1], 0x8
	s_load_b32 s34, s[0:1], 0x8c
	s_lshl_b64 s[24:25], s[28:29], 1
	s_mul_i32 s5, s16, s5
	s_mul_hi_u32 s21, s16, s4
	s_add_u32 s23, s2, s24
	s_mul_i32 s4, s16, s4
	s_addc_u32 s24, s3, s25
	s_add_i32 s5, s21, s5
	s_ashr_i32 s21, s20, 31
	s_lshl_b64 s[4:5], s[4:5], 1
	s_mov_b32 s33, 0
	s_waitcnt lgkmcnt(0)
	s_add_u32 s25, s30, s4
	s_addc_u32 s30, s31, s5
	s_abs_i32 s31, s20
	s_and_b32 s34, s34, 0xffff
	v_cvt_f32_u32_e32 v1, s31
	s_sub_i32 s4, 0, s31
	s_sub_i32 s35, 0, s20
	s_lshl_b32 s37, s34, 1
	s_delay_alu instid0(VALU_DEP_1) | instskip(SKIP_2) | instid1(VALU_DEP_1)
	v_rcp_iflag_f32_e32 v1, v1
	s_waitcnt_depctr 0xfff
	v_mul_f32_e32 v1, 0x4f7ffffe, v1
	v_cvt_u32_f32_e32 v2, v1
	s_delay_alu instid0(VALU_DEP_1) | instskip(SKIP_1) | instid1(SALU_CYCLE_1)
	v_mul_lo_u32 v1, s4, v2
	s_lshl_b32 s4, s20, 1
	s_sub_i32 s36, 0, s4
	s_lshl_b64 s[4:5], s[20:21], 1
	s_delay_alu instid0(VALU_DEP_1) | instskip(NEXT) | instid1(VALU_DEP_1)
	v_mul_hi_u32 v4, v2, v1
	v_dual_mov_b32 v1, v3 :: v_dual_add_nc_u32 v4, v2, v4
	v_mov_b32_e32 v2, v0
.LBB83_3:                               ; =>This Inner Loop Header: Depth=1
	s_delay_alu instid0(VALU_DEP_1) | instskip(SKIP_1) | instid1(VALU_DEP_2)
	v_sub_nc_u32_e32 v5, 0, v2
	v_ashrrev_i32_e32 v6, 31, v2
	v_max_i32_e32 v5, v2, v5
	s_delay_alu instid0(VALU_DEP_2) | instskip(NEXT) | instid1(VALU_DEP_2)
	v_xor_b32_e32 v6, s21, v6
	v_mul_hi_u32 v7, v5, v4
	s_delay_alu instid0(VALU_DEP_1) | instskip(SKIP_1) | instid1(VALU_DEP_2)
	v_mul_lo_u32 v8, v7, s31
	v_add_nc_u32_e32 v9, 1, v7
	v_sub_nc_u32_e32 v5, v5, v8
	s_delay_alu instid0(VALU_DEP_1) | instskip(SKIP_1) | instid1(VALU_DEP_4)
	v_subrev_nc_u32_e32 v8, s31, v5
	v_cmp_le_u32_e32 vcc_lo, s31, v5
	v_cndmask_b32_e32 v7, v7, v9, vcc_lo
	s_delay_alu instid0(VALU_DEP_1) | instskip(NEXT) | instid1(VALU_DEP_1)
	v_dual_cndmask_b32 v5, v5, v8 :: v_dual_add_nc_u32 v8, 1, v7
	v_cmp_le_u32_e32 vcc_lo, s31, v5
	s_delay_alu instid0(VALU_DEP_2) | instskip(NEXT) | instid1(VALU_DEP_1)
	v_cndmask_b32_e32 v5, v7, v8, vcc_lo
	v_xor_b32_e32 v5, v5, v6
	s_delay_alu instid0(VALU_DEP_1) | instskip(NEXT) | instid1(VALU_DEP_1)
	v_sub_nc_u32_e32 v11, v5, v6
	v_mad_u64_u32 v[5:6], null, s35, v11, v[2:3]
	v_ashrrev_i32_e32 v6, 31, v11
	v_mul_lo_u32 v12, v11, s7
	v_mad_u64_u32 v[7:8], null, v11, s6, 0
	v_mad_u64_u32 v[9:10], null, s36, v11, v[1:2]
	v_add_nc_u32_e32 v2, s34, v2
	v_mul_lo_u32 v11, v6, s6
	v_ashrrev_i32_e32 v6, 31, v5
	v_add_nc_u32_e32 v1, s37, v1
	v_ashrrev_i32_e32 v10, 31, v9
	s_delay_alu instid0(VALU_DEP_3) | instskip(SKIP_1) | instid1(VALU_DEP_3)
	v_lshlrev_b64 v[5:6], 1, v[5:6]
	v_add3_u32 v8, v8, v12, v11
	v_lshlrev_b64 v[9:10], 1, v[9:10]
	s_delay_alu instid0(VALU_DEP_3) | instskip(NEXT) | instid1(VALU_DEP_3)
	v_add_co_u32 v5, vcc_lo, s23, v5
	v_lshlrev_b64 v[7:8], 1, v[7:8]
	v_add_co_ci_u32_e32 v6, vcc_lo, s24, v6, vcc_lo
	s_delay_alu instid0(VALU_DEP_3) | instskip(NEXT) | instid1(VALU_DEP_2)
	v_add_co_u32 v11, vcc_lo, v5, s4
	v_add_co_ci_u32_e32 v12, vcc_lo, s5, v6, vcc_lo
	s_delay_alu instid0(VALU_DEP_4)
	v_add_co_u32 v7, vcc_lo, s25, v7
	v_add_co_ci_u32_e32 v8, vcc_lo, s30, v8, vcc_lo
	s_clause 0x1
	global_load_u16 v13, v[5:6], off
	global_load_u16 v11, v[11:12], off
	v_add_co_u32 v5, vcc_lo, v7, v9
	v_add_co_ci_u32_e32 v6, vcc_lo, v8, v10, vcc_lo
	v_cmp_le_i32_e32 vcc_lo, s17, v2
	global_load_b32 v7, v[5:6], off
	s_or_b32 s33, vcc_lo, s33
	s_waitcnt vmcnt(2)
	v_lshlrev_b32_e32 v9, 16, v13
	s_waitcnt vmcnt(1)
	v_lshlrev_b32_e32 v8, 16, v11
	s_delay_alu instid0(VALU_DEP_2) | instskip(NEXT) | instid1(VALU_DEP_2)
	v_cvt_f16_f32_e32 v9, v9
	v_cvt_f16_f32_e32 v8, v8
	s_waitcnt vmcnt(0)
	v_lshrrev_b32_e32 v10, 16, v7
	s_delay_alu instid0(VALU_DEP_1) | instskip(SKIP_1) | instid1(VALU_DEP_2)
	v_mul_f16_e32 v11, v10, v8
	v_mul_f16_e32 v8, v7, v8
	v_fma_f16 v7, v7, v9, -v11
	s_delay_alu instid0(VALU_DEP_2) | instskip(NEXT) | instid1(VALU_DEP_1)
	v_fmac_f16_e32 v8, v10, v9
	v_pack_b32_f16 v7, v7, v8
	global_store_b32 v[5:6], v7, off
	s_and_not1_b32 exec_lo, exec_lo, s33
	s_cbranch_execnz .LBB83_3
.LBB83_4:
	s_or_b32 exec_lo, exec_lo, s22
	s_load_b128 s[4:7], s[0:1], 0x68
	s_waitcnt lgkmcnt(0)
	s_ashr_i32 s31, s7, 31
	s_mov_b32 s30, s7
	s_delay_alu instid0(SALU_CYCLE_1) | instskip(SKIP_1) | instid1(SALU_CYCLE_1)
	s_or_b64 s[24:25], s[26:27], s[30:31]
	s_mov_b32 s24, 0
	s_cmp_lg_u64 s[24:25], 0
	s_cbranch_scc0 .LBB83_68
; %bb.5:
	s_add_u32 s34, s30, s31
	s_mov_b32 s22, s31
	s_mov_b32 s23, s31
	s_addc_u32 s35, s31, s31
	s_delay_alu instid0(SALU_CYCLE_1) | instskip(NEXT) | instid1(SALU_CYCLE_1)
	s_xor_b64 s[34:35], s[34:35], s[22:23]
	v_cvt_f32_u32_e32 v1, s34
	v_cvt_f32_u32_e32 v2, s35
	s_sub_u32 s21, 0, s34
	s_subb_u32 s25, 0, s35
	s_delay_alu instid0(VALU_DEP_1) | instskip(NEXT) | instid1(VALU_DEP_1)
	v_fmamk_f32 v1, v2, 0x4f800000, v1
	v_rcp_f32_e32 v1, v1
	s_waitcnt_depctr 0xfff
	v_mul_f32_e32 v1, 0x5f7ffffc, v1
	s_delay_alu instid0(VALU_DEP_1) | instskip(NEXT) | instid1(VALU_DEP_1)
	v_mul_f32_e32 v2, 0x2f800000, v1
	v_trunc_f32_e32 v2, v2
	s_delay_alu instid0(VALU_DEP_1) | instskip(SKIP_1) | instid1(VALU_DEP_2)
	v_fmamk_f32 v1, v2, 0xcf800000, v1
	v_cvt_u32_f32_e32 v2, v2
	v_cvt_u32_f32_e32 v1, v1
	s_delay_alu instid0(VALU_DEP_2) | instskip(NEXT) | instid1(VALU_DEP_2)
	v_readfirstlane_b32 s7, v2
	v_readfirstlane_b32 s17, v1
	s_delay_alu instid0(VALU_DEP_2) | instskip(NEXT) | instid1(VALU_DEP_1)
	s_mul_i32 s33, s21, s7
	s_mul_hi_u32 s37, s21, s17
	s_mul_i32 s36, s25, s17
	s_add_i32 s33, s37, s33
	s_mul_i32 s38, s21, s17
	s_add_i32 s33, s33, s36
	s_mul_hi_u32 s37, s17, s38
	s_mul_hi_u32 s39, s7, s38
	s_mul_i32 s36, s7, s38
	s_mul_hi_u32 s38, s17, s33
	s_mul_i32 s17, s17, s33
	s_mul_hi_u32 s40, s7, s33
	s_add_u32 s17, s37, s17
	s_addc_u32 s37, 0, s38
	s_add_u32 s17, s17, s36
	s_mul_i32 s33, s7, s33
	s_addc_u32 s17, s37, s39
	s_addc_u32 s36, s40, 0
	s_add_u32 s17, s17, s33
	s_addc_u32 s33, 0, s36
	v_add_co_u32 v1, s17, v1, s17
	s_delay_alu instid0(VALU_DEP_1) | instskip(SKIP_1) | instid1(VALU_DEP_1)
	s_cmp_lg_u32 s17, 0
	s_addc_u32 s7, s7, s33
	v_readfirstlane_b32 s17, v1
	s_mul_i32 s33, s21, s7
	s_delay_alu instid0(VALU_DEP_1)
	s_mul_hi_u32 s36, s21, s17
	s_mul_i32 s25, s25, s17
	s_add_i32 s33, s36, s33
	s_mul_i32 s21, s21, s17
	s_add_i32 s33, s33, s25
	s_mul_hi_u32 s36, s7, s21
	s_mul_i32 s37, s7, s21
	s_mul_hi_u32 s21, s17, s21
	s_mul_hi_u32 s38, s17, s33
	s_mul_i32 s17, s17, s33
	s_mul_hi_u32 s25, s7, s33
	s_add_u32 s17, s21, s17
	s_addc_u32 s21, 0, s38
	s_add_u32 s17, s17, s37
	s_mul_i32 s33, s7, s33
	s_addc_u32 s17, s21, s36
	s_addc_u32 s21, s25, 0
	s_add_u32 s17, s17, s33
	s_addc_u32 s21, 0, s21
	v_add_co_u32 v1, s17, v1, s17
	s_delay_alu instid0(VALU_DEP_1) | instskip(SKIP_2) | instid1(VALU_DEP_1)
	s_cmp_lg_u32 s17, 0
	s_addc_u32 s7, s7, s21
	s_ashr_i32 s36, s27, 31
	v_readfirstlane_b32 s17, v1
	s_add_u32 s38, s26, s36
	s_mov_b32 s37, s36
	s_addc_u32 s39, s27, s36
	s_delay_alu instid0(SALU_CYCLE_1) | instskip(NEXT) | instid1(SALU_CYCLE_1)
	s_xor_b64 s[38:39], s[38:39], s[36:37]
	s_mul_i32 s25, s38, s7
	s_mul_hi_u32 s33, s38, s17
	s_mul_hi_u32 s21, s38, s7
	;; [unrolled: 1-line block ×3, first 2 shown]
	s_mul_i32 s17, s39, s17
	s_add_u32 s25, s33, s25
	s_addc_u32 s21, 0, s21
	s_mul_hi_u32 s40, s39, s7
	s_add_u32 s17, s25, s17
	s_mul_i32 s7, s39, s7
	s_addc_u32 s17, s21, s41
	s_addc_u32 s21, s40, 0
	s_add_u32 s7, s17, s7
	s_addc_u32 s17, 0, s21
	s_mul_hi_u32 s21, s34, s7
	s_mul_i32 s33, s34, s17
	s_mul_i32 s40, s34, s7
	s_add_i32 s21, s21, s33
	v_sub_co_u32 v1, s33, s38, s40
	s_mul_i32 s25, s35, s7
	s_delay_alu instid0(SALU_CYCLE_1) | instskip(NEXT) | instid1(VALU_DEP_1)
	s_add_i32 s21, s21, s25
	v_sub_co_u32 v2, s38, v1, s34
	s_sub_i32 s25, s39, s21
	s_cmp_lg_u32 s33, 0
	s_subb_u32 s25, s25, s35
	s_cmp_lg_u32 s38, 0
	v_readfirstlane_b32 s38, v2
	s_subb_u32 s25, s25, 0
	s_delay_alu instid0(SALU_CYCLE_1) | instskip(SKIP_1) | instid1(VALU_DEP_1)
	s_cmp_ge_u32 s25, s35
	s_cselect_b32 s40, -1, 0
	s_cmp_ge_u32 s38, s34
	s_cselect_b32 s38, -1, 0
	s_cmp_eq_u32 s25, s35
	s_cselect_b32 s25, s38, s40
	s_add_u32 s38, s7, 1
	s_addc_u32 s40, s17, 0
	s_add_u32 s41, s7, 2
	s_addc_u32 s42, s17, 0
	s_cmp_lg_u32 s25, 0
	s_cselect_b32 s25, s41, s38
	s_cselect_b32 s38, s42, s40
	s_cmp_lg_u32 s33, 0
	v_readfirstlane_b32 s33, v1
	s_subb_u32 s21, s39, s21
	s_delay_alu instid0(SALU_CYCLE_1) | instskip(SKIP_1) | instid1(VALU_DEP_1)
	s_cmp_ge_u32 s21, s35
	s_cselect_b32 s39, -1, 0
	s_cmp_ge_u32 s33, s34
	s_cselect_b32 s33, -1, 0
	s_cmp_eq_u32 s21, s35
	s_cselect_b32 s21, s33, s39
	s_delay_alu instid0(SALU_CYCLE_1) | instskip(SKIP_3) | instid1(SALU_CYCLE_1)
	s_cmp_lg_u32 s21, 0
	s_cselect_b32 s35, s38, s17
	s_cselect_b32 s34, s25, s7
	s_xor_b64 s[22:23], s[36:37], s[22:23]
	s_xor_b64 s[34:35], s[34:35], s[22:23]
	s_delay_alu instid0(SALU_CYCLE_1)
	s_sub_u32 s22, s34, s22
	s_subb_u32 s23, s35, s23
	s_and_not1_b32 vcc_lo, exec_lo, s24
	s_cbranch_vccnz .LBB83_7
.LBB83_6:
	v_cvt_f32_u32_e32 v1, s30
	s_sub_i32 s17, 0, s30
	s_mov_b32 s23, 0
	s_delay_alu instid0(VALU_DEP_1) | instskip(SKIP_2) | instid1(VALU_DEP_1)
	v_rcp_iflag_f32_e32 v1, v1
	s_waitcnt_depctr 0xfff
	v_mul_f32_e32 v1, 0x4f7ffffe, v1
	v_cvt_u32_f32_e32 v1, v1
	s_delay_alu instid0(VALU_DEP_1) | instskip(NEXT) | instid1(VALU_DEP_1)
	v_readfirstlane_b32 s7, v1
	s_mul_i32 s17, s17, s7
	s_delay_alu instid0(SALU_CYCLE_1) | instskip(NEXT) | instid1(SALU_CYCLE_1)
	s_mul_hi_u32 s17, s7, s17
	s_add_i32 s7, s7, s17
	s_delay_alu instid0(SALU_CYCLE_1) | instskip(NEXT) | instid1(SALU_CYCLE_1)
	s_mul_hi_u32 s7, s26, s7
	s_mul_i32 s17, s7, s30
	s_add_i32 s21, s7, 1
	s_sub_i32 s17, s26, s17
	s_delay_alu instid0(SALU_CYCLE_1)
	s_sub_i32 s22, s17, s30
	s_cmp_ge_u32 s17, s30
	s_cselect_b32 s7, s21, s7
	s_cselect_b32 s17, s22, s17
	s_add_i32 s21, s7, 1
	s_cmp_ge_u32 s17, s30
	s_cselect_b32 s22, s21, s7
.LBB83_7:
	s_load_b64 s[24:25], s[0:1], 0x78
	s_mul_i32 s7, s22, s31
	s_mul_hi_u32 s17, s22, s30
	s_mul_i32 s21, s22, s30
	s_add_i32 s7, s17, s7
	s_mul_i32 s17, s23, s30
	s_mul_i32 s30, s23, s4
	s_add_i32 s17, s7, s17
	s_sub_u32 s7, s26, s21
	s_subb_u32 s17, s27, s17
	s_mul_hi_u32 s27, s22, s4
	s_mul_i32 s31, s22, s4
	s_mul_hi_u32 s26, s7, s5
	s_mul_i32 s17, s17, s5
	s_mul_i32 s23, s7, s5
	s_mov_b32 s33, exec_lo
	v_cmpx_gt_i32_e64 s20, v0
	s_cbranch_execz .LBB83_46
; %bb.8:
	s_load_b32 s35, s[0:1], 0x8c
	s_ashr_i32 s38, s4, 31
	s_ashr_i32 s39, s5, 31
	s_lshl_b64 s[36:37], s[28:29], 1
	s_mul_i32 s28, s22, s38
	s_mul_i32 s29, s7, s39
	s_add_i32 s28, s27, s28
	s_add_i32 s29, s26, s29
	s_ashr_i32 s21, s20, 31
	s_ashr_i32 s40, s6, 31
	s_add_i32 s38, s28, s30
	s_add_i32 s29, s29, s17
	s_waitcnt lgkmcnt(0)
	s_load_b32 s34, s[24:25], 0x0
	s_mul_i32 s9, s9, s16
	v_lshlrev_b32_e32 v1, 2, v0
	v_mov_b32_e32 v17, v0
	s_and_b32 s28, s35, 0xffff
	s_add_u32 s2, s2, s36
	s_addc_u32 s35, s3, s37
	s_lshl_b32 s3, s28, 1
	s_lshl_b64 s[36:37], s[20:21], 1
	v_add_co_u32 v11, s2, s2, v3
	s_add_u32 s21, s31, s23
	v_add_co_ci_u32_e64 v12, null, s35, 0, s2
	s_addc_u32 s2, s38, s29
	s_add_u32 s29, s18, s6
	s_addc_u32 s35, s19, s40
	s_add_u32 s21, s29, s21
	s_mul_hi_u32 s29, s8, s16
	s_addc_u32 s2, s35, s2
	s_add_i32 s9, s29, s9
	s_mul_i32 s8, s8, s16
	v_add_co_u32 v2, s21, s21, v3
	s_lshl_b64 s[8:9], s[8:9], 1
	v_add_co_ci_u32_e64 v3, null, s2, 0, s21
	s_add_u32 s2, s12, s8
	v_add_co_u32 v13, vcc_lo, v11, s36
	s_addc_u32 s8, s13, s9
	v_add_co_u32 v1, s2, s2, v1
	v_add_co_ci_u32_e32 v14, vcc_lo, s37, v12, vcc_lo
	v_add_co_ci_u32_e64 v4, null, s8, 0, s2
	v_add_co_u32 v15, vcc_lo, v2, 1
	v_add_co_ci_u32_e32 v16, vcc_lo, 0, v3, vcc_lo
	v_add_co_u32 v1, vcc_lo, v1, 2
	s_delay_alu instid0(VALU_DEP_4)
	v_add_co_ci_u32_e32 v2, vcc_lo, 0, v4, vcc_lo
	v_mov_b32_e32 v4, 0
	s_mov_b32 s12, 0
	s_lshl_b32 s13, s28, 2
	s_mov_b64 s[8:9], 0
	s_branch .LBB83_10
.LBB83_9:                               ;   in Loop: Header=BB83_10 Depth=1
	s_or_b32 exec_lo, exec_lo, s2
	v_add_nc_u32_e32 v17, s28, v17
	v_add_co_u32 v1, s2, v1, s13
	s_delay_alu instid0(VALU_DEP_1) | instskip(NEXT) | instid1(VALU_DEP_3)
	v_add_co_ci_u32_e64 v2, s2, 0, v2, s2
	v_cmp_le_i32_e32 vcc_lo, s20, v17
	s_add_u32 s8, s8, s3
	s_addc_u32 s9, s9, 0
	global_store_b8 v[5:6], v8, off
	s_or_b32 s12, vcc_lo, s12
	s_delay_alu instid0(SALU_CYCLE_1)
	s_and_not1_b32 exec_lo, exec_lo, s12
	s_cbranch_execz .LBB83_46
.LBB83_10:                              ; =>This Inner Loop Header: Depth=1
	v_add_co_u32 v5, vcc_lo, v13, s8
	v_add_co_ci_u32_e32 v6, vcc_lo, s9, v14, vcc_lo
	v_add_co_u32 v7, vcc_lo, v11, s8
	v_add_co_ci_u32_e32 v8, vcc_lo, s9, v12, vcc_lo
	global_load_u16 v3, v[5:6], off
	global_load_b32 v6, v[1:2], off offset:-2
	global_load_u16 v5, v[7:8], off
	s_waitcnt vmcnt(2)
	v_lshlrev_b32_e32 v3, 16, v3
	s_waitcnt vmcnt(1)
	v_lshrrev_b32_e32 v7, 16, v6
	s_waitcnt vmcnt(0)
	v_lshlrev_b32_e32 v5, 16, v5
	v_cvt_f16_f32_e32 v3, v3
	s_delay_alu instid0(VALU_DEP_2) | instskip(NEXT) | instid1(VALU_DEP_2)
	v_cvt_f16_f32_e32 v8, v5
	v_mul_f16_e32 v5, v7, v3
	s_delay_alu instid0(VALU_DEP_1) | instskip(NEXT) | instid1(VALU_DEP_1)
	v_fma_f16 v18, v6, v8, -v5
	v_cvt_f32_f16_e32 v5, v18
	s_waitcnt lgkmcnt(0)
	s_delay_alu instid0(VALU_DEP_1) | instskip(NEXT) | instid1(VALU_DEP_1)
	v_div_scale_f32 v9, null, s34, s34, v5
	v_rcp_f32_e32 v10, v9
	s_waitcnt_depctr 0xfff
	v_fma_f32 v19, -v9, v10, 1.0
	s_delay_alu instid0(VALU_DEP_1) | instskip(SKIP_1) | instid1(VALU_DEP_1)
	v_fmac_f32_e32 v10, v19, v10
	v_div_scale_f32 v19, vcc_lo, v5, s34, v5
	v_mul_f32_e32 v20, v19, v10
	s_delay_alu instid0(VALU_DEP_1) | instskip(NEXT) | instid1(VALU_DEP_1)
	v_fma_f32 v21, -v9, v20, v19
	v_fmac_f32_e32 v20, v21, v10
	s_delay_alu instid0(VALU_DEP_1) | instskip(NEXT) | instid1(VALU_DEP_1)
	v_fma_f32 v9, -v9, v20, v19
	v_div_fmas_f32 v9, v9, v10, v20
	s_delay_alu instid0(VALU_DEP_1) | instskip(SKIP_1) | instid1(VALU_DEP_2)
	v_div_fixup_f32 v5, v9, s34, v5
	v_mul_f16_e32 v9, v6, v3
	v_cvt_f16_f32_e32 v5, v5
	s_delay_alu instid0(VALU_DEP_2) | instskip(NEXT) | instid1(VALU_DEP_2)
	v_fmac_f16_e32 v9, v7, v8
	v_cvt_f32_f16_e32 v5, v5
	v_mov_b32_e32 v8, v4
	s_delay_alu instid0(VALU_DEP_3) | instskip(NEXT) | instid1(VALU_DEP_3)
	v_pack_b32_f16 v18, v18, v9
	v_and_b32_e32 v3, 0x7fffff, v5
	v_lshrrev_b32_e32 v6, 24, v5
	v_and_b32_e32 v7, 0x7f800000, v5
	global_store_b32 v[1:2], v18, off offset:-2
	v_and_b32_e32 v10, 0x80, v6
	v_cmp_ne_u64_e32 vcc_lo, 0x7f800000, v[7:8]
	s_delay_alu instid0(VALU_DEP_2) | instskip(SKIP_1) | instid1(SALU_CYCLE_1)
	v_or_b32_e32 v7, 0x7e, v10
	s_and_saveexec_b32 s2, vcc_lo
	s_xor_b32 s21, exec_lo, s2
	s_cbranch_execz .LBB83_26
; %bb.11:                               ;   in Loop: Header=BB83_10 Depth=1
	v_dual_mov_b32 v19, v4 :: v_dual_and_b32 v18, 0x7fffffff, v5
	s_mov_b32 s2, exec_lo
	s_delay_alu instid0(VALU_DEP_1)
	v_cmpx_gt_u64_e32 0x43e00001, v[18:19]
	s_xor_b32 s29, exec_lo, s2
	s_cbranch_execz .LBB83_25
; %bb.12:                               ;   in Loop: Header=BB83_10 Depth=1
	v_mov_b32_e32 v7, 0
	s_mov_b32 s35, exec_lo
	v_cmpx_ne_u32_e32 0, v5
	s_cbranch_execz .LBB83_24
; %bb.13:                               ;   in Loop: Header=BB83_10 Depth=1
	v_bfe_u32 v18, v5, 23, 8
	v_or_b32_e32 v7, 0x800000, v3
	s_delay_alu instid0(VALU_DEP_2) | instskip(SKIP_1) | instid1(VALU_DEP_2)
	v_sub_nc_u32_e32 v5, 0x79, v18
	v_cmp_gt_u32_e32 vcc_lo, 0x7a, v18
	v_cndmask_b32_e32 v5, 0, v5, vcc_lo
	v_cmp_eq_u32_e32 vcc_lo, 0, v18
	s_delay_alu instid0(VALU_DEP_2) | instskip(SKIP_1) | instid1(VALU_DEP_2)
	v_cndmask_b32_e64 v19, v5, 0x78, vcc_lo
	v_cndmask_b32_e32 v3, v7, v3, vcc_lo
	v_add_nc_u32_e32 v5, 20, v19
	v_add_nc_u32_e32 v7, 19, v19
	s_delay_alu instid0(VALU_DEP_2) | instskip(NEXT) | instid1(VALU_DEP_2)
	v_lshlrev_b64 v[5:6], v5, -1
	v_lshlrev_b64 v[7:8], v7, 1
	s_delay_alu instid0(VALU_DEP_2) | instskip(NEXT) | instid1(VALU_DEP_3)
	v_not_b32_e32 v6, v6
	v_not_b32_e32 v5, v5
	s_delay_alu instid0(VALU_DEP_2) | instskip(NEXT) | instid1(VALU_DEP_2)
	v_and_b32_e32 v21, 0, v6
	v_and_b32_e32 v20, v3, v5
	v_lshrrev_b64 v[5:6], v19, v[3:4]
	s_delay_alu instid0(VALU_DEP_2) | instskip(NEXT) | instid1(VALU_DEP_2)
	v_cmp_eq_u64_e64 s2, v[20:21], v[7:8]
	v_dual_mov_b32 v8, v6 :: v_dual_mov_b32 v7, v5
	s_delay_alu instid0(VALU_DEP_2)
	s_and_saveexec_b32 s36, s2
; %bb.14:                               ;   in Loop: Header=BB83_10 Depth=1
	v_bfe_u32 v3, v5, 20, 1
	s_delay_alu instid0(VALU_DEP_1) | instskip(NEXT) | instid1(VALU_DEP_1)
	v_add_co_u32 v3, s2, v5, v3
	v_add_co_u32 v7, s2, v3, -1
; %bb.15:                               ;   in Loop: Header=BB83_10 Depth=1
	s_or_b32 exec_lo, exec_lo, s36
	v_add_nc_u32_e32 v3, 0xffffff81, v18
	v_lshrrev_b32_e32 v8, 23, v5
	s_mov_b32 s2, exec_lo
	s_delay_alu instid0(VALU_DEP_2) | instskip(NEXT) | instid1(VALU_DEP_1)
	v_cndmask_b32_e64 v3, v3, 0xffffff82, vcc_lo
	v_add3_u32 v8, v19, v3, v8
	v_and_b32_e32 v3, 0xfffff, v7
	s_delay_alu instid0(VALU_DEP_2) | instskip(NEXT) | instid1(VALU_DEP_2)
	v_add_nc_u32_e32 v7, 6, v8
	v_add_co_u32 v5, vcc_lo, v3, v5
	v_add_co_ci_u32_e32 v6, vcc_lo, 0, v6, vcc_lo
                                        ; implicit-def: $vgpr3
	s_delay_alu instid0(VALU_DEP_3)
	v_cmpx_ne_u32_e32 0, v7
	s_xor_b32 s2, exec_lo, s2
; %bb.16:                               ;   in Loop: Header=BB83_10 Depth=1
	s_delay_alu instid0(VALU_DEP_2) | instskip(SKIP_1) | instid1(VALU_DEP_1)
	v_cmp_lt_u64_e32 vcc_lo, 0xffffff, v[5:6]
	v_add_nc_u32_e32 v3, 7, v8
	v_cndmask_b32_e32 v3, v7, v3, vcc_lo
	v_cndmask_b32_e64 v7, 0, 1, vcc_lo
	s_delay_alu instid0(VALU_DEP_1)
	v_lshrrev_b64 v[5:6], v7, v[5:6]
; %bb.17:                               ;   in Loop: Header=BB83_10 Depth=1
	s_and_not1_saveexec_b32 s2, s2
; %bb.18:                               ;   in Loop: Header=BB83_10 Depth=1
	s_delay_alu instid0(VALU_DEP_1)
	v_bfe_u32 v3, v5, 23, 1
; %bb.19:                               ;   in Loop: Header=BB83_10 Depth=1
	s_or_b32 exec_lo, exec_lo, s2
	s_delay_alu instid0(VALU_DEP_2) | instskip(NEXT) | instid1(VALU_DEP_2)
	v_lshrrev_b64 v[5:6], 20, v[5:6]
	v_cmp_gt_i32_e32 vcc_lo, 16, v3
	v_cmp_ne_u32_e64 s2, 0, v3
                                        ; implicit-def: $vgpr7
	s_delay_alu instid0(VALU_DEP_3) | instskip(NEXT) | instid1(VALU_DEP_1)
	v_dual_cndmask_b32 v6, 0, v6 :: v_dual_cndmask_b32 v5, 7, v5
	v_cmp_ne_u64_e32 vcc_lo, 0, v[5:6]
	s_delay_alu instid0(VALU_DEP_3) | instskip(NEXT) | instid1(SALU_CYCLE_1)
	s_or_b32 s2, s2, vcc_lo
	s_and_saveexec_b32 s36, s2
	s_delay_alu instid0(SALU_CYCLE_1)
	s_xor_b32 s2, exec_lo, s36
; %bb.20:                               ;   in Loop: Header=BB83_10 Depth=1
	v_min_i32_e32 v3, 15, v3
	s_delay_alu instid0(VALU_DEP_1) | instskip(NEXT) | instid1(VALU_DEP_1)
	v_lshl_or_b32 v3, v3, 3, v10
                                        ; implicit-def: $vgpr10
	v_and_or_b32 v7, v5, 7, v3
; %bb.21:                               ;   in Loop: Header=BB83_10 Depth=1
	s_and_not1_saveexec_b32 s2, s2
; %bb.22:                               ;   in Loop: Header=BB83_10 Depth=1
	v_mov_b32_e32 v7, v10
; %bb.23:                               ;   in Loop: Header=BB83_10 Depth=1
	s_or_b32 exec_lo, exec_lo, s2
.LBB83_24:                              ;   in Loop: Header=BB83_10 Depth=1
	s_delay_alu instid0(SALU_CYCLE_1)
	s_or_b32 exec_lo, exec_lo, s35
.LBB83_25:                              ;   in Loop: Header=BB83_10 Depth=1
	s_and_not1_saveexec_b32 s2, s29
	s_delay_alu instid0(SALU_CYCLE_1)
	s_or_b32 exec_lo, exec_lo, s2
                                        ; implicit-def: $vgpr6
.LBB83_26:                              ;   in Loop: Header=BB83_10 Depth=1
	s_and_not1_saveexec_b32 s2, s21
; %bb.27:                               ;   in Loop: Header=BB83_10 Depth=1
	v_cmp_eq_u64_e32 vcc_lo, 0, v[3:4]
	v_or_b32_e32 v5, 0x7f, v6
	s_delay_alu instid0(VALU_DEP_1)
	v_cndmask_b32_e32 v7, v5, v7, vcc_lo
; %bb.28:                               ;   in Loop: Header=BB83_10 Depth=1
	s_or_b32 exec_lo, exec_lo, s2
	v_cvt_f32_f16_e32 v3, v9
	v_mov_b32_e32 v20, v4
	s_mov_b32 s2, exec_lo
	s_delay_alu instid0(VALU_DEP_2) | instskip(SKIP_1) | instid1(VALU_DEP_2)
	v_div_scale_f32 v5, null, s34, s34, v3
	v_div_scale_f32 v9, vcc_lo, v3, s34, v3
	v_rcp_f32_e32 v6, v5
	s_waitcnt_depctr 0xfff
	v_fma_f32 v8, -v5, v6, 1.0
	s_delay_alu instid0(VALU_DEP_1) | instskip(NEXT) | instid1(VALU_DEP_1)
	v_fmac_f32_e32 v6, v8, v6
	v_mul_f32_e32 v8, v9, v6
	s_delay_alu instid0(VALU_DEP_1) | instskip(NEXT) | instid1(VALU_DEP_1)
	v_fma_f32 v10, -v5, v8, v9
	v_fmac_f32_e32 v8, v10, v6
	s_delay_alu instid0(VALU_DEP_1) | instskip(NEXT) | instid1(VALU_DEP_1)
	v_fma_f32 v5, -v5, v8, v9
	v_div_fmas_f32 v5, v5, v6, v8
	s_delay_alu instid0(VALU_DEP_1) | instskip(SKIP_2) | instid1(VALU_DEP_3)
	v_div_fixup_f32 v3, v5, s34, v3
	v_add_co_u32 v5, vcc_lo, v15, s8
	v_add_co_ci_u32_e32 v6, vcc_lo, s9, v16, vcc_lo
	v_cvt_f16_f32_e32 v3, v3
	global_store_b8 v[5:6], v7, off offset:-1
	v_cvt_f32_f16_e32 v9, v3
	s_delay_alu instid0(VALU_DEP_1) | instskip(SKIP_2) | instid1(VALU_DEP_2)
	v_and_b32_e32 v3, 0x7fffff, v9
	v_lshrrev_b32_e32 v10, 24, v9
	v_and_b32_e32 v19, 0x7f800000, v9
	v_and_b32_e32 v18, 0x80, v10
	s_delay_alu instid0(VALU_DEP_1) | instskip(NEXT) | instid1(VALU_DEP_3)
	v_or_b32_e32 v8, 0x7e, v18
	v_cmpx_ne_u64_e32 0x7f800000, v[19:20]
	s_xor_b32 s21, exec_lo, s2
	s_cbranch_execz .LBB83_44
; %bb.29:                               ;   in Loop: Header=BB83_10 Depth=1
	v_dual_mov_b32 v20, v4 :: v_dual_and_b32 v19, 0x7fffffff, v9
	s_mov_b32 s2, exec_lo
	s_delay_alu instid0(VALU_DEP_1)
	v_cmpx_gt_u64_e32 0x43e00001, v[19:20]
	s_xor_b32 s29, exec_lo, s2
	s_cbranch_execz .LBB83_43
; %bb.30:                               ;   in Loop: Header=BB83_10 Depth=1
	v_mov_b32_e32 v8, 0
	s_mov_b32 s35, exec_lo
	v_cmpx_ne_u32_e32 0, v9
	s_cbranch_execz .LBB83_42
; %bb.31:                               ;   in Loop: Header=BB83_10 Depth=1
	v_bfe_u32 v19, v9, 23, 8
	v_or_b32_e32 v9, 0x800000, v3
	s_delay_alu instid0(VALU_DEP_2) | instskip(SKIP_1) | instid1(VALU_DEP_2)
	v_sub_nc_u32_e32 v7, 0x79, v19
	v_cmp_gt_u32_e32 vcc_lo, 0x7a, v19
	v_cndmask_b32_e32 v7, 0, v7, vcc_lo
	v_cmp_eq_u32_e32 vcc_lo, 0, v19
	s_delay_alu instid0(VALU_DEP_2) | instskip(SKIP_1) | instid1(VALU_DEP_2)
	v_cndmask_b32_e64 v20, v7, 0x78, vcc_lo
	v_cndmask_b32_e32 v3, v9, v3, vcc_lo
	v_add_nc_u32_e32 v7, 20, v20
	v_add_nc_u32_e32 v9, 19, v20
	s_delay_alu instid0(VALU_DEP_2) | instskip(NEXT) | instid1(VALU_DEP_2)
	v_lshlrev_b64 v[7:8], v7, -1
	v_lshlrev_b64 v[9:10], v9, 1
	s_delay_alu instid0(VALU_DEP_2) | instskip(NEXT) | instid1(VALU_DEP_3)
	v_not_b32_e32 v8, v8
	v_not_b32_e32 v7, v7
	s_delay_alu instid0(VALU_DEP_2) | instskip(NEXT) | instid1(VALU_DEP_2)
	v_and_b32_e32 v22, 0, v8
	v_and_b32_e32 v21, v3, v7
	v_lshrrev_b64 v[7:8], v20, v[3:4]
	s_delay_alu instid0(VALU_DEP_2) | instskip(NEXT) | instid1(VALU_DEP_2)
	v_cmp_eq_u64_e64 s2, v[21:22], v[9:10]
	v_dual_mov_b32 v10, v8 :: v_dual_mov_b32 v9, v7
	s_delay_alu instid0(VALU_DEP_2)
	s_and_saveexec_b32 s36, s2
; %bb.32:                               ;   in Loop: Header=BB83_10 Depth=1
	v_bfe_u32 v3, v7, 20, 1
	s_delay_alu instid0(VALU_DEP_1) | instskip(NEXT) | instid1(VALU_DEP_1)
	v_add_co_u32 v3, s2, v7, v3
	v_add_co_u32 v9, s2, v3, -1
; %bb.33:                               ;   in Loop: Header=BB83_10 Depth=1
	s_or_b32 exec_lo, exec_lo, s36
	v_add_nc_u32_e32 v3, 0xffffff81, v19
	v_lshrrev_b32_e32 v10, 23, v7
	s_mov_b32 s2, exec_lo
	s_delay_alu instid0(VALU_DEP_2) | instskip(NEXT) | instid1(VALU_DEP_1)
	v_cndmask_b32_e64 v3, v3, 0xffffff82, vcc_lo
	v_add3_u32 v10, v20, v3, v10
	v_and_b32_e32 v3, 0xfffff, v9
	s_delay_alu instid0(VALU_DEP_2) | instskip(NEXT) | instid1(VALU_DEP_2)
	v_add_nc_u32_e32 v9, 6, v10
	v_add_co_u32 v7, vcc_lo, v3, v7
	v_add_co_ci_u32_e32 v8, vcc_lo, 0, v8, vcc_lo
                                        ; implicit-def: $vgpr3
	s_delay_alu instid0(VALU_DEP_3)
	v_cmpx_ne_u32_e32 0, v9
	s_xor_b32 s2, exec_lo, s2
; %bb.34:                               ;   in Loop: Header=BB83_10 Depth=1
	s_delay_alu instid0(VALU_DEP_2) | instskip(SKIP_1) | instid1(VALU_DEP_1)
	v_cmp_lt_u64_e32 vcc_lo, 0xffffff, v[7:8]
	v_add_nc_u32_e32 v3, 7, v10
	v_cndmask_b32_e32 v3, v9, v3, vcc_lo
	v_cndmask_b32_e64 v9, 0, 1, vcc_lo
	s_delay_alu instid0(VALU_DEP_1)
	v_lshrrev_b64 v[7:8], v9, v[7:8]
; %bb.35:                               ;   in Loop: Header=BB83_10 Depth=1
	s_and_not1_saveexec_b32 s2, s2
; %bb.36:                               ;   in Loop: Header=BB83_10 Depth=1
	s_delay_alu instid0(VALU_DEP_1)
	v_bfe_u32 v3, v7, 23, 1
; %bb.37:                               ;   in Loop: Header=BB83_10 Depth=1
	s_or_b32 exec_lo, exec_lo, s2
	s_delay_alu instid0(VALU_DEP_2) | instskip(NEXT) | instid1(VALU_DEP_2)
	v_lshrrev_b64 v[7:8], 20, v[7:8]
	v_cmp_gt_i32_e32 vcc_lo, 16, v3
	v_cmp_ne_u32_e64 s2, 0, v3
	s_delay_alu instid0(VALU_DEP_3) | instskip(NEXT) | instid1(VALU_DEP_1)
	v_dual_cndmask_b32 v8, 0, v8 :: v_dual_cndmask_b32 v7, 7, v7
	v_cmp_ne_u64_e32 vcc_lo, 0, v[7:8]
                                        ; implicit-def: $vgpr8
	s_delay_alu instid0(VALU_DEP_3) | instskip(NEXT) | instid1(SALU_CYCLE_1)
	s_or_b32 s2, s2, vcc_lo
	s_and_saveexec_b32 s36, s2
	s_delay_alu instid0(SALU_CYCLE_1)
	s_xor_b32 s2, exec_lo, s36
; %bb.38:                               ;   in Loop: Header=BB83_10 Depth=1
	v_min_i32_e32 v3, 15, v3
	s_delay_alu instid0(VALU_DEP_1) | instskip(NEXT) | instid1(VALU_DEP_1)
	v_lshl_or_b32 v3, v3, 3, v18
                                        ; implicit-def: $vgpr18
	v_and_or_b32 v8, v7, 7, v3
; %bb.39:                               ;   in Loop: Header=BB83_10 Depth=1
	s_and_not1_saveexec_b32 s2, s2
; %bb.40:                               ;   in Loop: Header=BB83_10 Depth=1
	v_mov_b32_e32 v8, v18
; %bb.41:                               ;   in Loop: Header=BB83_10 Depth=1
	s_or_b32 exec_lo, exec_lo, s2
.LBB83_42:                              ;   in Loop: Header=BB83_10 Depth=1
	s_delay_alu instid0(SALU_CYCLE_1)
	s_or_b32 exec_lo, exec_lo, s35
.LBB83_43:                              ;   in Loop: Header=BB83_10 Depth=1
	s_and_not1_saveexec_b32 s2, s29
	s_delay_alu instid0(SALU_CYCLE_1)
	s_or_b32 exec_lo, exec_lo, s2
                                        ; implicit-def: $vgpr10
.LBB83_44:                              ;   in Loop: Header=BB83_10 Depth=1
	s_and_not1_saveexec_b32 s2, s21
	s_cbranch_execz .LBB83_9
; %bb.45:                               ;   in Loop: Header=BB83_10 Depth=1
	v_cmp_eq_u64_e32 vcc_lo, 0, v[3:4]
	v_or_b32_e32 v7, 0x7f, v10
	s_delay_alu instid0(VALU_DEP_1)
	v_cndmask_b32_e32 v8, v7, v8, vcc_lo
	s_branch .LBB83_9
.LBB83_46:
	s_or_b32 exec_lo, exec_lo, s33
	s_delay_alu instid0(SALU_CYCLE_1)
	s_mov_b32 s2, exec_lo
	v_cmpx_gt_i32_e64 s6, v0
	s_cbranch_execz .LBB83_67
; %bb.47:
	s_mul_i32 s3, s16, s11
	s_mul_hi_u32 s8, s16, s10
	s_mul_i32 s2, s16, s10
	s_add_i32 s3, s8, s3
	s_load_b32 s0, s[0:1], 0x8c
	s_lshl_b64 s[2:3], s[2:3], 1
	v_mov_b32_e32 v3, 0
	s_add_u32 s1, s14, s2
	s_addc_u32 s2, s15, s3
	s_waitcnt lgkmcnt(0)
	s_load_b32 s3, s[24:25], 0x0
	s_ashr_i32 s4, s4, 31
	s_delay_alu instid0(SALU_CYCLE_1) | instskip(NEXT) | instid1(SALU_CYCLE_1)
	s_mul_i32 s4, s22, s4
	s_add_i32 s4, s27, s4
	s_delay_alu instid0(SALU_CYCLE_1) | instskip(SKIP_3) | instid1(SALU_CYCLE_1)
	s_add_i32 s4, s4, s30
	s_add_u32 s8, s18, s31
	s_addc_u32 s9, s19, s4
	s_ashr_i32 s4, s5, 31
	s_mul_i32 s7, s7, s4
	s_delay_alu instid0(SALU_CYCLE_1) | instskip(NEXT) | instid1(SALU_CYCLE_1)
	s_add_i32 s4, s26, s7
	s_add_i32 s5, s4, s17
	s_add_u32 s4, s8, s23
	s_addc_u32 s5, s9, s5
	s_and_b32 s7, s0, 0xffff
	s_mov_b32 s8, 0
	s_branch .LBB83_49
.LBB83_48:                              ;   in Loop: Header=BB83_49 Depth=1
	s_or_b32 exec_lo, exec_lo, s0
	v_add_co_u32 v6, vcc_lo, s4, v0
	v_add_nc_u32_e32 v0, s7, v0
	v_add_co_ci_u32_e32 v7, vcc_lo, s5, v1, vcc_lo
	s_delay_alu instid0(VALU_DEP_2) | instskip(SKIP_2) | instid1(SALU_CYCLE_1)
	v_cmp_le_i32_e32 vcc_lo, s6, v0
	global_store_b8 v[6:7], v5, off
	s_or_b32 s8, vcc_lo, s8
	s_and_not1_b32 exec_lo, exec_lo, s8
	s_cbranch_execz .LBB83_67
.LBB83_49:                              ; =>This Inner Loop Header: Depth=1
	v_ashrrev_i32_e32 v1, 31, v0
	s_mov_b32 s0, exec_lo
	v_mov_b32_e32 v10, v3
	s_delay_alu instid0(VALU_DEP_2) | instskip(NEXT) | instid1(VALU_DEP_1)
	v_lshlrev_b64 v[4:5], 1, v[0:1]
	v_add_co_u32 v4, vcc_lo, s1, v4
	s_delay_alu instid0(VALU_DEP_2) | instskip(SKIP_4) | instid1(VALU_DEP_1)
	v_add_co_ci_u32_e32 v5, vcc_lo, s2, v5, vcc_lo
	global_load_u16 v2, v[4:5], off
	s_waitcnt vmcnt(0)
	v_cvt_f32_f16_e32 v2, v2
	s_waitcnt lgkmcnt(0)
	v_div_scale_f32 v4, null, s3, s3, v2
	s_delay_alu instid0(VALU_DEP_1) | instskip(SKIP_2) | instid1(VALU_DEP_1)
	v_rcp_f32_e32 v5, v4
	s_waitcnt_depctr 0xfff
	v_fma_f32 v6, -v4, v5, 1.0
	v_fmac_f32_e32 v5, v6, v5
	v_div_scale_f32 v6, vcc_lo, v2, s3, v2
	s_delay_alu instid0(VALU_DEP_1) | instskip(NEXT) | instid1(VALU_DEP_1)
	v_mul_f32_e32 v7, v6, v5
	v_fma_f32 v8, -v4, v7, v6
	s_delay_alu instid0(VALU_DEP_1) | instskip(NEXT) | instid1(VALU_DEP_1)
	v_fmac_f32_e32 v7, v8, v5
	v_fma_f32 v4, -v4, v7, v6
	s_delay_alu instid0(VALU_DEP_1) | instskip(NEXT) | instid1(VALU_DEP_1)
	v_div_fmas_f32 v4, v4, v5, v7
	v_div_fixup_f32 v2, v4, s3, v2
	s_delay_alu instid0(VALU_DEP_1) | instskip(NEXT) | instid1(VALU_DEP_1)
	v_cvt_f16_f32_e32 v2, v2
	v_cvt_f32_f16_e32 v4, v2
	s_delay_alu instid0(VALU_DEP_1) | instskip(SKIP_2) | instid1(VALU_DEP_2)
	v_and_b32_e32 v2, 0x7fffff, v4
	v_lshrrev_b32_e32 v6, 24, v4
	v_and_b32_e32 v9, 0x7f800000, v4
	v_and_b32_e32 v8, 0x80, v6
	s_delay_alu instid0(VALU_DEP_1) | instskip(NEXT) | instid1(VALU_DEP_3)
	v_or_b32_e32 v5, 0x7e, v8
	v_cmpx_ne_u64_e32 0x7f800000, v[9:10]
	s_xor_b32 s9, exec_lo, s0
	s_cbranch_execz .LBB83_65
; %bb.50:                               ;   in Loop: Header=BB83_49 Depth=1
	v_dual_mov_b32 v7, v3 :: v_dual_and_b32 v6, 0x7fffffff, v4
	s_mov_b32 s0, exec_lo
	s_delay_alu instid0(VALU_DEP_1)
	v_cmpx_gt_u64_e32 0x43e00001, v[6:7]
	s_xor_b32 s10, exec_lo, s0
	s_cbranch_execz .LBB83_64
; %bb.51:                               ;   in Loop: Header=BB83_49 Depth=1
	v_mov_b32_e32 v5, 0
	s_mov_b32 s11, exec_lo
	v_cmpx_ne_u32_e32 0, v4
	s_cbranch_execz .LBB83_63
; %bb.52:                               ;   in Loop: Header=BB83_49 Depth=1
	v_bfe_u32 v9, v4, 23, 8
	v_or_b32_e32 v6, 0x800000, v2
	s_delay_alu instid0(VALU_DEP_2) | instskip(SKIP_1) | instid1(VALU_DEP_2)
	v_sub_nc_u32_e32 v4, 0x79, v9
	v_cmp_gt_u32_e32 vcc_lo, 0x7a, v9
	v_cndmask_b32_e32 v4, 0, v4, vcc_lo
	v_cmp_eq_u32_e32 vcc_lo, 0, v9
	s_delay_alu instid0(VALU_DEP_2) | instskip(SKIP_1) | instid1(VALU_DEP_2)
	v_cndmask_b32_e64 v10, v4, 0x78, vcc_lo
	v_cndmask_b32_e32 v2, v6, v2, vcc_lo
	v_add_nc_u32_e32 v4, 20, v10
	v_add_nc_u32_e32 v6, 19, v10
	s_delay_alu instid0(VALU_DEP_2) | instskip(NEXT) | instid1(VALU_DEP_2)
	v_lshlrev_b64 v[4:5], v4, -1
	v_lshlrev_b64 v[6:7], v6, 1
	s_delay_alu instid0(VALU_DEP_2) | instskip(NEXT) | instid1(VALU_DEP_3)
	v_not_b32_e32 v5, v5
	v_not_b32_e32 v4, v4
	s_delay_alu instid0(VALU_DEP_2) | instskip(NEXT) | instid1(VALU_DEP_2)
	v_and_b32_e32 v12, 0, v5
	v_and_b32_e32 v11, v2, v4
	v_lshrrev_b64 v[4:5], v10, v[2:3]
	s_delay_alu instid0(VALU_DEP_2) | instskip(NEXT) | instid1(VALU_DEP_2)
	v_cmp_eq_u64_e64 s0, v[11:12], v[6:7]
	v_dual_mov_b32 v7, v5 :: v_dual_mov_b32 v6, v4
	s_delay_alu instid0(VALU_DEP_2)
	s_and_saveexec_b32 s12, s0
; %bb.53:                               ;   in Loop: Header=BB83_49 Depth=1
	v_bfe_u32 v2, v4, 20, 1
	s_delay_alu instid0(VALU_DEP_1) | instskip(NEXT) | instid1(VALU_DEP_1)
	v_add_co_u32 v2, s0, v4, v2
	v_add_co_u32 v6, s0, v2, -1
; %bb.54:                               ;   in Loop: Header=BB83_49 Depth=1
	s_or_b32 exec_lo, exec_lo, s12
	v_add_nc_u32_e32 v2, 0xffffff81, v9
	v_lshrrev_b32_e32 v7, 23, v4
	s_mov_b32 s0, exec_lo
	s_delay_alu instid0(VALU_DEP_2) | instskip(NEXT) | instid1(VALU_DEP_1)
	v_cndmask_b32_e64 v2, v2, 0xffffff82, vcc_lo
	v_add3_u32 v7, v10, v2, v7
	v_and_b32_e32 v2, 0xfffff, v6
	s_delay_alu instid0(VALU_DEP_2) | instskip(NEXT) | instid1(VALU_DEP_2)
	v_add_nc_u32_e32 v6, 6, v7
	v_add_co_u32 v4, vcc_lo, v2, v4
	v_add_co_ci_u32_e32 v5, vcc_lo, 0, v5, vcc_lo
                                        ; implicit-def: $vgpr2
	s_delay_alu instid0(VALU_DEP_3)
	v_cmpx_ne_u32_e32 0, v6
	s_xor_b32 s0, exec_lo, s0
; %bb.55:                               ;   in Loop: Header=BB83_49 Depth=1
	s_delay_alu instid0(VALU_DEP_2) | instskip(SKIP_1) | instid1(VALU_DEP_1)
	v_cmp_lt_u64_e32 vcc_lo, 0xffffff, v[4:5]
	v_add_nc_u32_e32 v2, 7, v7
	v_cndmask_b32_e32 v2, v6, v2, vcc_lo
	v_cndmask_b32_e64 v6, 0, 1, vcc_lo
	s_delay_alu instid0(VALU_DEP_1)
	v_lshrrev_b64 v[4:5], v6, v[4:5]
; %bb.56:                               ;   in Loop: Header=BB83_49 Depth=1
	s_and_not1_saveexec_b32 s0, s0
; %bb.57:                               ;   in Loop: Header=BB83_49 Depth=1
	s_delay_alu instid0(VALU_DEP_1)
	v_bfe_u32 v2, v4, 23, 1
; %bb.58:                               ;   in Loop: Header=BB83_49 Depth=1
	s_or_b32 exec_lo, exec_lo, s0
	s_delay_alu instid0(VALU_DEP_2) | instskip(NEXT) | instid1(VALU_DEP_2)
	v_lshrrev_b64 v[4:5], 20, v[4:5]
	v_cmp_gt_i32_e32 vcc_lo, 16, v2
	v_cmp_ne_u32_e64 s0, 0, v2
	s_delay_alu instid0(VALU_DEP_3) | instskip(NEXT) | instid1(VALU_DEP_1)
	v_dual_cndmask_b32 v5, 0, v5 :: v_dual_cndmask_b32 v4, 7, v4
	v_cmp_ne_u64_e32 vcc_lo, 0, v[4:5]
                                        ; implicit-def: $vgpr5
	s_delay_alu instid0(VALU_DEP_3) | instskip(NEXT) | instid1(SALU_CYCLE_1)
	s_or_b32 s0, s0, vcc_lo
	s_and_saveexec_b32 s12, s0
	s_delay_alu instid0(SALU_CYCLE_1)
	s_xor_b32 s0, exec_lo, s12
; %bb.59:                               ;   in Loop: Header=BB83_49 Depth=1
	v_min_i32_e32 v2, 15, v2
	s_delay_alu instid0(VALU_DEP_1) | instskip(NEXT) | instid1(VALU_DEP_1)
	v_lshl_or_b32 v2, v2, 3, v8
                                        ; implicit-def: $vgpr8
	v_and_or_b32 v5, v4, 7, v2
; %bb.60:                               ;   in Loop: Header=BB83_49 Depth=1
	s_and_not1_saveexec_b32 s0, s0
; %bb.61:                               ;   in Loop: Header=BB83_49 Depth=1
	v_mov_b32_e32 v5, v8
; %bb.62:                               ;   in Loop: Header=BB83_49 Depth=1
	s_or_b32 exec_lo, exec_lo, s0
.LBB83_63:                              ;   in Loop: Header=BB83_49 Depth=1
	s_delay_alu instid0(SALU_CYCLE_1)
	s_or_b32 exec_lo, exec_lo, s11
.LBB83_64:                              ;   in Loop: Header=BB83_49 Depth=1
	s_and_not1_saveexec_b32 s0, s10
	s_delay_alu instid0(SALU_CYCLE_1)
	s_or_b32 exec_lo, exec_lo, s0
                                        ; implicit-def: $vgpr6
.LBB83_65:                              ;   in Loop: Header=BB83_49 Depth=1
	s_and_not1_saveexec_b32 s0, s9
	s_cbranch_execz .LBB83_48
; %bb.66:                               ;   in Loop: Header=BB83_49 Depth=1
	v_cmp_eq_u64_e32 vcc_lo, 0, v[2:3]
	v_or_b32_e32 v4, 0x7f, v6
	s_delay_alu instid0(VALU_DEP_1)
	v_cndmask_b32_e32 v5, v4, v5, vcc_lo
	s_branch .LBB83_48
.LBB83_67:
	s_nop 0
	s_sendmsg sendmsg(MSG_DEALLOC_VGPRS)
	s_endpgm
.LBB83_68:
                                        ; implicit-def: $sgpr22_sgpr23
	s_branch .LBB83_6
	.section	.rodata,"a",@progbits
	.p2align	6, 0x0
	.amdhsa_kernel _ZN4vllm38concat_and_cache_mla_rope_fused_kernelIN3c104HalfENS1_8BFloat16ELb0EthLNS_18Fp8KVCacheDataTypeE1EEEvPKlPT_S8_PKS7_PKT0_illlliPT3_S6_iiiiPKf
		.amdhsa_group_segment_fixed_size 0
		.amdhsa_private_segment_fixed_size 0
		.amdhsa_kernarg_size 384
		.amdhsa_user_sgpr_count 15
		.amdhsa_user_sgpr_dispatch_ptr 0
		.amdhsa_user_sgpr_queue_ptr 0
		.amdhsa_user_sgpr_kernarg_segment_ptr 1
		.amdhsa_user_sgpr_dispatch_id 0
		.amdhsa_user_sgpr_private_segment_size 0
		.amdhsa_wavefront_size32 1
		.amdhsa_uses_dynamic_stack 0
		.amdhsa_enable_private_segment 0
		.amdhsa_system_sgpr_workgroup_id_x 1
		.amdhsa_system_sgpr_workgroup_id_y 0
		.amdhsa_system_sgpr_workgroup_id_z 0
		.amdhsa_system_sgpr_workgroup_info 0
		.amdhsa_system_vgpr_workitem_id 0
		.amdhsa_next_free_vgpr 23
		.amdhsa_next_free_sgpr 43
		.amdhsa_reserve_vcc 1
		.amdhsa_float_round_mode_32 0
		.amdhsa_float_round_mode_16_64 0
		.amdhsa_float_denorm_mode_32 3
		.amdhsa_float_denorm_mode_16_64 3
		.amdhsa_dx10_clamp 1
		.amdhsa_ieee_mode 1
		.amdhsa_fp16_overflow 0
		.amdhsa_workgroup_processor_mode 1
		.amdhsa_memory_ordered 1
		.amdhsa_forward_progress 0
		.amdhsa_shared_vgpr_count 0
		.amdhsa_exception_fp_ieee_invalid_op 0
		.amdhsa_exception_fp_denorm_src 0
		.amdhsa_exception_fp_ieee_div_zero 0
		.amdhsa_exception_fp_ieee_overflow 0
		.amdhsa_exception_fp_ieee_underflow 0
		.amdhsa_exception_fp_ieee_inexact 0
		.amdhsa_exception_int_div_zero 0
	.end_amdhsa_kernel
	.section	.text._ZN4vllm38concat_and_cache_mla_rope_fused_kernelIN3c104HalfENS1_8BFloat16ELb0EthLNS_18Fp8KVCacheDataTypeE1EEEvPKlPT_S8_PKS7_PKT0_illlliPT3_S6_iiiiPKf,"axG",@progbits,_ZN4vllm38concat_and_cache_mla_rope_fused_kernelIN3c104HalfENS1_8BFloat16ELb0EthLNS_18Fp8KVCacheDataTypeE1EEEvPKlPT_S8_PKS7_PKT0_illlliPT3_S6_iiiiPKf,comdat
.Lfunc_end83:
	.size	_ZN4vllm38concat_and_cache_mla_rope_fused_kernelIN3c104HalfENS1_8BFloat16ELb0EthLNS_18Fp8KVCacheDataTypeE1EEEvPKlPT_S8_PKS7_PKT0_illlliPT3_S6_iiiiPKf, .Lfunc_end83-_ZN4vllm38concat_and_cache_mla_rope_fused_kernelIN3c104HalfENS1_8BFloat16ELb0EthLNS_18Fp8KVCacheDataTypeE1EEEvPKlPT_S8_PKS7_PKT0_illlliPT3_S6_iiiiPKf
                                        ; -- End function
	.section	.AMDGPU.csdata,"",@progbits
; Kernel info:
; codeLenInByte = 4468
; NumSgprs: 45
; NumVgprs: 23
; ScratchSize: 0
; MemoryBound: 0
; FloatMode: 240
; IeeeMode: 1
; LDSByteSize: 0 bytes/workgroup (compile time only)
; SGPRBlocks: 5
; VGPRBlocks: 2
; NumSGPRsForWavesPerEU: 45
; NumVGPRsForWavesPerEU: 23
; Occupancy: 16
; WaveLimiterHint : 1
; COMPUTE_PGM_RSRC2:SCRATCH_EN: 0
; COMPUTE_PGM_RSRC2:USER_SGPR: 15
; COMPUTE_PGM_RSRC2:TRAP_HANDLER: 0
; COMPUTE_PGM_RSRC2:TGID_X_EN: 1
; COMPUTE_PGM_RSRC2:TGID_Y_EN: 0
; COMPUTE_PGM_RSRC2:TGID_Z_EN: 0
; COMPUTE_PGM_RSRC2:TIDIG_COMP_CNT: 0
	.section	.text._ZN4vllm38concat_and_cache_mla_rope_fused_kernelIN3c108BFloat16EfLb1EthLNS_18Fp8KVCacheDataTypeE1EEEvPKlPT_S7_PKS6_PKT0_illlliPT3_S5_iiiiPKf,"axG",@progbits,_ZN4vllm38concat_and_cache_mla_rope_fused_kernelIN3c108BFloat16EfLb1EthLNS_18Fp8KVCacheDataTypeE1EEEvPKlPT_S7_PKS6_PKT0_illlliPT3_S5_iiiiPKf,comdat
	.protected	_ZN4vllm38concat_and_cache_mla_rope_fused_kernelIN3c108BFloat16EfLb1EthLNS_18Fp8KVCacheDataTypeE1EEEvPKlPT_S7_PKS6_PKT0_illlliPT3_S5_iiiiPKf ; -- Begin function _ZN4vllm38concat_and_cache_mla_rope_fused_kernelIN3c108BFloat16EfLb1EthLNS_18Fp8KVCacheDataTypeE1EEEvPKlPT_S7_PKS6_PKT0_illlliPT3_S5_iiiiPKf
	.globl	_ZN4vllm38concat_and_cache_mla_rope_fused_kernelIN3c108BFloat16EfLb1EthLNS_18Fp8KVCacheDataTypeE1EEEvPKlPT_S7_PKS6_PKT0_illlliPT3_S5_iiiiPKf
	.p2align	8
	.type	_ZN4vllm38concat_and_cache_mla_rope_fused_kernelIN3c108BFloat16EfLb1EthLNS_18Fp8KVCacheDataTypeE1EEEvPKlPT_S7_PKS6_PKT0_illlliPT3_S5_iiiiPKf,@function
_ZN4vllm38concat_and_cache_mla_rope_fused_kernelIN3c108BFloat16EfLb1EthLNS_18Fp8KVCacheDataTypeE1EEEvPKlPT_S7_PKS6_PKT0_illlliPT3_S5_iiiiPKf: ; @_ZN4vllm38concat_and_cache_mla_rope_fused_kernelIN3c108BFloat16EfLb1EthLNS_18Fp8KVCacheDataTypeE1EEEvPKlPT_S7_PKS6_PKT0_illlliPT3_S5_iiiiPKf
; %bb.0:
	s_load_b64 s[4:5], s[0:1], 0x60
	s_mov_b32 s16, s15
	s_mov_b32 s17, 0
	s_delay_alu instid0(SALU_CYCLE_1)
	s_lshl_b64 s[2:3], s[16:17], 3
	s_waitcnt lgkmcnt(0)
	s_add_u32 s4, s4, s2
	s_addc_u32 s5, s5, s3
	s_load_b64 s[30:31], s[4:5], 0x0
	s_waitcnt lgkmcnt(0)
	v_cmp_lt_i64_e64 s4, s[30:31], 0
	s_delay_alu instid0(VALU_DEP_1)
	s_and_b32 vcc_lo, exec_lo, s4
	s_cbranch_vccnz .LBB84_67
; %bb.1:
	s_clause 0x3
	s_load_b32 s21, s[0:1], 0x28
	s_load_b64 s[4:5], s[0:1], 0x0
	s_load_b128 s[12:15], s[0:1], 0x10
	s_load_b32 s17, s[0:1], 0x50
	s_mov_b32 s24, exec_lo
	s_waitcnt lgkmcnt(0)
	s_ashr_i32 s22, s21, 31
	s_add_u32 s2, s4, s2
	s_addc_u32 s3, s5, s3
	s_lshr_b32 s20, s21, 31
	s_load_b64 s[2:3], s[2:3], 0x0
	s_clause 0x2
	s_load_b64 s[26:27], s[0:1], 0x20
	s_load_b64 s[18:19], s[0:1], 0x58
	s_load_b256 s[4:11], s[0:1], 0x30
	s_add_i32 s20, s21, s20
	s_delay_alu instid0(SALU_CYCLE_1) | instskip(NEXT) | instid1(SALU_CYCLE_1)
	s_ashr_i32 s20, s20, 1
	s_mul_i32 s17, s20, s17
	s_waitcnt lgkmcnt(0)
	s_mul_i32 s22, s2, s22
	s_mul_hi_u32 s23, s2, s21
	s_mul_i32 s3, s3, s21
	s_add_i32 s22, s23, s22
	s_mul_i32 s28, s2, s21
	s_add_i32 s29, s22, s3
	v_cmpx_gt_i32_e64 s17, v0
	s_cbranch_execz .LBB84_4
; %bb.2:
	s_load_b64 s[2:3], s[0:1], 0x8
	s_lshl_b64 s[22:23], s[28:29], 2
	s_mul_i32 s5, s16, s5
	s_mul_hi_u32 s21, s16, s4
	s_add_u32 s25, s26, s22
	s_load_b32 s22, s[0:1], 0x8c
	s_mul_i32 s4, s16, s4
	s_addc_u32 s33, s27, s23
	s_add_i32 s5, s21, s5
	s_ashr_i32 s21, s20, 31
	s_lshl_b64 s[4:5], s[4:5], 1
	s_mov_b32 s37, 0
	s_waitcnt lgkmcnt(0)
	s_add_u32 s34, s2, s4
	s_addc_u32 s35, s3, s5
	s_abs_i32 s36, s20
	s_sub_i32 s39, 0, s20
	v_cvt_f32_u32_e32 v1, s36
	s_sub_i32 s2, 0, s36
	s_and_b32 s38, s22, 0xffff
	s_lshl_b64 s[4:5], s[20:21], 2
	s_lshl_b64 s[22:23], s[20:21], 1
	v_rcp_iflag_f32_e32 v1, v1
	s_waitcnt_depctr 0xfff
	v_mul_f32_e32 v1, 0x4f7ffffe, v1
	s_delay_alu instid0(VALU_DEP_1) | instskip(NEXT) | instid1(VALU_DEP_1)
	v_cvt_u32_f32_e32 v1, v1
	v_mul_lo_u32 v2, s2, v1
	s_delay_alu instid0(VALU_DEP_1) | instskip(NEXT) | instid1(VALU_DEP_1)
	v_mul_hi_u32 v2, v1, v2
	v_dual_mov_b32 v1, v0 :: v_dual_add_nc_u32 v2, v1, v2
.LBB84_3:                               ; =>This Inner Loop Header: Depth=1
	s_delay_alu instid0(VALU_DEP_1) | instskip(SKIP_1) | instid1(VALU_DEP_2)
	v_sub_nc_u32_e32 v3, 0, v1
	v_ashrrev_i32_e32 v4, 31, v1
	v_max_i32_e32 v3, v1, v3
	s_delay_alu instid0(VALU_DEP_2) | instskip(NEXT) | instid1(VALU_DEP_2)
	v_xor_b32_e32 v4, s21, v4
	v_mul_hi_u32 v5, v3, v2
	s_delay_alu instid0(VALU_DEP_1) | instskip(SKIP_1) | instid1(VALU_DEP_2)
	v_mul_lo_u32 v6, v5, s36
	v_add_nc_u32_e32 v7, 1, v5
	v_sub_nc_u32_e32 v3, v3, v6
	s_delay_alu instid0(VALU_DEP_1) | instskip(SKIP_1) | instid1(VALU_DEP_4)
	v_subrev_nc_u32_e32 v6, s36, v3
	v_cmp_le_u32_e32 vcc_lo, s36, v3
	v_cndmask_b32_e32 v5, v5, v7, vcc_lo
	s_delay_alu instid0(VALU_DEP_1) | instskip(NEXT) | instid1(VALU_DEP_1)
	v_dual_cndmask_b32 v3, v3, v6 :: v_dual_add_nc_u32 v6, 1, v5
	v_cmp_le_u32_e32 vcc_lo, s36, v3
	s_delay_alu instid0(VALU_DEP_2) | instskip(NEXT) | instid1(VALU_DEP_1)
	v_cndmask_b32_e32 v3, v5, v6, vcc_lo
	v_xor_b32_e32 v3, v3, v4
	s_delay_alu instid0(VALU_DEP_1) | instskip(NEXT) | instid1(VALU_DEP_1)
	v_sub_nc_u32_e32 v7, v3, v4
	v_ashrrev_i32_e32 v8, 31, v7
	v_mad_u64_u32 v[3:4], null, s39, v7, v[1:2]
	v_mul_lo_u32 v9, v7, s7
	v_mad_u64_u32 v[5:6], null, v7, s6, 0
	s_delay_alu instid0(VALU_DEP_4) | instskip(SKIP_2) | instid1(VALU_DEP_3)
	v_mul_lo_u32 v7, v8, s6
	v_add_nc_u32_e32 v1, s38, v1
	v_ashrrev_i32_e32 v4, 31, v3
	v_add3_u32 v6, v6, v9, v7
	s_delay_alu instid0(VALU_DEP_2) | instskip(SKIP_1) | instid1(VALU_DEP_3)
	v_lshlrev_b64 v[7:8], 2, v[3:4]
	v_lshlrev_b64 v[3:4], 1, v[3:4]
	v_lshlrev_b64 v[5:6], 1, v[5:6]
	s_delay_alu instid0(VALU_DEP_3) | instskip(NEXT) | instid1(VALU_DEP_4)
	v_add_co_u32 v7, vcc_lo, s25, v7
	v_add_co_ci_u32_e32 v8, vcc_lo, s33, v8, vcc_lo
	global_load_b32 v9, v[7:8], off
	v_add_co_u32 v7, vcc_lo, v7, s4
	v_add_co_ci_u32_e32 v8, vcc_lo, s5, v8, vcc_lo
	v_add_co_u32 v5, vcc_lo, s34, v5
	v_add_co_ci_u32_e32 v6, vcc_lo, s35, v6, vcc_lo
	global_load_b32 v7, v[7:8], off
	v_add_co_u32 v3, vcc_lo, v5, v3
	v_add_co_ci_u32_e32 v4, vcc_lo, v6, v4, vcc_lo
	s_delay_alu instid0(VALU_DEP_2) | instskip(NEXT) | instid1(VALU_DEP_2)
	v_add_co_u32 v5, vcc_lo, v3, s22
	v_add_co_ci_u32_e32 v6, vcc_lo, s23, v4, vcc_lo
	s_clause 0x1
	global_load_u16 v8, v[3:4], off
	global_load_u16 v10, v[5:6], off
	s_waitcnt vmcnt(3)
	v_bfe_u32 v11, v9, 16, 1
	v_cmp_o_f32_e32 vcc_lo, v9, v9
	s_delay_alu instid0(VALU_DEP_2) | instskip(SKIP_2) | instid1(VALU_DEP_2)
	v_add3_u32 v11, v9, v11, 0x7fff
	s_waitcnt vmcnt(2)
	v_bfe_u32 v12, v7, 16, 1
	v_and_b32_e32 v11, 0xffff0000, v11
	s_delay_alu instid0(VALU_DEP_2) | instskip(NEXT) | instid1(VALU_DEP_2)
	v_add3_u32 v12, v7, v12, 0x7fff
	v_cndmask_b32_e32 v9, 0x7fc00000, v11, vcc_lo
	v_cmp_o_f32_e32 vcc_lo, v7, v7
	s_delay_alu instid0(VALU_DEP_3) | instskip(SKIP_3) | instid1(VALU_DEP_2)
	v_and_b32_e32 v11, 0xffff0000, v12
	s_waitcnt vmcnt(1)
	v_lshlrev_b32_e32 v8, 16, v8
	s_waitcnt vmcnt(0)
	v_dual_cndmask_b32 v11, 0x7fc00000, v11 :: v_dual_lshlrev_b32 v10, 16, v10
	s_delay_alu instid0(VALU_DEP_2) | instskip(NEXT) | instid1(VALU_DEP_2)
	v_mul_f32_e32 v7, v9, v8
	v_mul_f32_e32 v8, v11, v8
	s_delay_alu instid0(VALU_DEP_2) | instskip(SKIP_1) | instid1(VALU_DEP_3)
	v_bfe_u32 v12, v7, 16, 1
	v_cmp_o_f32_e64 s2, v7, v7
	v_bfe_u32 v14, v8, 16, 1
	s_delay_alu instid0(VALU_DEP_3) | instskip(SKIP_2) | instid1(VALU_DEP_4)
	v_add3_u32 v12, v7, v12, 0x7fff
	v_mul_f32_e32 v9, v9, v10
	v_mul_f32_e32 v10, v11, v10
	v_add3_u32 v14, v8, v14, 0x7fff
	s_delay_alu instid0(VALU_DEP_4) | instskip(NEXT) | instid1(VALU_DEP_4)
	v_and_b32_e32 v12, 0xffff0000, v12
	v_bfe_u32 v11, v9, 16, 1
	s_delay_alu instid0(VALU_DEP_4) | instskip(SKIP_1) | instid1(VALU_DEP_3)
	v_bfe_u32 v13, v10, 16, 1
	v_cmp_o_f32_e32 vcc_lo, v9, v9
	v_add3_u32 v11, v9, v11, 0x7fff
	s_delay_alu instid0(VALU_DEP_3) | instskip(SKIP_4) | instid1(VALU_DEP_1)
	v_add3_u32 v13, v10, v13, 0x7fff
	v_cndmask_b32_e64 v9, 0x7fc00000, v12, s2
	v_and_b32_e32 v12, 0xffff0000, v14
	v_cmp_o_f32_e64 s2, v10, v10
	v_and_b32_e32 v11, 0xffff0000, v11
	v_cndmask_b32_e32 v11, 0x7fc00000, v11, vcc_lo
	v_cmp_o_f32_e32 vcc_lo, v8, v8
	v_cndmask_b32_e32 v8, 0x7fc00000, v12, vcc_lo
	v_and_b32_e32 v7, 0xffff0000, v13
	v_cmp_le_i32_e32 vcc_lo, s17, v1
	s_delay_alu instid0(VALU_DEP_3) | instskip(NEXT) | instid1(VALU_DEP_3)
	v_add_f32_e32 v8, v11, v8
	v_cndmask_b32_e64 v7, 0x7fc00000, v7, s2
	s_or_b32 s37, vcc_lo, s37
	s_delay_alu instid0(VALU_DEP_2) | instskip(NEXT) | instid1(VALU_DEP_2)
	v_bfe_u32 v10, v8, 16, 1
	v_sub_f32_e32 v7, v9, v7
	v_cmp_o_f32_e64 s2, v8, v8
	s_delay_alu instid0(VALU_DEP_3) | instskip(NEXT) | instid1(VALU_DEP_3)
	v_add3_u32 v10, v8, v10, 0x7fff
	v_bfe_u32 v9, v7, 16, 1
	v_cmp_o_f32_e64 s3, v7, v7
	s_delay_alu instid0(VALU_DEP_3) | instskip(NEXT) | instid1(VALU_DEP_3)
	v_lshrrev_b32_e32 v10, 16, v10
	v_add3_u32 v9, v7, v9, 0x7fff
	s_delay_alu instid0(VALU_DEP_2) | instskip(NEXT) | instid1(VALU_DEP_2)
	v_cndmask_b32_e64 v8, 0x7fc0, v10, s2
	v_lshrrev_b32_e32 v9, 16, v9
	s_delay_alu instid0(VALU_DEP_1)
	v_cndmask_b32_e64 v7, 0x7fc0, v9, s3
	s_clause 0x1
	global_store_b16 v[3:4], v7, off
	global_store_b16 v[5:6], v8, off
	s_and_not1_b32 exec_lo, exec_lo, s37
	s_cbranch_execnz .LBB84_3
.LBB84_4:
	s_or_b32 exec_lo, exec_lo, s24
	s_load_b128 s[4:7], s[0:1], 0x68
	s_waitcnt lgkmcnt(0)
	s_ashr_i32 s3, s7, 31
	s_mov_b32 s2, s7
	s_delay_alu instid0(SALU_CYCLE_1) | instskip(SKIP_1) | instid1(SALU_CYCLE_1)
	s_or_b64 s[24:25], s[30:31], s[2:3]
	s_mov_b32 s24, 0
	s_cmp_lg_u64 s[24:25], 0
	s_cbranch_scc0 .LBB84_68
; %bb.5:
	s_add_u32 s34, s2, s3
	s_mov_b32 s22, s3
	s_mov_b32 s23, s3
	s_addc_u32 s35, s3, s3
	s_delay_alu instid0(SALU_CYCLE_1) | instskip(NEXT) | instid1(SALU_CYCLE_1)
	s_xor_b64 s[34:35], s[34:35], s[22:23]
	v_cvt_f32_u32_e32 v1, s34
	v_cvt_f32_u32_e32 v2, s35
	s_sub_u32 s21, 0, s34
	s_subb_u32 s25, 0, s35
	s_delay_alu instid0(VALU_DEP_1) | instskip(NEXT) | instid1(VALU_DEP_1)
	v_fmamk_f32 v1, v2, 0x4f800000, v1
	v_rcp_f32_e32 v1, v1
	s_waitcnt_depctr 0xfff
	v_mul_f32_e32 v1, 0x5f7ffffc, v1
	s_delay_alu instid0(VALU_DEP_1) | instskip(NEXT) | instid1(VALU_DEP_1)
	v_mul_f32_e32 v2, 0x2f800000, v1
	v_trunc_f32_e32 v2, v2
	s_delay_alu instid0(VALU_DEP_1) | instskip(SKIP_1) | instid1(VALU_DEP_2)
	v_fmamk_f32 v1, v2, 0xcf800000, v1
	v_cvt_u32_f32_e32 v2, v2
	v_cvt_u32_f32_e32 v1, v1
	s_delay_alu instid0(VALU_DEP_2) | instskip(NEXT) | instid1(VALU_DEP_2)
	v_readfirstlane_b32 s7, v2
	v_readfirstlane_b32 s17, v1
	s_delay_alu instid0(VALU_DEP_2) | instskip(NEXT) | instid1(VALU_DEP_1)
	s_mul_i32 s33, s21, s7
	s_mul_hi_u32 s37, s21, s17
	s_mul_i32 s36, s25, s17
	s_add_i32 s33, s37, s33
	s_mul_i32 s38, s21, s17
	s_add_i32 s33, s33, s36
	s_mul_hi_u32 s37, s17, s38
	s_mul_hi_u32 s39, s7, s38
	s_mul_i32 s36, s7, s38
	s_mul_hi_u32 s38, s17, s33
	s_mul_i32 s17, s17, s33
	s_mul_hi_u32 s40, s7, s33
	s_add_u32 s17, s37, s17
	s_addc_u32 s37, 0, s38
	s_add_u32 s17, s17, s36
	s_mul_i32 s33, s7, s33
	s_addc_u32 s17, s37, s39
	s_addc_u32 s36, s40, 0
	s_add_u32 s17, s17, s33
	s_addc_u32 s33, 0, s36
	v_add_co_u32 v1, s17, v1, s17
	s_delay_alu instid0(VALU_DEP_1) | instskip(SKIP_1) | instid1(VALU_DEP_1)
	s_cmp_lg_u32 s17, 0
	s_addc_u32 s7, s7, s33
	v_readfirstlane_b32 s17, v1
	s_mul_i32 s33, s21, s7
	s_delay_alu instid0(VALU_DEP_1)
	s_mul_hi_u32 s36, s21, s17
	s_mul_i32 s25, s25, s17
	s_add_i32 s33, s36, s33
	s_mul_i32 s21, s21, s17
	s_add_i32 s33, s33, s25
	s_mul_hi_u32 s36, s7, s21
	s_mul_i32 s37, s7, s21
	s_mul_hi_u32 s21, s17, s21
	s_mul_hi_u32 s38, s17, s33
	s_mul_i32 s17, s17, s33
	s_mul_hi_u32 s25, s7, s33
	s_add_u32 s17, s21, s17
	s_addc_u32 s21, 0, s38
	s_add_u32 s17, s17, s37
	s_mul_i32 s33, s7, s33
	s_addc_u32 s17, s21, s36
	s_addc_u32 s21, s25, 0
	s_add_u32 s17, s17, s33
	s_addc_u32 s21, 0, s21
	v_add_co_u32 v1, s17, v1, s17
	s_delay_alu instid0(VALU_DEP_1) | instskip(SKIP_2) | instid1(VALU_DEP_1)
	s_cmp_lg_u32 s17, 0
	s_addc_u32 s7, s7, s21
	s_ashr_i32 s36, s31, 31
	v_readfirstlane_b32 s17, v1
	s_add_u32 s38, s30, s36
	s_mov_b32 s37, s36
	s_addc_u32 s39, s31, s36
	s_delay_alu instid0(SALU_CYCLE_1) | instskip(NEXT) | instid1(SALU_CYCLE_1)
	s_xor_b64 s[38:39], s[38:39], s[36:37]
	s_mul_i32 s25, s38, s7
	s_mul_hi_u32 s33, s38, s17
	s_mul_hi_u32 s21, s38, s7
	s_mul_hi_u32 s41, s39, s17
	s_mul_i32 s17, s39, s17
	s_add_u32 s25, s33, s25
	s_addc_u32 s21, 0, s21
	s_mul_hi_u32 s40, s39, s7
	s_add_u32 s17, s25, s17
	s_mul_i32 s7, s39, s7
	s_addc_u32 s17, s21, s41
	s_addc_u32 s21, s40, 0
	s_add_u32 s7, s17, s7
	s_addc_u32 s17, 0, s21
	s_mul_hi_u32 s21, s34, s7
	s_mul_i32 s33, s34, s17
	s_mul_i32 s40, s34, s7
	s_add_i32 s21, s21, s33
	v_sub_co_u32 v1, s33, s38, s40
	s_mul_i32 s25, s35, s7
	s_delay_alu instid0(SALU_CYCLE_1) | instskip(NEXT) | instid1(VALU_DEP_1)
	s_add_i32 s21, s21, s25
	v_sub_co_u32 v2, s38, v1, s34
	s_sub_i32 s25, s39, s21
	s_cmp_lg_u32 s33, 0
	s_subb_u32 s25, s25, s35
	s_cmp_lg_u32 s38, 0
	v_readfirstlane_b32 s38, v2
	s_subb_u32 s25, s25, 0
	s_delay_alu instid0(SALU_CYCLE_1) | instskip(SKIP_1) | instid1(VALU_DEP_1)
	s_cmp_ge_u32 s25, s35
	s_cselect_b32 s40, -1, 0
	s_cmp_ge_u32 s38, s34
	s_cselect_b32 s38, -1, 0
	s_cmp_eq_u32 s25, s35
	s_cselect_b32 s25, s38, s40
	s_add_u32 s38, s7, 1
	s_addc_u32 s40, s17, 0
	s_add_u32 s41, s7, 2
	s_addc_u32 s42, s17, 0
	s_cmp_lg_u32 s25, 0
	s_cselect_b32 s25, s41, s38
	s_cselect_b32 s38, s42, s40
	s_cmp_lg_u32 s33, 0
	v_readfirstlane_b32 s33, v1
	s_subb_u32 s21, s39, s21
	s_delay_alu instid0(SALU_CYCLE_1) | instskip(SKIP_1) | instid1(VALU_DEP_1)
	s_cmp_ge_u32 s21, s35
	s_cselect_b32 s39, -1, 0
	s_cmp_ge_u32 s33, s34
	s_cselect_b32 s33, -1, 0
	s_cmp_eq_u32 s21, s35
	s_cselect_b32 s21, s33, s39
	s_delay_alu instid0(SALU_CYCLE_1) | instskip(SKIP_3) | instid1(SALU_CYCLE_1)
	s_cmp_lg_u32 s21, 0
	s_cselect_b32 s35, s38, s17
	s_cselect_b32 s34, s25, s7
	s_xor_b64 s[22:23], s[36:37], s[22:23]
	s_xor_b64 s[34:35], s[34:35], s[22:23]
	s_delay_alu instid0(SALU_CYCLE_1)
	s_sub_u32 s22, s34, s22
	s_subb_u32 s23, s35, s23
	s_and_not1_b32 vcc_lo, exec_lo, s24
	s_cbranch_vccnz .LBB84_7
.LBB84_6:
	v_cvt_f32_u32_e32 v1, s2
	s_sub_i32 s17, 0, s2
	s_mov_b32 s23, 0
	s_delay_alu instid0(VALU_DEP_1) | instskip(SKIP_2) | instid1(VALU_DEP_1)
	v_rcp_iflag_f32_e32 v1, v1
	s_waitcnt_depctr 0xfff
	v_mul_f32_e32 v1, 0x4f7ffffe, v1
	v_cvt_u32_f32_e32 v1, v1
	s_delay_alu instid0(VALU_DEP_1) | instskip(NEXT) | instid1(VALU_DEP_1)
	v_readfirstlane_b32 s7, v1
	s_mul_i32 s17, s17, s7
	s_delay_alu instid0(SALU_CYCLE_1) | instskip(NEXT) | instid1(SALU_CYCLE_1)
	s_mul_hi_u32 s17, s7, s17
	s_add_i32 s7, s7, s17
	s_delay_alu instid0(SALU_CYCLE_1) | instskip(NEXT) | instid1(SALU_CYCLE_1)
	s_mul_hi_u32 s7, s30, s7
	s_mul_i32 s17, s7, s2
	s_add_i32 s21, s7, 1
	s_sub_i32 s17, s30, s17
	s_delay_alu instid0(SALU_CYCLE_1)
	s_sub_i32 s22, s17, s2
	s_cmp_ge_u32 s17, s2
	s_cselect_b32 s7, s21, s7
	s_cselect_b32 s17, s22, s17
	s_add_i32 s21, s7, 1
	s_cmp_ge_u32 s17, s2
	s_cselect_b32 s22, s21, s7
.LBB84_7:
	s_load_b64 s[24:25], s[0:1], 0x78
	s_mul_i32 s3, s22, s3
	s_mul_hi_u32 s7, s22, s2
	s_mul_i32 s33, s22, s4
	s_add_i32 s3, s7, s3
	s_mul_i32 s7, s23, s2
	s_mul_i32 s2, s22, s2
	s_add_i32 s7, s3, s7
	s_sub_u32 s3, s30, s2
	s_subb_u32 s7, s31, s7
	s_mul_hi_u32 s30, s22, s4
	s_mul_i32 s31, s23, s4
	s_mul_hi_u32 s23, s3, s5
	s_mul_i32 s7, s7, s5
	s_mul_i32 s17, s3, s5
	s_mov_b32 s34, exec_lo
	v_cmpx_gt_i32_e64 s20, v0
	s_cbranch_execz .LBB84_46
; %bb.8:
	s_load_b32 s2, s[0:1], 0x8c
	s_ashr_i32 s37, s4, 31
	s_ashr_i32 s38, s5, 31
	s_mul_i32 s37, s22, s37
	s_mul_i32 s38, s3, s38
	s_add_i32 s37, s30, s37
	s_add_i32 s38, s23, s38
	s_ashr_i32 s21, s20, 31
	s_add_i32 s37, s37, s31
	s_add_i32 s38, s38, s7
	s_add_u32 s42, s33, s17
	s_addc_u32 s43, s37, s38
	s_add_u32 s37, s42, s18
	s_addc_u32 s38, s43, s19
	s_ashr_i32 s44, s6, 31
	s_add_u32 s37, s37, s6
	v_dual_mov_b32 v2, 0 :: v_dual_lshlrev_b32 v1, 2, v0
	s_addc_u32 s38, s38, s44
	s_lshl_b64 s[40:41], s[28:29], 2
	s_waitcnt lgkmcnt(0)
	s_and_b32 s28, s2, 0xffff
	s_add_u32 s2, s26, s40
	s_load_b32 s35, s[24:25], 0x0
	s_addc_u32 s26, s27, s41
	v_add_co_u32 v3, s2, s2, v1
	s_delay_alu instid0(VALU_DEP_1)
	v_add_co_ci_u32_e64 v4, null, s26, 0, s2
	s_mul_i32 s2, s9, s16
	s_mul_hi_u32 s9, s8, s16
	s_mul_i32 s26, s8, s16
	s_add_i32 s27, s9, s2
	v_lshlrev_b32_e32 v1, 1, v0
	s_lshl_b64 s[40:41], s[26:27], 1
	s_lshl_b32 s29, s28, 2
	s_lshl_b64 s[8:9], s[20:21], 2
	s_lshl_b64 s[26:27], s[20:21], 1
	s_add_u32 s2, s12, s40
	s_addc_u32 s12, s13, s41
	v_add_co_u32 v5, s2, s2, v1
	s_lshl_b32 s39, s28, 1
	v_add_co_ci_u32_e64 v6, null, s12, 0, s2
	s_add_u32 s2, s42, s20
	s_addc_u32 s12, s43, s21
	s_add_u32 s2, s2, s6
	s_addc_u32 s12, s12, s44
	s_add_u32 s21, s18, s2
	s_mov_b32 s36, 0
	s_addc_u32 s40, s19, s12
	s_mov_b64 s[12:13], 0
	s_branch .LBB84_10
.LBB84_9:                               ;   in Loop: Header=BB84_10 Depth=1
	s_or_b32 exec_lo, exec_lo, s2
	s_add_u32 s12, s12, s28
	v_add_co_u32 v3, vcc_lo, v3, s29
	v_add_nc_u32_e32 v1, s12, v0
	v_add_co_ci_u32_e32 v4, vcc_lo, 0, v4, vcc_lo
	v_add_co_u32 v5, vcc_lo, v5, s39
	v_add_co_ci_u32_e32 v6, vcc_lo, 0, v6, vcc_lo
	v_add_co_u32 v7, s2, s21, v0
	s_addc_u32 s13, s13, 0
	v_cmp_le_i32_e32 vcc_lo, s20, v1
	s_add_u32 s21, s21, s28
	v_add_co_ci_u32_e64 v8, null, s40, 0, s2
	s_addc_u32 s40, s40, 0
	s_add_u32 s37, s37, s28
	s_addc_u32 s38, s38, 0
	s_or_b32 s36, vcc_lo, s36
	global_store_b8 v[7:8], v9, off
	s_and_not1_b32 exec_lo, exec_lo, s36
	s_cbranch_execz .LBB84_46
.LBB84_10:                              ; =>This Inner Loop Header: Depth=1
	v_add_co_u32 v7, vcc_lo, v3, s8
	v_add_co_ci_u32_e32 v8, vcc_lo, s9, v4, vcc_lo
	v_add_co_u32 v13, vcc_lo, v5, s26
	s_clause 0x1
	global_load_b32 v1, v[3:4], off
	global_load_b32 v7, v[7:8], off
	v_add_co_ci_u32_e32 v14, vcc_lo, s27, v6, vcc_lo
	s_clause 0x1
	global_load_u16 v8, v[5:6], off
	global_load_u16 v9, v[13:14], off
	s_waitcnt vmcnt(3)
	v_bfe_u32 v10, v1, 16, 1
	s_waitcnt vmcnt(2)
	v_bfe_u32 v11, v7, 16, 1
	v_cmp_o_f32_e32 vcc_lo, v1, v1
	s_delay_alu instid0(VALU_DEP_3) | instskip(SKIP_3) | instid1(VALU_DEP_3)
	v_add3_u32 v10, v1, v10, 0x7fff
	s_waitcnt vmcnt(0)
	v_lshlrev_b32_e32 v9, 16, v9
	v_add3_u32 v11, v7, v11, 0x7fff
	v_and_b32_e32 v10, 0xffff0000, v10
	s_delay_alu instid0(VALU_DEP_1) | instskip(NEXT) | instid1(VALU_DEP_3)
	v_dual_cndmask_b32 v1, 0x7fc00000, v10 :: v_dual_lshlrev_b32 v8, 16, v8
	v_and_b32_e32 v11, 0xffff0000, v11
	v_cmp_o_f32_e32 vcc_lo, v7, v7
	s_delay_alu instid0(VALU_DEP_2) | instskip(NEXT) | instid1(VALU_DEP_1)
	v_dual_mul_f32 v10, v1, v8 :: v_dual_cndmask_b32 v7, 0x7fc00000, v11
	v_bfe_u32 v12, v10, 16, 1
	v_cmp_o_f32_e32 vcc_lo, v10, v10
	s_delay_alu instid0(VALU_DEP_2) | instskip(NEXT) | instid1(VALU_DEP_1)
	v_add3_u32 v12, v10, v12, 0x7fff
	v_and_b32_e32 v12, 0xffff0000, v12
	s_delay_alu instid0(VALU_DEP_1) | instskip(SKIP_2) | instid1(VALU_DEP_3)
	v_dual_cndmask_b32 v10, 0x7fc00000, v12 :: v_dual_mul_f32 v11, v7, v9
	v_mul_f32_e32 v1, v1, v9
	v_mul_f32_e32 v7, v7, v8
	v_bfe_u32 v15, v11, 16, 1
	v_cmp_o_f32_e32 vcc_lo, v11, v11
	s_delay_alu instid0(VALU_DEP_4) | instskip(SKIP_3) | instid1(VALU_DEP_4)
	v_bfe_u32 v9, v1, 16, 1
	v_cmp_o_f32_e64 s2, v1, v1
	v_bfe_u32 v17, v7, 16, 1
	v_add3_u32 v15, v11, v15, 0x7fff
	v_add3_u32 v9, v1, v9, 0x7fff
	s_delay_alu instid0(VALU_DEP_3) | instskip(NEXT) | instid1(VALU_DEP_3)
	v_add3_u32 v17, v7, v17, 0x7fff
	v_and_b32_e32 v15, 0xffff0000, v15
	s_delay_alu instid0(VALU_DEP_3) | instskip(NEXT) | instid1(VALU_DEP_3)
	v_and_b32_e32 v9, 0xffff0000, v9
	v_and_b32_e32 v17, 0xffff0000, v17
	s_delay_alu instid0(VALU_DEP_3) | instskip(NEXT) | instid1(VALU_DEP_3)
	v_cndmask_b32_e32 v11, 0x7fc00000, v15, vcc_lo
	v_cndmask_b32_e64 v1, 0x7fc00000, v9, s2
	s_mov_b32 s2, exec_lo
	s_delay_alu instid0(VALU_DEP_2) | instskip(NEXT) | instid1(VALU_DEP_1)
	v_sub_f32_e32 v10, v10, v11
	v_bfe_u32 v11, v10, 16, 1
	v_cmp_o_f32_e32 vcc_lo, v10, v10
	s_delay_alu instid0(VALU_DEP_2) | instskip(NEXT) | instid1(VALU_DEP_1)
	v_add3_u32 v11, v10, v11, 0x7fff
	v_lshrrev_b32_e32 v11, 16, v11
	s_delay_alu instid0(VALU_DEP_1) | instskip(NEXT) | instid1(VALU_DEP_1)
	v_cndmask_b32_e32 v10, 0x7fc0, v11, vcc_lo
	v_cvt_f32_f16_e32 v11, v10
	s_waitcnt lgkmcnt(0)
	s_delay_alu instid0(VALU_DEP_1) | instskip(NEXT) | instid1(VALU_DEP_1)
	v_div_scale_f32 v12, null, s35, s35, v11
	v_rcp_f32_e32 v15, v12
	s_waitcnt_depctr 0xfff
	v_fma_f32 v16, -v12, v15, 1.0
	s_delay_alu instid0(VALU_DEP_1) | instskip(SKIP_1) | instid1(VALU_DEP_1)
	v_fmac_f32_e32 v15, v16, v15
	v_div_scale_f32 v16, vcc_lo, v11, s35, v11
	v_mul_f32_e32 v8, v16, v15
	s_delay_alu instid0(VALU_DEP_1) | instskip(NEXT) | instid1(VALU_DEP_1)
	v_fma_f32 v18, -v12, v8, v16
	v_fmac_f32_e32 v8, v18, v15
	s_delay_alu instid0(VALU_DEP_1) | instskip(SKIP_1) | instid1(VALU_DEP_2)
	v_fma_f32 v12, -v12, v8, v16
	v_mov_b32_e32 v16, v2
	v_div_fmas_f32 v8, v12, v15, v8
	v_cmp_o_f32_e32 vcc_lo, v7, v7
	s_delay_alu instid0(VALU_DEP_2) | instskip(SKIP_1) | instid1(VALU_DEP_1)
	v_div_fixup_f32 v8, v8, s35, v11
	v_cndmask_b32_e32 v7, 0x7fc00000, v17, vcc_lo
	v_add_f32_e32 v1, v1, v7
	s_delay_alu instid0(VALU_DEP_3) | instskip(NEXT) | instid1(VALU_DEP_1)
	v_cvt_f16_f32_e32 v7, v8
	v_cvt_f32_f16_e32 v7, v7
	s_delay_alu instid0(VALU_DEP_1) | instskip(SKIP_1) | instid1(VALU_DEP_2)
	v_lshrrev_b32_e32 v9, 24, v7
	v_and_b32_e32 v15, 0x7f800000, v7
	v_and_b32_e32 v12, 0x80, v9
	v_bfe_u32 v8, v1, 16, 1
	v_cmp_o_f32_e32 vcc_lo, v1, v1
	s_delay_alu instid0(VALU_DEP_2) | instskip(SKIP_1) | instid1(VALU_DEP_2)
	v_add3_u32 v8, v1, v8, 0x7fff
	v_and_b32_e32 v1, 0x7fffff, v7
	v_lshrrev_b32_e32 v8, 16, v8
	s_delay_alu instid0(VALU_DEP_1)
	v_cndmask_b32_e32 v11, 0x7fc0, v8, vcc_lo
	v_or_b32_e32 v8, 0x7e, v12
	s_clause 0x1
	global_store_b16 v[5:6], v10, off
	global_store_b16 v[13:14], v11, off
	v_cmpx_ne_u64_e32 0x7f800000, v[15:16]
	s_xor_b32 s41, exec_lo, s2
	s_cbranch_execz .LBB84_26
; %bb.11:                               ;   in Loop: Header=BB84_10 Depth=1
	v_dual_mov_b32 v10, v2 :: v_dual_and_b32 v9, 0x7fffffff, v7
	s_mov_b32 s2, exec_lo
	s_delay_alu instid0(VALU_DEP_1)
	v_cmpx_gt_u64_e32 0x43e00001, v[9:10]
	s_xor_b32 s42, exec_lo, s2
	s_cbranch_execz .LBB84_25
; %bb.12:                               ;   in Loop: Header=BB84_10 Depth=1
	v_mov_b32_e32 v8, 0
	s_mov_b32 s43, exec_lo
	v_cmpx_ne_u32_e32 0, v7
	s_cbranch_execz .LBB84_24
; %bb.13:                               ;   in Loop: Header=BB84_10 Depth=1
	v_bfe_u32 v13, v7, 23, 8
	v_or_b32_e32 v9, 0x800000, v1
	s_delay_alu instid0(VALU_DEP_2) | instskip(SKIP_1) | instid1(VALU_DEP_2)
	v_sub_nc_u32_e32 v7, 0x79, v13
	v_cmp_gt_u32_e32 vcc_lo, 0x7a, v13
	v_cndmask_b32_e32 v7, 0, v7, vcc_lo
	v_cmp_eq_u32_e32 vcc_lo, 0, v13
	s_delay_alu instid0(VALU_DEP_2) | instskip(SKIP_1) | instid1(VALU_DEP_2)
	v_cndmask_b32_e64 v14, v7, 0x78, vcc_lo
	v_cndmask_b32_e32 v1, v9, v1, vcc_lo
	v_add_nc_u32_e32 v7, 20, v14
	v_add_nc_u32_e32 v9, 19, v14
	s_delay_alu instid0(VALU_DEP_2) | instskip(NEXT) | instid1(VALU_DEP_2)
	v_lshlrev_b64 v[7:8], v7, -1
	v_lshlrev_b64 v[9:10], v9, 1
	s_delay_alu instid0(VALU_DEP_2) | instskip(NEXT) | instid1(VALU_DEP_3)
	v_not_b32_e32 v8, v8
	v_not_b32_e32 v7, v7
	s_delay_alu instid0(VALU_DEP_2) | instskip(NEXT) | instid1(VALU_DEP_2)
	v_and_b32_e32 v16, 0, v8
	v_and_b32_e32 v15, v1, v7
	v_lshrrev_b64 v[7:8], v14, v[1:2]
	s_delay_alu instid0(VALU_DEP_2) | instskip(NEXT) | instid1(VALU_DEP_2)
	v_cmp_eq_u64_e64 s2, v[15:16], v[9:10]
	v_dual_mov_b32 v10, v8 :: v_dual_mov_b32 v9, v7
	s_delay_alu instid0(VALU_DEP_2)
	s_and_saveexec_b32 s44, s2
; %bb.14:                               ;   in Loop: Header=BB84_10 Depth=1
	v_bfe_u32 v1, v7, 20, 1
	s_delay_alu instid0(VALU_DEP_1) | instskip(NEXT) | instid1(VALU_DEP_1)
	v_add_co_u32 v1, s2, v7, v1
	v_add_co_u32 v9, s2, v1, -1
; %bb.15:                               ;   in Loop: Header=BB84_10 Depth=1
	s_or_b32 exec_lo, exec_lo, s44
	v_add_nc_u32_e32 v1, 0xffffff81, v13
	v_lshrrev_b32_e32 v10, 23, v7
	s_mov_b32 s2, exec_lo
	s_delay_alu instid0(VALU_DEP_2) | instskip(NEXT) | instid1(VALU_DEP_1)
	v_cndmask_b32_e64 v1, v1, 0xffffff82, vcc_lo
	v_add3_u32 v10, v14, v1, v10
	v_and_b32_e32 v1, 0xfffff, v9
	s_delay_alu instid0(VALU_DEP_2) | instskip(NEXT) | instid1(VALU_DEP_2)
	v_add_nc_u32_e32 v9, 6, v10
	v_add_co_u32 v7, vcc_lo, v1, v7
	v_add_co_ci_u32_e32 v8, vcc_lo, 0, v8, vcc_lo
                                        ; implicit-def: $vgpr1
	s_delay_alu instid0(VALU_DEP_3)
	v_cmpx_ne_u32_e32 0, v9
	s_xor_b32 s2, exec_lo, s2
; %bb.16:                               ;   in Loop: Header=BB84_10 Depth=1
	s_delay_alu instid0(VALU_DEP_2) | instskip(SKIP_1) | instid1(VALU_DEP_1)
	v_cmp_lt_u64_e32 vcc_lo, 0xffffff, v[7:8]
	v_add_nc_u32_e32 v1, 7, v10
	v_cndmask_b32_e32 v1, v9, v1, vcc_lo
	v_cndmask_b32_e64 v9, 0, 1, vcc_lo
	s_delay_alu instid0(VALU_DEP_1)
	v_lshrrev_b64 v[7:8], v9, v[7:8]
; %bb.17:                               ;   in Loop: Header=BB84_10 Depth=1
	s_and_not1_saveexec_b32 s2, s2
; %bb.18:                               ;   in Loop: Header=BB84_10 Depth=1
	s_delay_alu instid0(VALU_DEP_1)
	v_bfe_u32 v1, v7, 23, 1
; %bb.19:                               ;   in Loop: Header=BB84_10 Depth=1
	s_or_b32 exec_lo, exec_lo, s2
	s_delay_alu instid0(VALU_DEP_2) | instskip(NEXT) | instid1(VALU_DEP_2)
	v_lshrrev_b64 v[7:8], 20, v[7:8]
	v_cmp_gt_i32_e32 vcc_lo, 16, v1
	v_cmp_ne_u32_e64 s2, 0, v1
	s_delay_alu instid0(VALU_DEP_3) | instskip(NEXT) | instid1(VALU_DEP_1)
	v_dual_cndmask_b32 v8, 0, v8 :: v_dual_cndmask_b32 v7, 7, v7
	v_cmp_ne_u64_e32 vcc_lo, 0, v[7:8]
                                        ; implicit-def: $vgpr8
	s_delay_alu instid0(VALU_DEP_3) | instskip(NEXT) | instid1(SALU_CYCLE_1)
	s_or_b32 s2, s2, vcc_lo
	s_and_saveexec_b32 s44, s2
	s_delay_alu instid0(SALU_CYCLE_1)
	s_xor_b32 s2, exec_lo, s44
; %bb.20:                               ;   in Loop: Header=BB84_10 Depth=1
	v_min_i32_e32 v1, 15, v1
	s_delay_alu instid0(VALU_DEP_1) | instskip(NEXT) | instid1(VALU_DEP_1)
	v_lshl_or_b32 v1, v1, 3, v12
                                        ; implicit-def: $vgpr12
	v_and_or_b32 v8, v7, 7, v1
; %bb.21:                               ;   in Loop: Header=BB84_10 Depth=1
	s_and_not1_saveexec_b32 s2, s2
; %bb.22:                               ;   in Loop: Header=BB84_10 Depth=1
	v_mov_b32_e32 v8, v12
; %bb.23:                               ;   in Loop: Header=BB84_10 Depth=1
	s_or_b32 exec_lo, exec_lo, s2
.LBB84_24:                              ;   in Loop: Header=BB84_10 Depth=1
	s_delay_alu instid0(SALU_CYCLE_1)
	s_or_b32 exec_lo, exec_lo, s43
.LBB84_25:                              ;   in Loop: Header=BB84_10 Depth=1
	s_and_not1_saveexec_b32 s2, s42
	s_delay_alu instid0(SALU_CYCLE_1)
	s_or_b32 exec_lo, exec_lo, s2
                                        ; implicit-def: $vgpr9
.LBB84_26:                              ;   in Loop: Header=BB84_10 Depth=1
	s_and_not1_saveexec_b32 s2, s41
; %bb.27:                               ;   in Loop: Header=BB84_10 Depth=1
	v_cmp_eq_u64_e32 vcc_lo, 0, v[1:2]
	v_or_b32_e32 v7, 0x7f, v9
	s_delay_alu instid0(VALU_DEP_1)
	v_cndmask_b32_e32 v8, v7, v8, vcc_lo
; %bb.28:                               ;   in Loop: Header=BB84_10 Depth=1
	s_or_b32 exec_lo, exec_lo, s2
	v_cvt_f32_f16_e32 v1, v11
	v_add_co_u32 v14, s2, s37, v0
	s_delay_alu instid0(VALU_DEP_1) | instskip(NEXT) | instid1(VALU_DEP_3)
	v_add_co_ci_u32_e64 v15, null, s38, 0, s2
	v_div_scale_f32 v7, null, s35, s35, v1
	v_div_scale_f32 v11, vcc_lo, v1, s35, v1
	global_store_b8 v[14:15], v8, off
	v_rcp_f32_e32 v9, v7
	s_mov_b32 s2, exec_lo
	v_mov_b32_e32 v13, v2
	s_waitcnt_depctr 0xfff
	v_fma_f32 v10, -v7, v9, 1.0
	s_delay_alu instid0(VALU_DEP_1) | instskip(NEXT) | instid1(VALU_DEP_1)
	v_fmac_f32_e32 v9, v10, v9
	v_mul_f32_e32 v10, v11, v9
	s_delay_alu instid0(VALU_DEP_1) | instskip(NEXT) | instid1(VALU_DEP_1)
	v_fma_f32 v12, -v7, v10, v11
	v_fmac_f32_e32 v10, v12, v9
	s_delay_alu instid0(VALU_DEP_1) | instskip(NEXT) | instid1(VALU_DEP_1)
	v_fma_f32 v7, -v7, v10, v11
	v_div_fmas_f32 v7, v7, v9, v10
	s_delay_alu instid0(VALU_DEP_1) | instskip(NEXT) | instid1(VALU_DEP_1)
	v_div_fixup_f32 v1, v7, s35, v1
	v_cvt_f16_f32_e32 v1, v1
	s_delay_alu instid0(VALU_DEP_1) | instskip(NEXT) | instid1(VALU_DEP_1)
	v_cvt_f32_f16_e32 v7, v1
	v_and_b32_e32 v1, 0x7fffff, v7
	v_lshrrev_b32_e32 v10, 24, v7
	v_and_b32_e32 v12, 0x7f800000, v7
	s_delay_alu instid0(VALU_DEP_2) | instskip(NEXT) | instid1(VALU_DEP_1)
	v_and_b32_e32 v11, 0x80, v10
	v_or_b32_e32 v9, 0x7e, v11
	s_delay_alu instid0(VALU_DEP_3)
	v_cmpx_ne_u64_e32 0x7f800000, v[12:13]
	s_xor_b32 s41, exec_lo, s2
	s_cbranch_execz .LBB84_44
; %bb.29:                               ;   in Loop: Header=BB84_10 Depth=1
	v_dual_mov_b32 v13, v2 :: v_dual_and_b32 v12, 0x7fffffff, v7
	s_mov_b32 s2, exec_lo
	s_delay_alu instid0(VALU_DEP_1)
	v_cmpx_gt_u64_e32 0x43e00001, v[12:13]
	s_xor_b32 s42, exec_lo, s2
	s_cbranch_execz .LBB84_43
; %bb.30:                               ;   in Loop: Header=BB84_10 Depth=1
	v_mov_b32_e32 v9, 0
	s_mov_b32 s43, exec_lo
	v_cmpx_ne_u32_e32 0, v7
	s_cbranch_execz .LBB84_42
; %bb.31:                               ;   in Loop: Header=BB84_10 Depth=1
	v_bfe_u32 v12, v7, 23, 8
	v_or_b32_e32 v9, 0x800000, v1
	s_delay_alu instid0(VALU_DEP_2) | instskip(SKIP_1) | instid1(VALU_DEP_2)
	v_sub_nc_u32_e32 v7, 0x79, v12
	v_cmp_gt_u32_e32 vcc_lo, 0x7a, v12
	v_cndmask_b32_e32 v7, 0, v7, vcc_lo
	v_cmp_eq_u32_e32 vcc_lo, 0, v12
	s_delay_alu instid0(VALU_DEP_2) | instskip(SKIP_1) | instid1(VALU_DEP_2)
	v_cndmask_b32_e64 v13, v7, 0x78, vcc_lo
	v_cndmask_b32_e32 v1, v9, v1, vcc_lo
	v_add_nc_u32_e32 v7, 20, v13
	v_add_nc_u32_e32 v9, 19, v13
	s_delay_alu instid0(VALU_DEP_2) | instskip(NEXT) | instid1(VALU_DEP_2)
	v_lshlrev_b64 v[7:8], v7, -1
	v_lshlrev_b64 v[9:10], v9, 1
	s_delay_alu instid0(VALU_DEP_2) | instskip(NEXT) | instid1(VALU_DEP_3)
	v_not_b32_e32 v8, v8
	v_not_b32_e32 v7, v7
	s_delay_alu instid0(VALU_DEP_2) | instskip(NEXT) | instid1(VALU_DEP_2)
	v_and_b32_e32 v15, 0, v8
	v_and_b32_e32 v14, v1, v7
	v_lshrrev_b64 v[7:8], v13, v[1:2]
	s_delay_alu instid0(VALU_DEP_2) | instskip(NEXT) | instid1(VALU_DEP_2)
	v_cmp_eq_u64_e64 s2, v[14:15], v[9:10]
	v_dual_mov_b32 v10, v8 :: v_dual_mov_b32 v9, v7
	s_delay_alu instid0(VALU_DEP_2)
	s_and_saveexec_b32 s44, s2
; %bb.32:                               ;   in Loop: Header=BB84_10 Depth=1
	v_bfe_u32 v1, v7, 20, 1
	s_delay_alu instid0(VALU_DEP_1) | instskip(NEXT) | instid1(VALU_DEP_1)
	v_add_co_u32 v1, s2, v7, v1
	v_add_co_u32 v9, s2, v1, -1
; %bb.33:                               ;   in Loop: Header=BB84_10 Depth=1
	s_or_b32 exec_lo, exec_lo, s44
	v_add_nc_u32_e32 v1, 0xffffff81, v12
	v_lshrrev_b32_e32 v10, 23, v7
	s_mov_b32 s2, exec_lo
	s_delay_alu instid0(VALU_DEP_2) | instskip(NEXT) | instid1(VALU_DEP_1)
	v_cndmask_b32_e64 v1, v1, 0xffffff82, vcc_lo
	v_add3_u32 v10, v13, v1, v10
	v_and_b32_e32 v1, 0xfffff, v9
	s_delay_alu instid0(VALU_DEP_2) | instskip(NEXT) | instid1(VALU_DEP_2)
	v_add_nc_u32_e32 v9, 6, v10
	v_add_co_u32 v7, vcc_lo, v1, v7
	v_add_co_ci_u32_e32 v8, vcc_lo, 0, v8, vcc_lo
                                        ; implicit-def: $vgpr1
	s_delay_alu instid0(VALU_DEP_3)
	v_cmpx_ne_u32_e32 0, v9
	s_xor_b32 s2, exec_lo, s2
; %bb.34:                               ;   in Loop: Header=BB84_10 Depth=1
	s_delay_alu instid0(VALU_DEP_2) | instskip(SKIP_1) | instid1(VALU_DEP_1)
	v_cmp_lt_u64_e32 vcc_lo, 0xffffff, v[7:8]
	v_add_nc_u32_e32 v1, 7, v10
	v_cndmask_b32_e32 v1, v9, v1, vcc_lo
	v_cndmask_b32_e64 v9, 0, 1, vcc_lo
	s_delay_alu instid0(VALU_DEP_1)
	v_lshrrev_b64 v[7:8], v9, v[7:8]
; %bb.35:                               ;   in Loop: Header=BB84_10 Depth=1
	s_and_not1_saveexec_b32 s2, s2
; %bb.36:                               ;   in Loop: Header=BB84_10 Depth=1
	s_delay_alu instid0(VALU_DEP_1)
	v_bfe_u32 v1, v7, 23, 1
; %bb.37:                               ;   in Loop: Header=BB84_10 Depth=1
	s_or_b32 exec_lo, exec_lo, s2
	s_delay_alu instid0(VALU_DEP_2) | instskip(NEXT) | instid1(VALU_DEP_2)
	v_lshrrev_b64 v[7:8], 20, v[7:8]
	v_cmp_gt_i32_e32 vcc_lo, 16, v1
	v_cmp_ne_u32_e64 s2, 0, v1
                                        ; implicit-def: $vgpr9
	s_delay_alu instid0(VALU_DEP_3) | instskip(NEXT) | instid1(VALU_DEP_1)
	v_dual_cndmask_b32 v8, 0, v8 :: v_dual_cndmask_b32 v7, 7, v7
	v_cmp_ne_u64_e32 vcc_lo, 0, v[7:8]
	s_delay_alu instid0(VALU_DEP_3) | instskip(NEXT) | instid1(SALU_CYCLE_1)
	s_or_b32 s2, s2, vcc_lo
	s_and_saveexec_b32 s44, s2
	s_delay_alu instid0(SALU_CYCLE_1)
	s_xor_b32 s2, exec_lo, s44
; %bb.38:                               ;   in Loop: Header=BB84_10 Depth=1
	v_min_i32_e32 v1, 15, v1
	s_delay_alu instid0(VALU_DEP_1) | instskip(NEXT) | instid1(VALU_DEP_1)
	v_lshl_or_b32 v1, v1, 3, v11
                                        ; implicit-def: $vgpr11
	v_and_or_b32 v9, v7, 7, v1
; %bb.39:                               ;   in Loop: Header=BB84_10 Depth=1
	s_and_not1_saveexec_b32 s2, s2
; %bb.40:                               ;   in Loop: Header=BB84_10 Depth=1
	v_mov_b32_e32 v9, v11
; %bb.41:                               ;   in Loop: Header=BB84_10 Depth=1
	s_or_b32 exec_lo, exec_lo, s2
.LBB84_42:                              ;   in Loop: Header=BB84_10 Depth=1
	s_delay_alu instid0(SALU_CYCLE_1)
	s_or_b32 exec_lo, exec_lo, s43
.LBB84_43:                              ;   in Loop: Header=BB84_10 Depth=1
	s_and_not1_saveexec_b32 s2, s42
	s_delay_alu instid0(SALU_CYCLE_1)
	s_or_b32 exec_lo, exec_lo, s2
                                        ; implicit-def: $vgpr10
.LBB84_44:                              ;   in Loop: Header=BB84_10 Depth=1
	s_and_not1_saveexec_b32 s2, s41
	s_cbranch_execz .LBB84_9
; %bb.45:                               ;   in Loop: Header=BB84_10 Depth=1
	v_cmp_eq_u64_e32 vcc_lo, 0, v[1:2]
	v_or_b32_e32 v7, 0x7f, v10
	s_delay_alu instid0(VALU_DEP_1)
	v_cndmask_b32_e32 v9, v7, v9, vcc_lo
	s_branch .LBB84_9
.LBB84_46:
	s_or_b32 exec_lo, exec_lo, s34
	s_delay_alu instid0(SALU_CYCLE_1)
	s_mov_b32 s2, exec_lo
	v_cmpx_gt_i32_e64 s6, v0
	s_cbranch_execz .LBB84_67
; %bb.47:
	s_mul_i32 s2, s16, s11
	s_mul_hi_u32 s9, s16, s10
	s_mul_i32 s8, s16, s10
	s_add_i32 s9, s9, s2
	s_load_b32 s0, s[0:1], 0x8c
	s_lshl_b64 s[8:9], s[8:9], 1
	v_mov_b32_e32 v3, 0
	s_add_u32 s1, s14, s8
	s_addc_u32 s2, s15, s9
	s_ashr_i32 s8, s4, 31
	s_waitcnt lgkmcnt(0)
	s_load_b32 s4, s[24:25], 0x0
	s_mul_i32 s8, s22, s8
	s_delay_alu instid0(SALU_CYCLE_1) | instskip(NEXT) | instid1(SALU_CYCLE_1)
	s_add_i32 s8, s30, s8
	s_add_i32 s8, s8, s31
	s_add_u32 s9, s18, s33
	s_addc_u32 s8, s19, s8
	s_ashr_i32 s5, s5, 31
	s_delay_alu instid0(SALU_CYCLE_1) | instskip(NEXT) | instid1(SALU_CYCLE_1)
	s_mul_i32 s3, s3, s5
	s_add_i32 s3, s23, s3
	s_delay_alu instid0(SALU_CYCLE_1)
	s_add_i32 s5, s3, s7
	s_add_u32 s3, s9, s17
	s_addc_u32 s5, s8, s5
	s_and_b32 s7, s0, 0xffff
	s_mov_b32 s8, 0
	s_branch .LBB84_49
.LBB84_48:                              ;   in Loop: Header=BB84_49 Depth=1
	s_or_b32 exec_lo, exec_lo, s0
	v_add_co_u32 v6, vcc_lo, s3, v0
	v_add_nc_u32_e32 v0, s7, v0
	v_add_co_ci_u32_e32 v7, vcc_lo, s5, v1, vcc_lo
	s_delay_alu instid0(VALU_DEP_2) | instskip(SKIP_2) | instid1(SALU_CYCLE_1)
	v_cmp_le_i32_e32 vcc_lo, s6, v0
	global_store_b8 v[6:7], v5, off
	s_or_b32 s8, vcc_lo, s8
	s_and_not1_b32 exec_lo, exec_lo, s8
	s_cbranch_execz .LBB84_67
.LBB84_49:                              ; =>This Inner Loop Header: Depth=1
	v_ashrrev_i32_e32 v1, 31, v0
	s_mov_b32 s0, exec_lo
	v_mov_b32_e32 v10, v3
	s_delay_alu instid0(VALU_DEP_2) | instskip(NEXT) | instid1(VALU_DEP_1)
	v_lshlrev_b64 v[4:5], 1, v[0:1]
	v_add_co_u32 v4, vcc_lo, s1, v4
	s_delay_alu instid0(VALU_DEP_2) | instskip(SKIP_4) | instid1(VALU_DEP_1)
	v_add_co_ci_u32_e32 v5, vcc_lo, s2, v5, vcc_lo
	global_load_u16 v2, v[4:5], off
	s_waitcnt vmcnt(0)
	v_cvt_f32_f16_e32 v2, v2
	s_waitcnt lgkmcnt(0)
	v_div_scale_f32 v4, null, s4, s4, v2
	s_delay_alu instid0(VALU_DEP_1) | instskip(SKIP_2) | instid1(VALU_DEP_1)
	v_rcp_f32_e32 v5, v4
	s_waitcnt_depctr 0xfff
	v_fma_f32 v6, -v4, v5, 1.0
	v_fmac_f32_e32 v5, v6, v5
	v_div_scale_f32 v6, vcc_lo, v2, s4, v2
	s_delay_alu instid0(VALU_DEP_1) | instskip(NEXT) | instid1(VALU_DEP_1)
	v_mul_f32_e32 v7, v6, v5
	v_fma_f32 v8, -v4, v7, v6
	s_delay_alu instid0(VALU_DEP_1) | instskip(NEXT) | instid1(VALU_DEP_1)
	v_fmac_f32_e32 v7, v8, v5
	v_fma_f32 v4, -v4, v7, v6
	s_delay_alu instid0(VALU_DEP_1) | instskip(NEXT) | instid1(VALU_DEP_1)
	v_div_fmas_f32 v4, v4, v5, v7
	v_div_fixup_f32 v2, v4, s4, v2
	s_delay_alu instid0(VALU_DEP_1) | instskip(NEXT) | instid1(VALU_DEP_1)
	v_cvt_f16_f32_e32 v2, v2
	v_cvt_f32_f16_e32 v4, v2
	s_delay_alu instid0(VALU_DEP_1) | instskip(SKIP_2) | instid1(VALU_DEP_2)
	v_and_b32_e32 v2, 0x7fffff, v4
	v_lshrrev_b32_e32 v6, 24, v4
	v_and_b32_e32 v9, 0x7f800000, v4
	v_and_b32_e32 v8, 0x80, v6
	s_delay_alu instid0(VALU_DEP_1) | instskip(NEXT) | instid1(VALU_DEP_3)
	v_or_b32_e32 v5, 0x7e, v8
	v_cmpx_ne_u64_e32 0x7f800000, v[9:10]
	s_xor_b32 s9, exec_lo, s0
	s_cbranch_execz .LBB84_65
; %bb.50:                               ;   in Loop: Header=BB84_49 Depth=1
	v_dual_mov_b32 v7, v3 :: v_dual_and_b32 v6, 0x7fffffff, v4
	s_mov_b32 s0, exec_lo
	s_delay_alu instid0(VALU_DEP_1)
	v_cmpx_gt_u64_e32 0x43e00001, v[6:7]
	s_xor_b32 s10, exec_lo, s0
	s_cbranch_execz .LBB84_64
; %bb.51:                               ;   in Loop: Header=BB84_49 Depth=1
	v_mov_b32_e32 v5, 0
	s_mov_b32 s11, exec_lo
	v_cmpx_ne_u32_e32 0, v4
	s_cbranch_execz .LBB84_63
; %bb.52:                               ;   in Loop: Header=BB84_49 Depth=1
	v_bfe_u32 v9, v4, 23, 8
	v_or_b32_e32 v6, 0x800000, v2
	s_delay_alu instid0(VALU_DEP_2) | instskip(SKIP_1) | instid1(VALU_DEP_2)
	v_sub_nc_u32_e32 v4, 0x79, v9
	v_cmp_gt_u32_e32 vcc_lo, 0x7a, v9
	v_cndmask_b32_e32 v4, 0, v4, vcc_lo
	v_cmp_eq_u32_e32 vcc_lo, 0, v9
	s_delay_alu instid0(VALU_DEP_2) | instskip(SKIP_1) | instid1(VALU_DEP_2)
	v_cndmask_b32_e64 v10, v4, 0x78, vcc_lo
	v_cndmask_b32_e32 v2, v6, v2, vcc_lo
	v_add_nc_u32_e32 v4, 20, v10
	v_add_nc_u32_e32 v6, 19, v10
	s_delay_alu instid0(VALU_DEP_2) | instskip(NEXT) | instid1(VALU_DEP_2)
	v_lshlrev_b64 v[4:5], v4, -1
	v_lshlrev_b64 v[6:7], v6, 1
	s_delay_alu instid0(VALU_DEP_2) | instskip(NEXT) | instid1(VALU_DEP_3)
	v_not_b32_e32 v5, v5
	v_not_b32_e32 v4, v4
	s_delay_alu instid0(VALU_DEP_2) | instskip(NEXT) | instid1(VALU_DEP_2)
	v_and_b32_e32 v12, 0, v5
	v_and_b32_e32 v11, v2, v4
	v_lshrrev_b64 v[4:5], v10, v[2:3]
	s_delay_alu instid0(VALU_DEP_2) | instskip(NEXT) | instid1(VALU_DEP_2)
	v_cmp_eq_u64_e64 s0, v[11:12], v[6:7]
	v_dual_mov_b32 v7, v5 :: v_dual_mov_b32 v6, v4
	s_delay_alu instid0(VALU_DEP_2)
	s_and_saveexec_b32 s12, s0
; %bb.53:                               ;   in Loop: Header=BB84_49 Depth=1
	v_bfe_u32 v2, v4, 20, 1
	s_delay_alu instid0(VALU_DEP_1) | instskip(NEXT) | instid1(VALU_DEP_1)
	v_add_co_u32 v2, s0, v4, v2
	v_add_co_u32 v6, s0, v2, -1
; %bb.54:                               ;   in Loop: Header=BB84_49 Depth=1
	s_or_b32 exec_lo, exec_lo, s12
	v_add_nc_u32_e32 v2, 0xffffff81, v9
	v_lshrrev_b32_e32 v7, 23, v4
	s_mov_b32 s0, exec_lo
	s_delay_alu instid0(VALU_DEP_2) | instskip(NEXT) | instid1(VALU_DEP_1)
	v_cndmask_b32_e64 v2, v2, 0xffffff82, vcc_lo
	v_add3_u32 v7, v10, v2, v7
	v_and_b32_e32 v2, 0xfffff, v6
	s_delay_alu instid0(VALU_DEP_2) | instskip(NEXT) | instid1(VALU_DEP_2)
	v_add_nc_u32_e32 v6, 6, v7
	v_add_co_u32 v4, vcc_lo, v2, v4
	v_add_co_ci_u32_e32 v5, vcc_lo, 0, v5, vcc_lo
                                        ; implicit-def: $vgpr2
	s_delay_alu instid0(VALU_DEP_3)
	v_cmpx_ne_u32_e32 0, v6
	s_xor_b32 s0, exec_lo, s0
; %bb.55:                               ;   in Loop: Header=BB84_49 Depth=1
	s_delay_alu instid0(VALU_DEP_2) | instskip(SKIP_1) | instid1(VALU_DEP_1)
	v_cmp_lt_u64_e32 vcc_lo, 0xffffff, v[4:5]
	v_add_nc_u32_e32 v2, 7, v7
	v_cndmask_b32_e32 v2, v6, v2, vcc_lo
	v_cndmask_b32_e64 v6, 0, 1, vcc_lo
	s_delay_alu instid0(VALU_DEP_1)
	v_lshrrev_b64 v[4:5], v6, v[4:5]
; %bb.56:                               ;   in Loop: Header=BB84_49 Depth=1
	s_and_not1_saveexec_b32 s0, s0
; %bb.57:                               ;   in Loop: Header=BB84_49 Depth=1
	s_delay_alu instid0(VALU_DEP_1)
	v_bfe_u32 v2, v4, 23, 1
; %bb.58:                               ;   in Loop: Header=BB84_49 Depth=1
	s_or_b32 exec_lo, exec_lo, s0
	s_delay_alu instid0(VALU_DEP_2) | instskip(NEXT) | instid1(VALU_DEP_2)
	v_lshrrev_b64 v[4:5], 20, v[4:5]
	v_cmp_gt_i32_e32 vcc_lo, 16, v2
	v_cmp_ne_u32_e64 s0, 0, v2
	s_delay_alu instid0(VALU_DEP_3) | instskip(NEXT) | instid1(VALU_DEP_1)
	v_dual_cndmask_b32 v5, 0, v5 :: v_dual_cndmask_b32 v4, 7, v4
	v_cmp_ne_u64_e32 vcc_lo, 0, v[4:5]
                                        ; implicit-def: $vgpr5
	s_delay_alu instid0(VALU_DEP_3) | instskip(NEXT) | instid1(SALU_CYCLE_1)
	s_or_b32 s0, s0, vcc_lo
	s_and_saveexec_b32 s12, s0
	s_delay_alu instid0(SALU_CYCLE_1)
	s_xor_b32 s0, exec_lo, s12
; %bb.59:                               ;   in Loop: Header=BB84_49 Depth=1
	v_min_i32_e32 v2, 15, v2
	s_delay_alu instid0(VALU_DEP_1) | instskip(NEXT) | instid1(VALU_DEP_1)
	v_lshl_or_b32 v2, v2, 3, v8
                                        ; implicit-def: $vgpr8
	v_and_or_b32 v5, v4, 7, v2
; %bb.60:                               ;   in Loop: Header=BB84_49 Depth=1
	s_and_not1_saveexec_b32 s0, s0
; %bb.61:                               ;   in Loop: Header=BB84_49 Depth=1
	v_mov_b32_e32 v5, v8
; %bb.62:                               ;   in Loop: Header=BB84_49 Depth=1
	s_or_b32 exec_lo, exec_lo, s0
.LBB84_63:                              ;   in Loop: Header=BB84_49 Depth=1
	s_delay_alu instid0(SALU_CYCLE_1)
	s_or_b32 exec_lo, exec_lo, s11
.LBB84_64:                              ;   in Loop: Header=BB84_49 Depth=1
	s_and_not1_saveexec_b32 s0, s10
	s_delay_alu instid0(SALU_CYCLE_1)
	s_or_b32 exec_lo, exec_lo, s0
                                        ; implicit-def: $vgpr6
.LBB84_65:                              ;   in Loop: Header=BB84_49 Depth=1
	s_and_not1_saveexec_b32 s0, s9
	s_cbranch_execz .LBB84_48
; %bb.66:                               ;   in Loop: Header=BB84_49 Depth=1
	v_cmp_eq_u64_e32 vcc_lo, 0, v[2:3]
	v_or_b32_e32 v4, 0x7f, v6
	s_delay_alu instid0(VALU_DEP_1)
	v_cndmask_b32_e32 v5, v4, v5, vcc_lo
	s_branch .LBB84_48
.LBB84_67:
	s_nop 0
	s_sendmsg sendmsg(MSG_DEALLOC_VGPRS)
	s_endpgm
.LBB84_68:
                                        ; implicit-def: $sgpr22_sgpr23
	s_branch .LBB84_6
	.section	.rodata,"a",@progbits
	.p2align	6, 0x0
	.amdhsa_kernel _ZN4vllm38concat_and_cache_mla_rope_fused_kernelIN3c108BFloat16EfLb1EthLNS_18Fp8KVCacheDataTypeE1EEEvPKlPT_S7_PKS6_PKT0_illlliPT3_S5_iiiiPKf
		.amdhsa_group_segment_fixed_size 0
		.amdhsa_private_segment_fixed_size 0
		.amdhsa_kernarg_size 384
		.amdhsa_user_sgpr_count 15
		.amdhsa_user_sgpr_dispatch_ptr 0
		.amdhsa_user_sgpr_queue_ptr 0
		.amdhsa_user_sgpr_kernarg_segment_ptr 1
		.amdhsa_user_sgpr_dispatch_id 0
		.amdhsa_user_sgpr_private_segment_size 0
		.amdhsa_wavefront_size32 1
		.amdhsa_uses_dynamic_stack 0
		.amdhsa_enable_private_segment 0
		.amdhsa_system_sgpr_workgroup_id_x 1
		.amdhsa_system_sgpr_workgroup_id_y 0
		.amdhsa_system_sgpr_workgroup_id_z 0
		.amdhsa_system_sgpr_workgroup_info 0
		.amdhsa_system_vgpr_workitem_id 0
		.amdhsa_next_free_vgpr 19
		.amdhsa_next_free_sgpr 45
		.amdhsa_reserve_vcc 1
		.amdhsa_float_round_mode_32 0
		.amdhsa_float_round_mode_16_64 0
		.amdhsa_float_denorm_mode_32 3
		.amdhsa_float_denorm_mode_16_64 3
		.amdhsa_dx10_clamp 1
		.amdhsa_ieee_mode 1
		.amdhsa_fp16_overflow 0
		.amdhsa_workgroup_processor_mode 1
		.amdhsa_memory_ordered 1
		.amdhsa_forward_progress 0
		.amdhsa_shared_vgpr_count 0
		.amdhsa_exception_fp_ieee_invalid_op 0
		.amdhsa_exception_fp_denorm_src 0
		.amdhsa_exception_fp_ieee_div_zero 0
		.amdhsa_exception_fp_ieee_overflow 0
		.amdhsa_exception_fp_ieee_underflow 0
		.amdhsa_exception_fp_ieee_inexact 0
		.amdhsa_exception_int_div_zero 0
	.end_amdhsa_kernel
	.section	.text._ZN4vllm38concat_and_cache_mla_rope_fused_kernelIN3c108BFloat16EfLb1EthLNS_18Fp8KVCacheDataTypeE1EEEvPKlPT_S7_PKS6_PKT0_illlliPT3_S5_iiiiPKf,"axG",@progbits,_ZN4vllm38concat_and_cache_mla_rope_fused_kernelIN3c108BFloat16EfLb1EthLNS_18Fp8KVCacheDataTypeE1EEEvPKlPT_S7_PKS6_PKT0_illlliPT3_S5_iiiiPKf,comdat
.Lfunc_end84:
	.size	_ZN4vllm38concat_and_cache_mla_rope_fused_kernelIN3c108BFloat16EfLb1EthLNS_18Fp8KVCacheDataTypeE1EEEvPKlPT_S7_PKS6_PKT0_illlliPT3_S5_iiiiPKf, .Lfunc_end84-_ZN4vllm38concat_and_cache_mla_rope_fused_kernelIN3c108BFloat16EfLb1EthLNS_18Fp8KVCacheDataTypeE1EEEvPKlPT_S7_PKS6_PKT0_illlliPT3_S5_iiiiPKf
                                        ; -- End function
	.section	.AMDGPU.csdata,"",@progbits
; Kernel info:
; codeLenInByte = 5232
; NumSgprs: 47
; NumVgprs: 19
; ScratchSize: 0
; MemoryBound: 0
; FloatMode: 240
; IeeeMode: 1
; LDSByteSize: 0 bytes/workgroup (compile time only)
; SGPRBlocks: 5
; VGPRBlocks: 2
; NumSGPRsForWavesPerEU: 47
; NumVGPRsForWavesPerEU: 19
; Occupancy: 16
; WaveLimiterHint : 1
; COMPUTE_PGM_RSRC2:SCRATCH_EN: 0
; COMPUTE_PGM_RSRC2:USER_SGPR: 15
; COMPUTE_PGM_RSRC2:TRAP_HANDLER: 0
; COMPUTE_PGM_RSRC2:TGID_X_EN: 1
; COMPUTE_PGM_RSRC2:TGID_Y_EN: 0
; COMPUTE_PGM_RSRC2:TGID_Z_EN: 0
; COMPUTE_PGM_RSRC2:TIDIG_COMP_CNT: 0
	.section	.text._ZN4vllm38concat_and_cache_mla_rope_fused_kernelIN3c108BFloat16EfLb0EthLNS_18Fp8KVCacheDataTypeE1EEEvPKlPT_S7_PKS6_PKT0_illlliPT3_S5_iiiiPKf,"axG",@progbits,_ZN4vllm38concat_and_cache_mla_rope_fused_kernelIN3c108BFloat16EfLb0EthLNS_18Fp8KVCacheDataTypeE1EEEvPKlPT_S7_PKS6_PKT0_illlliPT3_S5_iiiiPKf,comdat
	.protected	_ZN4vllm38concat_and_cache_mla_rope_fused_kernelIN3c108BFloat16EfLb0EthLNS_18Fp8KVCacheDataTypeE1EEEvPKlPT_S7_PKS6_PKT0_illlliPT3_S5_iiiiPKf ; -- Begin function _ZN4vllm38concat_and_cache_mla_rope_fused_kernelIN3c108BFloat16EfLb0EthLNS_18Fp8KVCacheDataTypeE1EEEvPKlPT_S7_PKS6_PKT0_illlliPT3_S5_iiiiPKf
	.globl	_ZN4vllm38concat_and_cache_mla_rope_fused_kernelIN3c108BFloat16EfLb0EthLNS_18Fp8KVCacheDataTypeE1EEEvPKlPT_S7_PKS6_PKT0_illlliPT3_S5_iiiiPKf
	.p2align	8
	.type	_ZN4vllm38concat_and_cache_mla_rope_fused_kernelIN3c108BFloat16EfLb0EthLNS_18Fp8KVCacheDataTypeE1EEEvPKlPT_S7_PKS6_PKT0_illlliPT3_S5_iiiiPKf,@function
_ZN4vllm38concat_and_cache_mla_rope_fused_kernelIN3c108BFloat16EfLb0EthLNS_18Fp8KVCacheDataTypeE1EEEvPKlPT_S7_PKS6_PKT0_illlliPT3_S5_iiiiPKf: ; @_ZN4vllm38concat_and_cache_mla_rope_fused_kernelIN3c108BFloat16EfLb0EthLNS_18Fp8KVCacheDataTypeE1EEEvPKlPT_S7_PKS6_PKT0_illlliPT3_S5_iiiiPKf
; %bb.0:
	s_load_b64 s[4:5], s[0:1], 0x60
	s_mov_b32 s16, s15
	s_mov_b32 s17, 0
	s_delay_alu instid0(SALU_CYCLE_1)
	s_lshl_b64 s[2:3], s[16:17], 3
	s_waitcnt lgkmcnt(0)
	s_add_u32 s4, s4, s2
	s_addc_u32 s5, s5, s3
	s_load_b64 s[28:29], s[4:5], 0x0
	s_waitcnt lgkmcnt(0)
	v_cmp_lt_i64_e64 s4, s[28:29], 0
	s_delay_alu instid0(VALU_DEP_1)
	s_and_b32 vcc_lo, exec_lo, s4
	s_cbranch_vccnz .LBB85_67
; %bb.1:
	s_clause 0x3
	s_load_b32 s17, s[0:1], 0x28
	s_load_b64 s[4:5], s[0:1], 0x0
	s_load_b128 s[12:15], s[0:1], 0x10
	s_load_b32 s21, s[0:1], 0x50
	v_lshlrev_b32_e32 v3, 1, v0
	s_waitcnt lgkmcnt(0)
	s_ashr_i32 s24, s17, 31
	s_add_u32 s2, s4, s2
	s_addc_u32 s3, s5, s3
	s_load_b64 s[22:23], s[2:3], 0x0
	s_clause 0x2
	s_load_b64 s[26:27], s[0:1], 0x20
	s_load_b64 s[18:19], s[0:1], 0x58
	s_load_b256 s[4:11], s[0:1], 0x30
	s_lshr_b32 s2, s17, 31
	s_delay_alu instid0(SALU_CYCLE_1) | instskip(NEXT) | instid1(SALU_CYCLE_1)
	s_add_i32 s2, s17, s2
	s_ashr_i32 s20, s2, 1
	s_delay_alu instid0(SALU_CYCLE_1)
	s_mul_i32 s3, s20, s21
	s_waitcnt lgkmcnt(0)
	s_mul_i32 s2, s22, s24
	s_mul_hi_u32 s21, s22, s17
	s_mul_i32 s23, s23, s17
	s_add_i32 s2, s21, s2
	s_mul_i32 s30, s22, s17
	s_add_i32 s31, s2, s23
	s_mov_b32 s17, exec_lo
	v_cmpx_gt_i32_e64 s3, v0
	s_cbranch_execz .LBB85_4
; %bb.2:
	s_load_b64 s[24:25], s[0:1], 0x8
	s_lshl_b64 s[22:23], s[30:31], 2
	s_mul_i32 s2, s16, s5
	s_mul_hi_u32 s5, s16, s4
	s_add_u32 s22, s26, s22
	s_mul_i32 s4, s16, s4
	s_addc_u32 s23, s27, s23
	s_add_i32 s5, s5, s2
	s_load_b32 s2, s[0:1], 0x8c
	s_lshl_b64 s[4:5], s[4:5], 1
	s_ashr_i32 s21, s20, 31
	s_mov_b32 s34, 0
	s_waitcnt lgkmcnt(0)
	s_add_u32 s24, s24, s4
	s_addc_u32 s25, s25, s5
	s_abs_i32 s33, s20
	s_sub_i32 s36, 0, s20
	v_cvt_f32_u32_e32 v1, s33
	s_sub_i32 s4, 0, s33
	s_and_b32 s35, s2, 0xffff
	s_delay_alu instid0(VALU_DEP_1)
	v_rcp_iflag_f32_e32 v1, v1
	s_lshl_b32 s2, s20, 1
	s_lshl_b32 s38, s35, 1
	s_sub_i32 s37, 0, s2
	s_waitcnt_depctr 0xfff
	v_mul_f32_e32 v1, 0x4f7ffffe, v1
	s_delay_alu instid0(VALU_DEP_1) | instskip(NEXT) | instid1(VALU_DEP_1)
	v_cvt_u32_f32_e32 v2, v1
	v_mul_lo_u32 v1, s4, v2
	s_lshl_b64 s[4:5], s[20:21], 2
	s_delay_alu instid0(VALU_DEP_1) | instskip(NEXT) | instid1(VALU_DEP_1)
	v_mul_hi_u32 v4, v2, v1
	v_dual_mov_b32 v1, v3 :: v_dual_add_nc_u32 v4, v2, v4
	v_mov_b32_e32 v2, v0
.LBB85_3:                               ; =>This Inner Loop Header: Depth=1
	s_delay_alu instid0(VALU_DEP_1) | instskip(SKIP_1) | instid1(VALU_DEP_2)
	v_sub_nc_u32_e32 v5, 0, v2
	v_ashrrev_i32_e32 v6, 31, v2
	v_max_i32_e32 v5, v2, v5
	s_delay_alu instid0(VALU_DEP_2) | instskip(NEXT) | instid1(VALU_DEP_2)
	v_xor_b32_e32 v6, s21, v6
	v_mul_hi_u32 v7, v5, v4
	s_delay_alu instid0(VALU_DEP_1) | instskip(SKIP_1) | instid1(VALU_DEP_2)
	v_mul_lo_u32 v8, v7, s33
	v_add_nc_u32_e32 v9, 1, v7
	v_sub_nc_u32_e32 v5, v5, v8
	s_delay_alu instid0(VALU_DEP_1) | instskip(SKIP_1) | instid1(VALU_DEP_4)
	v_subrev_nc_u32_e32 v8, s33, v5
	v_cmp_le_u32_e32 vcc_lo, s33, v5
	v_cndmask_b32_e32 v7, v7, v9, vcc_lo
	s_delay_alu instid0(VALU_DEP_1) | instskip(NEXT) | instid1(VALU_DEP_1)
	v_dual_cndmask_b32 v5, v5, v8 :: v_dual_add_nc_u32 v8, 1, v7
	v_cmp_le_u32_e32 vcc_lo, s33, v5
	s_delay_alu instid0(VALU_DEP_2) | instskip(NEXT) | instid1(VALU_DEP_1)
	v_cndmask_b32_e32 v5, v7, v8, vcc_lo
	v_xor_b32_e32 v5, v5, v6
	s_delay_alu instid0(VALU_DEP_1) | instskip(NEXT) | instid1(VALU_DEP_1)
	v_sub_nc_u32_e32 v11, v5, v6
	v_mad_u64_u32 v[5:6], null, s36, v11, v[2:3]
	v_ashrrev_i32_e32 v6, 31, v11
	v_mul_lo_u32 v12, v11, s7
	v_mad_u64_u32 v[7:8], null, v11, s6, 0
	v_mad_u64_u32 v[9:10], null, s37, v11, v[1:2]
	s_delay_alu instid0(VALU_DEP_4) | instskip(SKIP_3) | instid1(VALU_DEP_3)
	v_mul_lo_u32 v11, v6, s6
	v_ashrrev_i32_e32 v6, 31, v5
	v_add_nc_u32_e32 v1, s38, v1
	v_add_nc_u32_e32 v2, s35, v2
	v_lshlrev_b64 v[5:6], 2, v[5:6]
	v_ashrrev_i32_e32 v10, 31, v9
	v_add3_u32 v8, v8, v12, v11
	s_delay_alu instid0(VALU_DEP_3) | instskip(NEXT) | instid1(VALU_DEP_4)
	v_add_co_u32 v5, vcc_lo, s22, v5
	v_add_co_ci_u32_e32 v6, vcc_lo, s23, v6, vcc_lo
	s_delay_alu instid0(VALU_DEP_3)
	v_lshlrev_b64 v[7:8], 1, v[7:8]
	v_lshlrev_b64 v[9:10], 1, v[9:10]
	global_load_b32 v11, v[5:6], off
	v_add_co_u32 v5, vcc_lo, v5, s4
	v_add_co_ci_u32_e32 v6, vcc_lo, s5, v6, vcc_lo
	v_add_co_u32 v7, vcc_lo, s24, v7
	v_add_co_ci_u32_e32 v8, vcc_lo, s25, v8, vcc_lo
	global_load_b32 v12, v[5:6], off
	v_add_co_u32 v5, vcc_lo, v7, v9
	v_add_co_ci_u32_e32 v6, vcc_lo, v8, v10, vcc_lo
	global_load_b32 v7, v[5:6], off
	s_waitcnt vmcnt(2)
	v_bfe_u32 v8, v11, 16, 1
	v_cmp_o_f32_e32 vcc_lo, v11, v11
	s_delay_alu instid0(VALU_DEP_2) | instskip(SKIP_2) | instid1(VALU_DEP_2)
	v_add3_u32 v8, v11, v8, 0x7fff
	s_waitcnt vmcnt(1)
	v_bfe_u32 v9, v12, 16, 1
	v_and_b32_e32 v8, 0xffff0000, v8
	s_delay_alu instid0(VALU_DEP_2) | instskip(NEXT) | instid1(VALU_DEP_2)
	v_add3_u32 v9, v12, v9, 0x7fff
	v_cndmask_b32_e32 v8, 0x7fc00000, v8, vcc_lo
	v_cmp_o_f32_e32 vcc_lo, v12, v12
	s_waitcnt vmcnt(0)
	v_lshlrev_b32_e32 v10, 16, v7
	v_and_b32_e32 v7, 0xffff0000, v7
	v_and_b32_e32 v9, 0xffff0000, v9
	s_delay_alu instid0(VALU_DEP_3) | instskip(NEXT) | instid1(VALU_DEP_2)
	v_mul_f32_e32 v11, v8, v10
	v_dual_mul_f32 v8, v8, v7 :: v_dual_cndmask_b32 v9, 0x7fc00000, v9
	s_delay_alu instid0(VALU_DEP_2) | instskip(NEXT) | instid1(VALU_DEP_2)
	v_bfe_u32 v12, v11, 16, 1
	v_cmp_o_f32_e64 s2, v8, v8
	s_delay_alu instid0(VALU_DEP_3) | instskip(SKIP_3) | instid1(VALU_DEP_2)
	v_mul_f32_e32 v7, v9, v7
	v_mul_f32_e32 v9, v9, v10
	v_bfe_u32 v10, v8, 16, 1
	v_add3_u32 v12, v11, v12, 0x7fff
	v_add3_u32 v10, v8, v10, 0x7fff
	s_delay_alu instid0(VALU_DEP_2) | instskip(SKIP_1) | instid1(VALU_DEP_3)
	v_and_b32_e32 v12, 0xffff0000, v12
	v_cmp_o_f32_e32 vcc_lo, v11, v11
	v_and_b32_e32 v10, 0xffff0000, v10
	v_bfe_u32 v13, v7, 16, 1
	s_delay_alu instid0(VALU_DEP_4) | instskip(NEXT) | instid1(VALU_DEP_3)
	v_cndmask_b32_e32 v12, 0x7fc00000, v12, vcc_lo
	v_cndmask_b32_e64 v10, 0x7fc00000, v10, s2
	s_delay_alu instid0(VALU_DEP_3) | instskip(SKIP_1) | instid1(VALU_DEP_2)
	v_add3_u32 v13, v7, v13, 0x7fff
	v_cmp_o_f32_e64 s2, v7, v7
	v_and_b32_e32 v8, 0xffff0000, v13
	v_bfe_u32 v14, v9, 16, 1
	v_cmp_o_f32_e32 vcc_lo, v9, v9
	s_delay_alu instid0(VALU_DEP_3) | instskip(NEXT) | instid1(VALU_DEP_3)
	v_cndmask_b32_e64 v7, 0x7fc00000, v8, s2
	v_add3_u32 v14, v9, v14, 0x7fff
	s_delay_alu instid0(VALU_DEP_2) | instskip(NEXT) | instid1(VALU_DEP_2)
	v_sub_f32_e32 v7, v12, v7
	v_and_b32_e32 v11, 0xffff0000, v14
	s_delay_alu instid0(VALU_DEP_2) | instskip(NEXT) | instid1(VALU_DEP_2)
	v_bfe_u32 v9, v7, 16, 1
	v_cndmask_b32_e32 v8, 0x7fc00000, v11, vcc_lo
	v_cmp_o_f32_e64 s2, v7, v7
	s_delay_alu instid0(VALU_DEP_3) | instskip(NEXT) | instid1(VALU_DEP_3)
	v_add3_u32 v9, v7, v9, 0x7fff
	v_add_f32_e32 v8, v10, v8
	s_delay_alu instid0(VALU_DEP_2) | instskip(NEXT) | instid1(VALU_DEP_2)
	v_lshrrev_b32_e32 v9, 16, v9
	v_bfe_u32 v10, v8, 16, 1
	v_cmp_o_f32_e32 vcc_lo, v8, v8
	s_delay_alu instid0(VALU_DEP_3) | instskip(NEXT) | instid1(VALU_DEP_3)
	v_cndmask_b32_e64 v7, 0x7fc0, v9, s2
	v_add3_u32 v10, v8, v10, 0x7fff
	s_delay_alu instid0(VALU_DEP_1) | instskip(NEXT) | instid1(VALU_DEP_1)
	v_lshrrev_b32_e32 v10, 16, v10
	v_cndmask_b32_e32 v8, 0x7fc0, v10, vcc_lo
	v_cmp_le_i32_e32 vcc_lo, s3, v2
	s_delay_alu instid0(VALU_DEP_2)
	v_perm_b32 v7, v8, v7, 0x5040100
	s_or_b32 s34, vcc_lo, s34
	global_store_b32 v[5:6], v7, off
	s_and_not1_b32 exec_lo, exec_lo, s34
	s_cbranch_execnz .LBB85_3
.LBB85_4:
	s_or_b32 exec_lo, exec_lo, s17
	s_load_b128 s[4:7], s[0:1], 0x68
	s_waitcnt lgkmcnt(0)
	s_ashr_i32 s3, s7, 31
	s_mov_b32 s2, s7
	s_delay_alu instid0(SALU_CYCLE_1) | instskip(SKIP_1) | instid1(SALU_CYCLE_1)
	s_or_b64 s[24:25], s[28:29], s[2:3]
	s_mov_b32 s24, 0
	s_cmp_lg_u64 s[24:25], 0
	s_cbranch_scc0 .LBB85_68
; %bb.5:
	s_add_u32 s34, s2, s3
	s_mov_b32 s22, s3
	s_mov_b32 s23, s3
	s_addc_u32 s35, s3, s3
	s_delay_alu instid0(SALU_CYCLE_1) | instskip(NEXT) | instid1(SALU_CYCLE_1)
	s_xor_b64 s[34:35], s[34:35], s[22:23]
	v_cvt_f32_u32_e32 v1, s34
	v_cvt_f32_u32_e32 v2, s35
	s_sub_u32 s21, 0, s34
	s_subb_u32 s25, 0, s35
	s_delay_alu instid0(VALU_DEP_1) | instskip(NEXT) | instid1(VALU_DEP_1)
	v_fmamk_f32 v1, v2, 0x4f800000, v1
	v_rcp_f32_e32 v1, v1
	s_waitcnt_depctr 0xfff
	v_mul_f32_e32 v1, 0x5f7ffffc, v1
	s_delay_alu instid0(VALU_DEP_1) | instskip(NEXT) | instid1(VALU_DEP_1)
	v_mul_f32_e32 v2, 0x2f800000, v1
	v_trunc_f32_e32 v2, v2
	s_delay_alu instid0(VALU_DEP_1) | instskip(SKIP_1) | instid1(VALU_DEP_2)
	v_fmamk_f32 v1, v2, 0xcf800000, v1
	v_cvt_u32_f32_e32 v2, v2
	v_cvt_u32_f32_e32 v1, v1
	s_delay_alu instid0(VALU_DEP_2) | instskip(NEXT) | instid1(VALU_DEP_2)
	v_readfirstlane_b32 s7, v2
	v_readfirstlane_b32 s17, v1
	s_delay_alu instid0(VALU_DEP_2) | instskip(NEXT) | instid1(VALU_DEP_1)
	s_mul_i32 s33, s21, s7
	s_mul_hi_u32 s37, s21, s17
	s_mul_i32 s36, s25, s17
	s_add_i32 s33, s37, s33
	s_mul_i32 s38, s21, s17
	s_add_i32 s33, s33, s36
	s_mul_hi_u32 s37, s17, s38
	s_mul_hi_u32 s39, s7, s38
	s_mul_i32 s36, s7, s38
	s_mul_hi_u32 s38, s17, s33
	s_mul_i32 s17, s17, s33
	s_mul_hi_u32 s40, s7, s33
	s_add_u32 s17, s37, s17
	s_addc_u32 s37, 0, s38
	s_add_u32 s17, s17, s36
	s_mul_i32 s33, s7, s33
	s_addc_u32 s17, s37, s39
	s_addc_u32 s36, s40, 0
	s_add_u32 s17, s17, s33
	s_addc_u32 s33, 0, s36
	v_add_co_u32 v1, s17, v1, s17
	s_delay_alu instid0(VALU_DEP_1) | instskip(SKIP_1) | instid1(VALU_DEP_1)
	s_cmp_lg_u32 s17, 0
	s_addc_u32 s7, s7, s33
	v_readfirstlane_b32 s17, v1
	s_mul_i32 s33, s21, s7
	s_delay_alu instid0(VALU_DEP_1)
	s_mul_hi_u32 s36, s21, s17
	s_mul_i32 s25, s25, s17
	s_add_i32 s33, s36, s33
	s_mul_i32 s21, s21, s17
	s_add_i32 s33, s33, s25
	s_mul_hi_u32 s36, s7, s21
	s_mul_i32 s37, s7, s21
	s_mul_hi_u32 s21, s17, s21
	s_mul_hi_u32 s38, s17, s33
	s_mul_i32 s17, s17, s33
	s_mul_hi_u32 s25, s7, s33
	s_add_u32 s17, s21, s17
	s_addc_u32 s21, 0, s38
	s_add_u32 s17, s17, s37
	s_mul_i32 s33, s7, s33
	s_addc_u32 s17, s21, s36
	s_addc_u32 s21, s25, 0
	s_add_u32 s17, s17, s33
	s_addc_u32 s21, 0, s21
	v_add_co_u32 v1, s17, v1, s17
	s_delay_alu instid0(VALU_DEP_1) | instskip(SKIP_2) | instid1(VALU_DEP_1)
	s_cmp_lg_u32 s17, 0
	s_addc_u32 s7, s7, s21
	s_ashr_i32 s36, s29, 31
	v_readfirstlane_b32 s17, v1
	s_add_u32 s38, s28, s36
	s_mov_b32 s37, s36
	s_addc_u32 s39, s29, s36
	s_delay_alu instid0(SALU_CYCLE_1) | instskip(NEXT) | instid1(SALU_CYCLE_1)
	s_xor_b64 s[38:39], s[38:39], s[36:37]
	s_mul_i32 s25, s38, s7
	s_mul_hi_u32 s33, s38, s17
	s_mul_hi_u32 s21, s38, s7
	;; [unrolled: 1-line block ×3, first 2 shown]
	s_mul_i32 s17, s39, s17
	s_add_u32 s25, s33, s25
	s_addc_u32 s21, 0, s21
	s_mul_hi_u32 s40, s39, s7
	s_add_u32 s17, s25, s17
	s_mul_i32 s7, s39, s7
	s_addc_u32 s17, s21, s41
	s_addc_u32 s21, s40, 0
	s_add_u32 s7, s17, s7
	s_addc_u32 s17, 0, s21
	s_mul_hi_u32 s21, s34, s7
	s_mul_i32 s33, s34, s17
	s_mul_i32 s40, s34, s7
	s_add_i32 s21, s21, s33
	v_sub_co_u32 v1, s33, s38, s40
	s_mul_i32 s25, s35, s7
	s_delay_alu instid0(SALU_CYCLE_1) | instskip(NEXT) | instid1(VALU_DEP_1)
	s_add_i32 s21, s21, s25
	v_sub_co_u32 v2, s38, v1, s34
	s_sub_i32 s25, s39, s21
	s_cmp_lg_u32 s33, 0
	s_subb_u32 s25, s25, s35
	s_cmp_lg_u32 s38, 0
	v_readfirstlane_b32 s38, v2
	s_subb_u32 s25, s25, 0
	s_delay_alu instid0(SALU_CYCLE_1) | instskip(SKIP_1) | instid1(VALU_DEP_1)
	s_cmp_ge_u32 s25, s35
	s_cselect_b32 s40, -1, 0
	s_cmp_ge_u32 s38, s34
	s_cselect_b32 s38, -1, 0
	s_cmp_eq_u32 s25, s35
	s_cselect_b32 s25, s38, s40
	s_add_u32 s38, s7, 1
	s_addc_u32 s40, s17, 0
	s_add_u32 s41, s7, 2
	s_addc_u32 s42, s17, 0
	s_cmp_lg_u32 s25, 0
	s_cselect_b32 s25, s41, s38
	s_cselect_b32 s38, s42, s40
	s_cmp_lg_u32 s33, 0
	v_readfirstlane_b32 s33, v1
	s_subb_u32 s21, s39, s21
	s_delay_alu instid0(SALU_CYCLE_1) | instskip(SKIP_1) | instid1(VALU_DEP_1)
	s_cmp_ge_u32 s21, s35
	s_cselect_b32 s39, -1, 0
	s_cmp_ge_u32 s33, s34
	s_cselect_b32 s33, -1, 0
	s_cmp_eq_u32 s21, s35
	s_cselect_b32 s21, s33, s39
	s_delay_alu instid0(SALU_CYCLE_1) | instskip(SKIP_3) | instid1(SALU_CYCLE_1)
	s_cmp_lg_u32 s21, 0
	s_cselect_b32 s35, s38, s17
	s_cselect_b32 s34, s25, s7
	s_xor_b64 s[22:23], s[36:37], s[22:23]
	s_xor_b64 s[34:35], s[34:35], s[22:23]
	s_delay_alu instid0(SALU_CYCLE_1)
	s_sub_u32 s22, s34, s22
	s_subb_u32 s23, s35, s23
	s_and_not1_b32 vcc_lo, exec_lo, s24
	s_cbranch_vccnz .LBB85_7
.LBB85_6:
	v_cvt_f32_u32_e32 v1, s2
	s_sub_i32 s17, 0, s2
	s_mov_b32 s23, 0
	s_delay_alu instid0(VALU_DEP_1) | instskip(SKIP_2) | instid1(VALU_DEP_1)
	v_rcp_iflag_f32_e32 v1, v1
	s_waitcnt_depctr 0xfff
	v_mul_f32_e32 v1, 0x4f7ffffe, v1
	v_cvt_u32_f32_e32 v1, v1
	s_delay_alu instid0(VALU_DEP_1) | instskip(NEXT) | instid1(VALU_DEP_1)
	v_readfirstlane_b32 s7, v1
	s_mul_i32 s17, s17, s7
	s_delay_alu instid0(SALU_CYCLE_1) | instskip(NEXT) | instid1(SALU_CYCLE_1)
	s_mul_hi_u32 s17, s7, s17
	s_add_i32 s7, s7, s17
	s_delay_alu instid0(SALU_CYCLE_1) | instskip(NEXT) | instid1(SALU_CYCLE_1)
	s_mul_hi_u32 s7, s28, s7
	s_mul_i32 s17, s7, s2
	s_add_i32 s21, s7, 1
	s_sub_i32 s17, s28, s17
	s_delay_alu instid0(SALU_CYCLE_1)
	s_sub_i32 s22, s17, s2
	s_cmp_ge_u32 s17, s2
	s_cselect_b32 s7, s21, s7
	s_cselect_b32 s17, s22, s17
	s_add_i32 s21, s7, 1
	s_cmp_ge_u32 s17, s2
	s_cselect_b32 s22, s21, s7
.LBB85_7:
	s_load_b64 s[24:25], s[0:1], 0x78
	s_mul_i32 s3, s22, s3
	s_mul_hi_u32 s7, s22, s2
	s_mul_i32 s33, s22, s4
	s_add_i32 s3, s7, s3
	s_mul_i32 s7, s23, s2
	s_mul_i32 s2, s22, s2
	s_add_i32 s7, s3, s7
	s_sub_u32 s3, s28, s2
	s_subb_u32 s7, s29, s7
	s_mul_hi_u32 s28, s22, s4
	s_mul_i32 s29, s23, s4
	s_mul_hi_u32 s23, s3, s5
	s_mul_i32 s7, s7, s5
	s_mul_i32 s17, s3, s5
	s_mov_b32 s34, exec_lo
	v_cmpx_gt_i32_e64 s20, v0
	s_cbranch_execz .LBB85_46
; %bb.8:
	s_load_b32 s2, s[0:1], 0x8c
	s_ashr_i32 s38, s4, 31
	s_ashr_i32 s39, s5, 31
	s_lshl_b64 s[36:37], s[30:31], 2
	s_mul_i32 s30, s22, s38
	s_mul_i32 s38, s3, s39
	s_add_i32 s30, s28, s30
	s_add_i32 s38, s23, s38
	v_dual_mov_b32 v4, 0 :: v_dual_lshlrev_b32 v1, 2, v0
	s_ashr_i32 s21, s20, 31
	s_ashr_i32 s40, s6, 31
	s_mul_i32 s9, s9, s16
	s_mul_hi_u32 s31, s8, s16
	s_add_i32 s39, s30, s29
	s_add_i32 s38, s38, s7
	s_mul_i32 s8, s8, s16
	s_waitcnt lgkmcnt(0)
	s_load_b32 s35, s[24:25], 0x0
	v_mov_b32_e32 v15, v0
	s_and_b32 s30, s2, 0xffff
	s_add_u32 s2, s26, s36
	s_addc_u32 s27, s27, s37
	s_add_i32 s9, s31, s9
	v_add_co_u32 v9, s2, s2, v1
	s_lshl_b64 s[8:9], s[8:9], 1
	s_lshl_b32 s26, s30, 2
	s_lshl_b64 s[36:37], s[20:21], 2
	v_add_co_ci_u32_e64 v10, null, s27, 0, s2
	s_add_u32 s2, s12, s8
	s_addc_u32 s8, s13, s9
	s_add_u32 s9, s33, s17
	s_addc_u32 s12, s39, s38
	;; [unrolled: 2-line block ×4, first 2 shown]
	v_add_co_u32 v2, s9, s9, v3
	v_add_co_u32 v11, vcc_lo, v9, s36
	v_add_co_ci_u32_e64 v3, null, s12, 0, s9
	v_add_co_ci_u32_e32 v12, vcc_lo, s37, v10, vcc_lo
	v_add_co_u32 v13, s2, s2, v1
	v_add_co_u32 v1, vcc_lo, v2, 1
	v_add_co_ci_u32_e64 v14, null, s8, 0, s2
	v_add_co_ci_u32_e32 v2, vcc_lo, 0, v3, vcc_lo
	s_mov_b32 s12, 0
	s_lshl_b32 s13, s30, 1
	s_mov_b64 s[8:9], 0
	s_branch .LBB85_10
.LBB85_9:                               ;   in Loop: Header=BB85_10 Depth=1
	s_or_b32 exec_lo, exec_lo, s2
	v_add_nc_u32_e32 v15, s30, v15
	global_store_b8 v[1:2], v7, off
	v_add_co_u32 v1, s2, v1, s13
	s_delay_alu instid0(VALU_DEP_1) | instskip(SKIP_4) | instid1(SALU_CYCLE_1)
	v_add_co_ci_u32_e64 v2, s2, 0, v2, s2
	v_cmp_le_i32_e32 vcc_lo, s20, v15
	s_add_u32 s8, s8, s26
	s_addc_u32 s9, s9, 0
	s_or_b32 s12, vcc_lo, s12
	s_and_not1_b32 exec_lo, exec_lo, s12
	s_cbranch_execz .LBB85_46
.LBB85_10:                              ; =>This Inner Loop Header: Depth=1
	v_add_co_u32 v5, vcc_lo, v9, s8
	v_add_co_ci_u32_e32 v6, vcc_lo, s9, v10, vcc_lo
	v_add_co_u32 v7, vcc_lo, v11, s8
	v_add_co_ci_u32_e32 v8, vcc_lo, s9, v12, vcc_lo
	v_add_co_u32 v18, vcc_lo, v13, s8
	s_clause 0x1
	global_load_b32 v3, v[5:6], off
	global_load_b32 v5, v[7:8], off
	v_add_co_ci_u32_e32 v19, vcc_lo, s9, v14, vcc_lo
	global_load_b32 v6, v[18:19], off
	s_waitcnt vmcnt(2)
	v_bfe_u32 v7, v3, 16, 1
	s_waitcnt vmcnt(1)
	v_bfe_u32 v8, v5, 16, 1
	v_cmp_o_f32_e32 vcc_lo, v3, v3
	s_delay_alu instid0(VALU_DEP_3) | instskip(NEXT) | instid1(VALU_DEP_3)
	v_add3_u32 v7, v3, v7, 0x7fff
	v_add3_u32 v8, v5, v8, 0x7fff
	s_waitcnt vmcnt(0)
	v_lshlrev_b32_e32 v16, 16, v6
	v_and_b32_e32 v6, 0xffff0000, v6
	v_and_b32_e32 v7, 0xffff0000, v7
	s_delay_alu instid0(VALU_DEP_1) | instskip(SKIP_1) | instid1(VALU_DEP_2)
	v_cndmask_b32_e32 v3, 0x7fc00000, v7, vcc_lo
	v_cmp_o_f32_e32 vcc_lo, v5, v5
	v_mul_f32_e32 v7, v3, v16
	v_dual_mul_f32 v3, v3, v6 :: v_dual_and_b32 v8, 0xffff0000, v8
	s_delay_alu instid0(VALU_DEP_2) | instskip(NEXT) | instid1(VALU_DEP_2)
	v_bfe_u32 v17, v7, 16, 1
	v_cndmask_b32_e32 v5, 0x7fc00000, v8, vcc_lo
	s_delay_alu instid0(VALU_DEP_3) | instskip(SKIP_1) | instid1(VALU_DEP_4)
	v_cmp_o_f32_e64 s2, v3, v3
	v_cmp_o_f32_e32 vcc_lo, v7, v7
	v_add3_u32 v17, v7, v17, 0x7fff
	s_delay_alu instid0(VALU_DEP_4) | instskip(SKIP_2) | instid1(VALU_DEP_4)
	v_mul_f32_e32 v8, v5, v6
	v_mul_f32_e32 v5, v5, v16
	v_bfe_u32 v16, v3, 16, 1
	v_and_b32_e32 v17, 0xffff0000, v17
	s_delay_alu instid0(VALU_DEP_4) | instskip(NEXT) | instid1(VALU_DEP_4)
	v_bfe_u32 v20, v8, 16, 1
	v_bfe_u32 v22, v5, 16, 1
	s_delay_alu instid0(VALU_DEP_4) | instskip(NEXT) | instid1(VALU_DEP_4)
	v_add3_u32 v16, v3, v16, 0x7fff
	v_cndmask_b32_e32 v7, 0x7fc00000, v17, vcc_lo
	s_delay_alu instid0(VALU_DEP_4) | instskip(NEXT) | instid1(VALU_DEP_4)
	v_add3_u32 v20, v8, v20, 0x7fff
	v_add3_u32 v22, v5, v22, 0x7fff
	s_delay_alu instid0(VALU_DEP_4) | instskip(SKIP_1) | instid1(VALU_DEP_3)
	v_and_b32_e32 v16, 0xffff0000, v16
	v_cmp_o_f32_e32 vcc_lo, v8, v8
	v_and_b32_e32 v22, 0xffff0000, v22
	s_delay_alu instid0(VALU_DEP_3) | instskip(SKIP_1) | instid1(VALU_DEP_1)
	v_cndmask_b32_e64 v3, 0x7fc00000, v16, s2
	v_cmp_o_f32_e64 s2, v5, v5
	v_cndmask_b32_e64 v5, 0x7fc00000, v22, s2
	v_and_b32_e32 v20, 0xffff0000, v20
	s_mov_b32 s2, exec_lo
	s_delay_alu instid0(VALU_DEP_1) | instskip(NEXT) | instid1(VALU_DEP_1)
	v_dual_add_f32 v3, v3, v5 :: v_dual_cndmask_b32 v8, 0x7fc00000, v20
	v_sub_f32_e32 v7, v7, v8
	s_delay_alu instid0(VALU_DEP_1) | instskip(SKIP_1) | instid1(VALU_DEP_2)
	v_bfe_u32 v8, v7, 16, 1
	v_cmp_o_f32_e32 vcc_lo, v7, v7
	v_add3_u32 v8, v7, v8, 0x7fff
	s_delay_alu instid0(VALU_DEP_1) | instskip(NEXT) | instid1(VALU_DEP_1)
	v_lshrrev_b32_e32 v8, 16, v8
	v_cndmask_b32_e32 v8, 0x7fc0, v8, vcc_lo
	s_delay_alu instid0(VALU_DEP_1) | instskip(SKIP_1) | instid1(VALU_DEP_1)
	v_cvt_f32_f16_e32 v7, v8
	s_waitcnt lgkmcnt(0)
	v_div_scale_f32 v17, null, s35, s35, v7
	v_div_scale_f32 v6, vcc_lo, v7, s35, v7
	s_delay_alu instid0(VALU_DEP_2) | instskip(SKIP_2) | instid1(VALU_DEP_1)
	v_rcp_f32_e32 v20, v17
	s_waitcnt_depctr 0xfff
	v_fma_f32 v21, -v17, v20, 1.0
	v_fmac_f32_e32 v20, v21, v20
	s_delay_alu instid0(VALU_DEP_1) | instskip(NEXT) | instid1(VALU_DEP_1)
	v_mul_f32_e32 v21, v6, v20
	v_fma_f32 v23, -v17, v21, v6
	s_delay_alu instid0(VALU_DEP_1) | instskip(NEXT) | instid1(VALU_DEP_1)
	v_fmac_f32_e32 v21, v23, v20
	v_fma_f32 v6, -v17, v21, v6
	s_delay_alu instid0(VALU_DEP_1) | instskip(SKIP_2) | instid1(VALU_DEP_3)
	v_div_fmas_f32 v6, v6, v20, v21
	v_cmp_o_f32_e32 vcc_lo, v3, v3
	v_mov_b32_e32 v21, v4
	v_div_fixup_f32 v5, v6, s35, v7
	v_bfe_u32 v6, v3, 16, 1
	s_delay_alu instid0(VALU_DEP_2) | instskip(NEXT) | instid1(VALU_DEP_2)
	v_cvt_f16_f32_e32 v5, v5
	v_add3_u32 v6, v3, v6, 0x7fff
	s_delay_alu instid0(VALU_DEP_2) | instskip(NEXT) | instid1(VALU_DEP_2)
	v_cvt_f32_f16_e32 v5, v5
	v_lshrrev_b32_e32 v6, 16, v6
	s_delay_alu instid0(VALU_DEP_2) | instskip(SKIP_1) | instid1(VALU_DEP_3)
	v_and_b32_e32 v20, 0x7f800000, v5
	v_lshrrev_b32_e32 v7, 24, v5
	v_cndmask_b32_e32 v3, 0x7fc0, v6, vcc_lo
	s_delay_alu instid0(VALU_DEP_2) | instskip(NEXT) | instid1(VALU_DEP_2)
	v_and_b32_e32 v17, 0x80, v7
	v_perm_b32 v16, v3, v8, 0x5040100
	v_and_b32_e32 v3, 0x7fffff, v5
	s_delay_alu instid0(VALU_DEP_3)
	v_or_b32_e32 v6, 0x7e, v17
	global_store_b32 v[18:19], v16, off
	v_cmpx_ne_u64_e32 0x7f800000, v[20:21]
	s_xor_b32 s21, exec_lo, s2
	s_cbranch_execz .LBB85_26
; %bb.11:                               ;   in Loop: Header=BB85_10 Depth=1
	v_dual_mov_b32 v8, v4 :: v_dual_and_b32 v7, 0x7fffffff, v5
	s_mov_b32 s2, exec_lo
	s_delay_alu instid0(VALU_DEP_1)
	v_cmpx_gt_u64_e32 0x43e00001, v[7:8]
	s_xor_b32 s27, exec_lo, s2
	s_cbranch_execz .LBB85_25
; %bb.12:                               ;   in Loop: Header=BB85_10 Depth=1
	v_mov_b32_e32 v6, 0
	s_mov_b32 s31, exec_lo
	v_cmpx_ne_u32_e32 0, v5
	s_cbranch_execz .LBB85_24
; %bb.13:                               ;   in Loop: Header=BB85_10 Depth=1
	v_bfe_u32 v18, v5, 23, 8
	v_or_b32_e32 v7, 0x800000, v3
	s_delay_alu instid0(VALU_DEP_2) | instskip(SKIP_1) | instid1(VALU_DEP_2)
	v_sub_nc_u32_e32 v5, 0x79, v18
	v_cmp_gt_u32_e32 vcc_lo, 0x7a, v18
	v_cndmask_b32_e32 v5, 0, v5, vcc_lo
	v_cmp_eq_u32_e32 vcc_lo, 0, v18
	s_delay_alu instid0(VALU_DEP_2) | instskip(SKIP_1) | instid1(VALU_DEP_2)
	v_cndmask_b32_e64 v19, v5, 0x78, vcc_lo
	v_cndmask_b32_e32 v3, v7, v3, vcc_lo
	v_add_nc_u32_e32 v5, 20, v19
	v_add_nc_u32_e32 v7, 19, v19
	s_delay_alu instid0(VALU_DEP_2) | instskip(NEXT) | instid1(VALU_DEP_2)
	v_lshlrev_b64 v[5:6], v5, -1
	v_lshlrev_b64 v[7:8], v7, 1
	s_delay_alu instid0(VALU_DEP_2) | instskip(NEXT) | instid1(VALU_DEP_3)
	v_not_b32_e32 v6, v6
	v_not_b32_e32 v5, v5
	s_delay_alu instid0(VALU_DEP_2) | instskip(NEXT) | instid1(VALU_DEP_2)
	v_and_b32_e32 v21, 0, v6
	v_and_b32_e32 v20, v3, v5
	v_lshrrev_b64 v[5:6], v19, v[3:4]
	s_delay_alu instid0(VALU_DEP_2) | instskip(NEXT) | instid1(VALU_DEP_2)
	v_cmp_eq_u64_e64 s2, v[20:21], v[7:8]
	v_dual_mov_b32 v8, v6 :: v_dual_mov_b32 v7, v5
	s_delay_alu instid0(VALU_DEP_2)
	s_and_saveexec_b32 s36, s2
; %bb.14:                               ;   in Loop: Header=BB85_10 Depth=1
	v_bfe_u32 v3, v5, 20, 1
	s_delay_alu instid0(VALU_DEP_1) | instskip(NEXT) | instid1(VALU_DEP_1)
	v_add_co_u32 v3, s2, v5, v3
	v_add_co_u32 v7, s2, v3, -1
; %bb.15:                               ;   in Loop: Header=BB85_10 Depth=1
	s_or_b32 exec_lo, exec_lo, s36
	v_add_nc_u32_e32 v3, 0xffffff81, v18
	v_lshrrev_b32_e32 v8, 23, v5
	s_mov_b32 s2, exec_lo
	s_delay_alu instid0(VALU_DEP_2) | instskip(NEXT) | instid1(VALU_DEP_1)
	v_cndmask_b32_e64 v3, v3, 0xffffff82, vcc_lo
	v_add3_u32 v8, v19, v3, v8
	v_and_b32_e32 v3, 0xfffff, v7
	s_delay_alu instid0(VALU_DEP_2) | instskip(NEXT) | instid1(VALU_DEP_2)
	v_add_nc_u32_e32 v7, 6, v8
	v_add_co_u32 v5, vcc_lo, v3, v5
	v_add_co_ci_u32_e32 v6, vcc_lo, 0, v6, vcc_lo
                                        ; implicit-def: $vgpr3
	s_delay_alu instid0(VALU_DEP_3)
	v_cmpx_ne_u32_e32 0, v7
	s_xor_b32 s2, exec_lo, s2
; %bb.16:                               ;   in Loop: Header=BB85_10 Depth=1
	s_delay_alu instid0(VALU_DEP_2) | instskip(SKIP_1) | instid1(VALU_DEP_1)
	v_cmp_lt_u64_e32 vcc_lo, 0xffffff, v[5:6]
	v_add_nc_u32_e32 v3, 7, v8
	v_cndmask_b32_e32 v3, v7, v3, vcc_lo
	v_cndmask_b32_e64 v7, 0, 1, vcc_lo
	s_delay_alu instid0(VALU_DEP_1)
	v_lshrrev_b64 v[5:6], v7, v[5:6]
; %bb.17:                               ;   in Loop: Header=BB85_10 Depth=1
	s_and_not1_saveexec_b32 s2, s2
; %bb.18:                               ;   in Loop: Header=BB85_10 Depth=1
	s_delay_alu instid0(VALU_DEP_1)
	v_bfe_u32 v3, v5, 23, 1
; %bb.19:                               ;   in Loop: Header=BB85_10 Depth=1
	s_or_b32 exec_lo, exec_lo, s2
	s_delay_alu instid0(VALU_DEP_2) | instskip(NEXT) | instid1(VALU_DEP_2)
	v_lshrrev_b64 v[5:6], 20, v[5:6]
	v_cmp_gt_i32_e32 vcc_lo, 16, v3
	v_cmp_ne_u32_e64 s2, 0, v3
	s_delay_alu instid0(VALU_DEP_3) | instskip(NEXT) | instid1(VALU_DEP_1)
	v_dual_cndmask_b32 v6, 0, v6 :: v_dual_cndmask_b32 v5, 7, v5
	v_cmp_ne_u64_e32 vcc_lo, 0, v[5:6]
                                        ; implicit-def: $vgpr6
	s_delay_alu instid0(VALU_DEP_3) | instskip(NEXT) | instid1(SALU_CYCLE_1)
	s_or_b32 s2, s2, vcc_lo
	s_and_saveexec_b32 s36, s2
	s_delay_alu instid0(SALU_CYCLE_1)
	s_xor_b32 s2, exec_lo, s36
; %bb.20:                               ;   in Loop: Header=BB85_10 Depth=1
	v_min_i32_e32 v3, 15, v3
	s_delay_alu instid0(VALU_DEP_1) | instskip(NEXT) | instid1(VALU_DEP_1)
	v_lshl_or_b32 v3, v3, 3, v17
                                        ; implicit-def: $vgpr17
	v_and_or_b32 v6, v5, 7, v3
; %bb.21:                               ;   in Loop: Header=BB85_10 Depth=1
	s_and_not1_saveexec_b32 s2, s2
; %bb.22:                               ;   in Loop: Header=BB85_10 Depth=1
	v_mov_b32_e32 v6, v17
; %bb.23:                               ;   in Loop: Header=BB85_10 Depth=1
	s_or_b32 exec_lo, exec_lo, s2
.LBB85_24:                              ;   in Loop: Header=BB85_10 Depth=1
	s_delay_alu instid0(SALU_CYCLE_1)
	s_or_b32 exec_lo, exec_lo, s31
.LBB85_25:                              ;   in Loop: Header=BB85_10 Depth=1
	s_and_not1_saveexec_b32 s2, s27
	s_delay_alu instid0(SALU_CYCLE_1)
	s_or_b32 exec_lo, exec_lo, s2
                                        ; implicit-def: $vgpr7
.LBB85_26:                              ;   in Loop: Header=BB85_10 Depth=1
	s_and_not1_saveexec_b32 s2, s21
; %bb.27:                               ;   in Loop: Header=BB85_10 Depth=1
	v_cmp_eq_u64_e32 vcc_lo, 0, v[3:4]
	v_or_b32_e32 v5, 0x7f, v7
	s_delay_alu instid0(VALU_DEP_1)
	v_cndmask_b32_e32 v6, v5, v6, vcc_lo
; %bb.28:                               ;   in Loop: Header=BB85_10 Depth=1
	s_or_b32 exec_lo, exec_lo, s2
	v_lshrrev_b32_e32 v3, 16, v16
	v_mov_b32_e32 v18, v4
	global_store_b8 v[1:2], v6, off offset:-1
	s_mov_b32 s2, exec_lo
	v_cvt_f32_f16_e32 v3, v3
	s_delay_alu instid0(VALU_DEP_1) | instskip(NEXT) | instid1(VALU_DEP_1)
	v_div_scale_f32 v5, null, s35, s35, v3
	v_rcp_f32_e32 v7, v5
	s_waitcnt_depctr 0xfff
	v_fma_f32 v8, -v5, v7, 1.0
	s_delay_alu instid0(VALU_DEP_1) | instskip(SKIP_1) | instid1(VALU_DEP_1)
	v_fmac_f32_e32 v7, v8, v7
	v_div_scale_f32 v8, vcc_lo, v3, s35, v3
	v_mul_f32_e32 v16, v8, v7
	s_delay_alu instid0(VALU_DEP_1) | instskip(NEXT) | instid1(VALU_DEP_1)
	v_fma_f32 v17, -v5, v16, v8
	v_fmac_f32_e32 v16, v17, v7
	s_delay_alu instid0(VALU_DEP_1) | instskip(NEXT) | instid1(VALU_DEP_1)
	v_fma_f32 v5, -v5, v16, v8
	v_div_fmas_f32 v5, v5, v7, v16
	s_delay_alu instid0(VALU_DEP_1) | instskip(NEXT) | instid1(VALU_DEP_1)
	v_div_fixup_f32 v3, v5, s35, v3
	v_cvt_f16_f32_e32 v3, v3
	s_delay_alu instid0(VALU_DEP_1) | instskip(NEXT) | instid1(VALU_DEP_1)
	v_cvt_f32_f16_e32 v5, v3
	v_and_b32_e32 v3, 0x7fffff, v5
	v_lshrrev_b32_e32 v8, 24, v5
	v_and_b32_e32 v17, 0x7f800000, v5
	s_delay_alu instid0(VALU_DEP_2) | instskip(NEXT) | instid1(VALU_DEP_1)
	v_and_b32_e32 v16, 0x80, v8
	v_or_b32_e32 v7, 0x7e, v16
	s_delay_alu instid0(VALU_DEP_3)
	v_cmpx_ne_u64_e32 0x7f800000, v[17:18]
	s_xor_b32 s21, exec_lo, s2
	s_cbranch_execz .LBB85_44
; %bb.29:                               ;   in Loop: Header=BB85_10 Depth=1
	v_dual_mov_b32 v18, v4 :: v_dual_and_b32 v17, 0x7fffffff, v5
	s_mov_b32 s2, exec_lo
	s_delay_alu instid0(VALU_DEP_1)
	v_cmpx_gt_u64_e32 0x43e00001, v[17:18]
	s_xor_b32 s27, exec_lo, s2
	s_cbranch_execz .LBB85_43
; %bb.30:                               ;   in Loop: Header=BB85_10 Depth=1
	v_mov_b32_e32 v7, 0
	s_mov_b32 s31, exec_lo
	v_cmpx_ne_u32_e32 0, v5
	s_cbranch_execz .LBB85_42
; %bb.31:                               ;   in Loop: Header=BB85_10 Depth=1
	v_bfe_u32 v17, v5, 23, 8
	v_or_b32_e32 v7, 0x800000, v3
	s_delay_alu instid0(VALU_DEP_2) | instskip(SKIP_1) | instid1(VALU_DEP_2)
	v_sub_nc_u32_e32 v5, 0x79, v17
	v_cmp_gt_u32_e32 vcc_lo, 0x7a, v17
	v_cndmask_b32_e32 v5, 0, v5, vcc_lo
	v_cmp_eq_u32_e32 vcc_lo, 0, v17
	s_delay_alu instid0(VALU_DEP_2) | instskip(SKIP_1) | instid1(VALU_DEP_2)
	v_cndmask_b32_e64 v18, v5, 0x78, vcc_lo
	v_cndmask_b32_e32 v3, v7, v3, vcc_lo
	v_add_nc_u32_e32 v5, 20, v18
	v_add_nc_u32_e32 v7, 19, v18
	s_delay_alu instid0(VALU_DEP_2) | instskip(NEXT) | instid1(VALU_DEP_2)
	v_lshlrev_b64 v[5:6], v5, -1
	v_lshlrev_b64 v[7:8], v7, 1
	s_delay_alu instid0(VALU_DEP_2) | instskip(NEXT) | instid1(VALU_DEP_3)
	v_not_b32_e32 v6, v6
	v_not_b32_e32 v5, v5
	s_delay_alu instid0(VALU_DEP_2) | instskip(NEXT) | instid1(VALU_DEP_2)
	v_and_b32_e32 v20, 0, v6
	v_and_b32_e32 v19, v3, v5
	v_lshrrev_b64 v[5:6], v18, v[3:4]
	s_delay_alu instid0(VALU_DEP_2) | instskip(NEXT) | instid1(VALU_DEP_2)
	v_cmp_eq_u64_e64 s2, v[19:20], v[7:8]
	v_dual_mov_b32 v8, v6 :: v_dual_mov_b32 v7, v5
	s_delay_alu instid0(VALU_DEP_2)
	s_and_saveexec_b32 s36, s2
; %bb.32:                               ;   in Loop: Header=BB85_10 Depth=1
	v_bfe_u32 v3, v5, 20, 1
	s_delay_alu instid0(VALU_DEP_1) | instskip(NEXT) | instid1(VALU_DEP_1)
	v_add_co_u32 v3, s2, v5, v3
	v_add_co_u32 v7, s2, v3, -1
; %bb.33:                               ;   in Loop: Header=BB85_10 Depth=1
	s_or_b32 exec_lo, exec_lo, s36
	v_add_nc_u32_e32 v3, 0xffffff81, v17
	v_lshrrev_b32_e32 v8, 23, v5
	s_mov_b32 s2, exec_lo
	s_delay_alu instid0(VALU_DEP_2) | instskip(NEXT) | instid1(VALU_DEP_1)
	v_cndmask_b32_e64 v3, v3, 0xffffff82, vcc_lo
	v_add3_u32 v8, v18, v3, v8
	v_and_b32_e32 v3, 0xfffff, v7
	s_delay_alu instid0(VALU_DEP_2) | instskip(NEXT) | instid1(VALU_DEP_2)
	v_add_nc_u32_e32 v7, 6, v8
	v_add_co_u32 v5, vcc_lo, v3, v5
	v_add_co_ci_u32_e32 v6, vcc_lo, 0, v6, vcc_lo
                                        ; implicit-def: $vgpr3
	s_delay_alu instid0(VALU_DEP_3)
	v_cmpx_ne_u32_e32 0, v7
	s_xor_b32 s2, exec_lo, s2
; %bb.34:                               ;   in Loop: Header=BB85_10 Depth=1
	s_delay_alu instid0(VALU_DEP_2) | instskip(SKIP_1) | instid1(VALU_DEP_1)
	v_cmp_lt_u64_e32 vcc_lo, 0xffffff, v[5:6]
	v_add_nc_u32_e32 v3, 7, v8
	v_cndmask_b32_e32 v3, v7, v3, vcc_lo
	v_cndmask_b32_e64 v7, 0, 1, vcc_lo
	s_delay_alu instid0(VALU_DEP_1)
	v_lshrrev_b64 v[5:6], v7, v[5:6]
; %bb.35:                               ;   in Loop: Header=BB85_10 Depth=1
	s_and_not1_saveexec_b32 s2, s2
; %bb.36:                               ;   in Loop: Header=BB85_10 Depth=1
	s_delay_alu instid0(VALU_DEP_1)
	v_bfe_u32 v3, v5, 23, 1
; %bb.37:                               ;   in Loop: Header=BB85_10 Depth=1
	s_or_b32 exec_lo, exec_lo, s2
	s_delay_alu instid0(VALU_DEP_2) | instskip(NEXT) | instid1(VALU_DEP_2)
	v_lshrrev_b64 v[5:6], 20, v[5:6]
	v_cmp_gt_i32_e32 vcc_lo, 16, v3
	v_cmp_ne_u32_e64 s2, 0, v3
                                        ; implicit-def: $vgpr7
	s_delay_alu instid0(VALU_DEP_3) | instskip(NEXT) | instid1(VALU_DEP_1)
	v_dual_cndmask_b32 v6, 0, v6 :: v_dual_cndmask_b32 v5, 7, v5
	v_cmp_ne_u64_e32 vcc_lo, 0, v[5:6]
	s_delay_alu instid0(VALU_DEP_3) | instskip(NEXT) | instid1(SALU_CYCLE_1)
	s_or_b32 s2, s2, vcc_lo
	s_and_saveexec_b32 s36, s2
	s_delay_alu instid0(SALU_CYCLE_1)
	s_xor_b32 s2, exec_lo, s36
; %bb.38:                               ;   in Loop: Header=BB85_10 Depth=1
	v_min_i32_e32 v3, 15, v3
	s_delay_alu instid0(VALU_DEP_1) | instskip(NEXT) | instid1(VALU_DEP_1)
	v_lshl_or_b32 v3, v3, 3, v16
                                        ; implicit-def: $vgpr16
	v_and_or_b32 v7, v5, 7, v3
; %bb.39:                               ;   in Loop: Header=BB85_10 Depth=1
	s_and_not1_saveexec_b32 s2, s2
; %bb.40:                               ;   in Loop: Header=BB85_10 Depth=1
	v_mov_b32_e32 v7, v16
; %bb.41:                               ;   in Loop: Header=BB85_10 Depth=1
	s_or_b32 exec_lo, exec_lo, s2
.LBB85_42:                              ;   in Loop: Header=BB85_10 Depth=1
	s_delay_alu instid0(SALU_CYCLE_1)
	s_or_b32 exec_lo, exec_lo, s31
.LBB85_43:                              ;   in Loop: Header=BB85_10 Depth=1
	s_and_not1_saveexec_b32 s2, s27
	s_delay_alu instid0(SALU_CYCLE_1)
	s_or_b32 exec_lo, exec_lo, s2
                                        ; implicit-def: $vgpr8
.LBB85_44:                              ;   in Loop: Header=BB85_10 Depth=1
	s_and_not1_saveexec_b32 s2, s21
	s_cbranch_execz .LBB85_9
; %bb.45:                               ;   in Loop: Header=BB85_10 Depth=1
	v_cmp_eq_u64_e32 vcc_lo, 0, v[3:4]
	v_or_b32_e32 v5, 0x7f, v8
	s_delay_alu instid0(VALU_DEP_1)
	v_cndmask_b32_e32 v7, v5, v7, vcc_lo
	s_branch .LBB85_9
.LBB85_46:
	s_or_b32 exec_lo, exec_lo, s34
	s_delay_alu instid0(SALU_CYCLE_1)
	s_mov_b32 s2, exec_lo
	v_cmpx_gt_i32_e64 s6, v0
	s_cbranch_execz .LBB85_67
; %bb.47:
	s_mul_i32 s2, s16, s11
	s_mul_hi_u32 s9, s16, s10
	s_mul_i32 s8, s16, s10
	s_add_i32 s9, s9, s2
	s_load_b32 s0, s[0:1], 0x8c
	s_lshl_b64 s[8:9], s[8:9], 1
	v_mov_b32_e32 v3, 0
	s_add_u32 s1, s14, s8
	s_addc_u32 s2, s15, s9
	s_ashr_i32 s8, s4, 31
	s_waitcnt lgkmcnt(0)
	s_load_b32 s4, s[24:25], 0x0
	s_mul_i32 s8, s22, s8
	s_delay_alu instid0(SALU_CYCLE_1) | instskip(NEXT) | instid1(SALU_CYCLE_1)
	s_add_i32 s8, s28, s8
	s_add_i32 s8, s8, s29
	s_add_u32 s9, s18, s33
	s_addc_u32 s8, s19, s8
	s_ashr_i32 s5, s5, 31
	s_delay_alu instid0(SALU_CYCLE_1) | instskip(NEXT) | instid1(SALU_CYCLE_1)
	s_mul_i32 s3, s3, s5
	s_add_i32 s3, s23, s3
	s_delay_alu instid0(SALU_CYCLE_1)
	s_add_i32 s5, s3, s7
	s_add_u32 s3, s9, s17
	s_addc_u32 s5, s8, s5
	s_and_b32 s7, s0, 0xffff
	s_mov_b32 s8, 0
	s_branch .LBB85_49
.LBB85_48:                              ;   in Loop: Header=BB85_49 Depth=1
	s_or_b32 exec_lo, exec_lo, s0
	v_add_co_u32 v6, vcc_lo, s3, v0
	v_add_nc_u32_e32 v0, s7, v0
	v_add_co_ci_u32_e32 v7, vcc_lo, s5, v1, vcc_lo
	s_delay_alu instid0(VALU_DEP_2) | instskip(SKIP_2) | instid1(SALU_CYCLE_1)
	v_cmp_le_i32_e32 vcc_lo, s6, v0
	global_store_b8 v[6:7], v5, off
	s_or_b32 s8, vcc_lo, s8
	s_and_not1_b32 exec_lo, exec_lo, s8
	s_cbranch_execz .LBB85_67
.LBB85_49:                              ; =>This Inner Loop Header: Depth=1
	v_ashrrev_i32_e32 v1, 31, v0
	s_mov_b32 s0, exec_lo
	v_mov_b32_e32 v10, v3
	s_delay_alu instid0(VALU_DEP_2) | instskip(NEXT) | instid1(VALU_DEP_1)
	v_lshlrev_b64 v[4:5], 1, v[0:1]
	v_add_co_u32 v4, vcc_lo, s1, v4
	s_delay_alu instid0(VALU_DEP_2) | instskip(SKIP_4) | instid1(VALU_DEP_1)
	v_add_co_ci_u32_e32 v5, vcc_lo, s2, v5, vcc_lo
	global_load_u16 v2, v[4:5], off
	s_waitcnt vmcnt(0)
	v_cvt_f32_f16_e32 v2, v2
	s_waitcnt lgkmcnt(0)
	v_div_scale_f32 v4, null, s4, s4, v2
	s_delay_alu instid0(VALU_DEP_1) | instskip(SKIP_2) | instid1(VALU_DEP_1)
	v_rcp_f32_e32 v5, v4
	s_waitcnt_depctr 0xfff
	v_fma_f32 v6, -v4, v5, 1.0
	v_fmac_f32_e32 v5, v6, v5
	v_div_scale_f32 v6, vcc_lo, v2, s4, v2
	s_delay_alu instid0(VALU_DEP_1) | instskip(NEXT) | instid1(VALU_DEP_1)
	v_mul_f32_e32 v7, v6, v5
	v_fma_f32 v8, -v4, v7, v6
	s_delay_alu instid0(VALU_DEP_1) | instskip(NEXT) | instid1(VALU_DEP_1)
	v_fmac_f32_e32 v7, v8, v5
	v_fma_f32 v4, -v4, v7, v6
	s_delay_alu instid0(VALU_DEP_1) | instskip(NEXT) | instid1(VALU_DEP_1)
	v_div_fmas_f32 v4, v4, v5, v7
	v_div_fixup_f32 v2, v4, s4, v2
	s_delay_alu instid0(VALU_DEP_1) | instskip(NEXT) | instid1(VALU_DEP_1)
	v_cvt_f16_f32_e32 v2, v2
	v_cvt_f32_f16_e32 v4, v2
	s_delay_alu instid0(VALU_DEP_1) | instskip(SKIP_2) | instid1(VALU_DEP_2)
	v_and_b32_e32 v2, 0x7fffff, v4
	v_lshrrev_b32_e32 v6, 24, v4
	v_and_b32_e32 v9, 0x7f800000, v4
	v_and_b32_e32 v8, 0x80, v6
	s_delay_alu instid0(VALU_DEP_1) | instskip(NEXT) | instid1(VALU_DEP_3)
	v_or_b32_e32 v5, 0x7e, v8
	v_cmpx_ne_u64_e32 0x7f800000, v[9:10]
	s_xor_b32 s9, exec_lo, s0
	s_cbranch_execz .LBB85_65
; %bb.50:                               ;   in Loop: Header=BB85_49 Depth=1
	v_dual_mov_b32 v7, v3 :: v_dual_and_b32 v6, 0x7fffffff, v4
	s_mov_b32 s0, exec_lo
	s_delay_alu instid0(VALU_DEP_1)
	v_cmpx_gt_u64_e32 0x43e00001, v[6:7]
	s_xor_b32 s10, exec_lo, s0
	s_cbranch_execz .LBB85_64
; %bb.51:                               ;   in Loop: Header=BB85_49 Depth=1
	v_mov_b32_e32 v5, 0
	s_mov_b32 s11, exec_lo
	v_cmpx_ne_u32_e32 0, v4
	s_cbranch_execz .LBB85_63
; %bb.52:                               ;   in Loop: Header=BB85_49 Depth=1
	v_bfe_u32 v9, v4, 23, 8
	v_or_b32_e32 v6, 0x800000, v2
	s_delay_alu instid0(VALU_DEP_2) | instskip(SKIP_1) | instid1(VALU_DEP_2)
	v_sub_nc_u32_e32 v4, 0x79, v9
	v_cmp_gt_u32_e32 vcc_lo, 0x7a, v9
	v_cndmask_b32_e32 v4, 0, v4, vcc_lo
	v_cmp_eq_u32_e32 vcc_lo, 0, v9
	s_delay_alu instid0(VALU_DEP_2) | instskip(SKIP_1) | instid1(VALU_DEP_2)
	v_cndmask_b32_e64 v10, v4, 0x78, vcc_lo
	v_cndmask_b32_e32 v2, v6, v2, vcc_lo
	v_add_nc_u32_e32 v4, 20, v10
	v_add_nc_u32_e32 v6, 19, v10
	s_delay_alu instid0(VALU_DEP_2) | instskip(NEXT) | instid1(VALU_DEP_2)
	v_lshlrev_b64 v[4:5], v4, -1
	v_lshlrev_b64 v[6:7], v6, 1
	s_delay_alu instid0(VALU_DEP_2) | instskip(NEXT) | instid1(VALU_DEP_3)
	v_not_b32_e32 v5, v5
	v_not_b32_e32 v4, v4
	s_delay_alu instid0(VALU_DEP_2) | instskip(NEXT) | instid1(VALU_DEP_2)
	v_and_b32_e32 v12, 0, v5
	v_and_b32_e32 v11, v2, v4
	v_lshrrev_b64 v[4:5], v10, v[2:3]
	s_delay_alu instid0(VALU_DEP_2) | instskip(NEXT) | instid1(VALU_DEP_2)
	v_cmp_eq_u64_e64 s0, v[11:12], v[6:7]
	v_dual_mov_b32 v7, v5 :: v_dual_mov_b32 v6, v4
	s_delay_alu instid0(VALU_DEP_2)
	s_and_saveexec_b32 s12, s0
; %bb.53:                               ;   in Loop: Header=BB85_49 Depth=1
	v_bfe_u32 v2, v4, 20, 1
	s_delay_alu instid0(VALU_DEP_1) | instskip(NEXT) | instid1(VALU_DEP_1)
	v_add_co_u32 v2, s0, v4, v2
	v_add_co_u32 v6, s0, v2, -1
; %bb.54:                               ;   in Loop: Header=BB85_49 Depth=1
	s_or_b32 exec_lo, exec_lo, s12
	v_add_nc_u32_e32 v2, 0xffffff81, v9
	v_lshrrev_b32_e32 v7, 23, v4
	s_mov_b32 s0, exec_lo
	s_delay_alu instid0(VALU_DEP_2) | instskip(NEXT) | instid1(VALU_DEP_1)
	v_cndmask_b32_e64 v2, v2, 0xffffff82, vcc_lo
	v_add3_u32 v7, v10, v2, v7
	v_and_b32_e32 v2, 0xfffff, v6
	s_delay_alu instid0(VALU_DEP_2) | instskip(NEXT) | instid1(VALU_DEP_2)
	v_add_nc_u32_e32 v6, 6, v7
	v_add_co_u32 v4, vcc_lo, v2, v4
	v_add_co_ci_u32_e32 v5, vcc_lo, 0, v5, vcc_lo
                                        ; implicit-def: $vgpr2
	s_delay_alu instid0(VALU_DEP_3)
	v_cmpx_ne_u32_e32 0, v6
	s_xor_b32 s0, exec_lo, s0
; %bb.55:                               ;   in Loop: Header=BB85_49 Depth=1
	s_delay_alu instid0(VALU_DEP_2) | instskip(SKIP_1) | instid1(VALU_DEP_1)
	v_cmp_lt_u64_e32 vcc_lo, 0xffffff, v[4:5]
	v_add_nc_u32_e32 v2, 7, v7
	v_cndmask_b32_e32 v2, v6, v2, vcc_lo
	v_cndmask_b32_e64 v6, 0, 1, vcc_lo
	s_delay_alu instid0(VALU_DEP_1)
	v_lshrrev_b64 v[4:5], v6, v[4:5]
; %bb.56:                               ;   in Loop: Header=BB85_49 Depth=1
	s_and_not1_saveexec_b32 s0, s0
; %bb.57:                               ;   in Loop: Header=BB85_49 Depth=1
	s_delay_alu instid0(VALU_DEP_1)
	v_bfe_u32 v2, v4, 23, 1
; %bb.58:                               ;   in Loop: Header=BB85_49 Depth=1
	s_or_b32 exec_lo, exec_lo, s0
	s_delay_alu instid0(VALU_DEP_2) | instskip(NEXT) | instid1(VALU_DEP_2)
	v_lshrrev_b64 v[4:5], 20, v[4:5]
	v_cmp_gt_i32_e32 vcc_lo, 16, v2
	v_cmp_ne_u32_e64 s0, 0, v2
	s_delay_alu instid0(VALU_DEP_3) | instskip(NEXT) | instid1(VALU_DEP_1)
	v_dual_cndmask_b32 v5, 0, v5 :: v_dual_cndmask_b32 v4, 7, v4
	v_cmp_ne_u64_e32 vcc_lo, 0, v[4:5]
                                        ; implicit-def: $vgpr5
	s_delay_alu instid0(VALU_DEP_3) | instskip(NEXT) | instid1(SALU_CYCLE_1)
	s_or_b32 s0, s0, vcc_lo
	s_and_saveexec_b32 s12, s0
	s_delay_alu instid0(SALU_CYCLE_1)
	s_xor_b32 s0, exec_lo, s12
; %bb.59:                               ;   in Loop: Header=BB85_49 Depth=1
	v_min_i32_e32 v2, 15, v2
	s_delay_alu instid0(VALU_DEP_1) | instskip(NEXT) | instid1(VALU_DEP_1)
	v_lshl_or_b32 v2, v2, 3, v8
                                        ; implicit-def: $vgpr8
	v_and_or_b32 v5, v4, 7, v2
; %bb.60:                               ;   in Loop: Header=BB85_49 Depth=1
	s_and_not1_saveexec_b32 s0, s0
; %bb.61:                               ;   in Loop: Header=BB85_49 Depth=1
	v_mov_b32_e32 v5, v8
; %bb.62:                               ;   in Loop: Header=BB85_49 Depth=1
	s_or_b32 exec_lo, exec_lo, s0
.LBB85_63:                              ;   in Loop: Header=BB85_49 Depth=1
	s_delay_alu instid0(SALU_CYCLE_1)
	s_or_b32 exec_lo, exec_lo, s11
.LBB85_64:                              ;   in Loop: Header=BB85_49 Depth=1
	s_and_not1_saveexec_b32 s0, s10
	s_delay_alu instid0(SALU_CYCLE_1)
	s_or_b32 exec_lo, exec_lo, s0
                                        ; implicit-def: $vgpr6
.LBB85_65:                              ;   in Loop: Header=BB85_49 Depth=1
	s_and_not1_saveexec_b32 s0, s9
	s_cbranch_execz .LBB85_48
; %bb.66:                               ;   in Loop: Header=BB85_49 Depth=1
	v_cmp_eq_u64_e32 vcc_lo, 0, v[2:3]
	v_or_b32_e32 v4, 0x7f, v6
	s_delay_alu instid0(VALU_DEP_1)
	v_cndmask_b32_e32 v5, v4, v5, vcc_lo
	s_branch .LBB85_48
.LBB85_67:
	s_nop 0
	s_sendmsg sendmsg(MSG_DEALLOC_VGPRS)
	s_endpgm
.LBB85_68:
                                        ; implicit-def: $sgpr22_sgpr23
	s_branch .LBB85_6
	.section	.rodata,"a",@progbits
	.p2align	6, 0x0
	.amdhsa_kernel _ZN4vllm38concat_and_cache_mla_rope_fused_kernelIN3c108BFloat16EfLb0EthLNS_18Fp8KVCacheDataTypeE1EEEvPKlPT_S7_PKS6_PKT0_illlliPT3_S5_iiiiPKf
		.amdhsa_group_segment_fixed_size 0
		.amdhsa_private_segment_fixed_size 0
		.amdhsa_kernarg_size 384
		.amdhsa_user_sgpr_count 15
		.amdhsa_user_sgpr_dispatch_ptr 0
		.amdhsa_user_sgpr_queue_ptr 0
		.amdhsa_user_sgpr_kernarg_segment_ptr 1
		.amdhsa_user_sgpr_dispatch_id 0
		.amdhsa_user_sgpr_private_segment_size 0
		.amdhsa_wavefront_size32 1
		.amdhsa_uses_dynamic_stack 0
		.amdhsa_enable_private_segment 0
		.amdhsa_system_sgpr_workgroup_id_x 1
		.amdhsa_system_sgpr_workgroup_id_y 0
		.amdhsa_system_sgpr_workgroup_id_z 0
		.amdhsa_system_sgpr_workgroup_info 0
		.amdhsa_system_vgpr_workitem_id 0
		.amdhsa_next_free_vgpr 24
		.amdhsa_next_free_sgpr 43
		.amdhsa_reserve_vcc 1
		.amdhsa_float_round_mode_32 0
		.amdhsa_float_round_mode_16_64 0
		.amdhsa_float_denorm_mode_32 3
		.amdhsa_float_denorm_mode_16_64 3
		.amdhsa_dx10_clamp 1
		.amdhsa_ieee_mode 1
		.amdhsa_fp16_overflow 0
		.amdhsa_workgroup_processor_mode 1
		.amdhsa_memory_ordered 1
		.amdhsa_forward_progress 0
		.amdhsa_shared_vgpr_count 0
		.amdhsa_exception_fp_ieee_invalid_op 0
		.amdhsa_exception_fp_denorm_src 0
		.amdhsa_exception_fp_ieee_div_zero 0
		.amdhsa_exception_fp_ieee_overflow 0
		.amdhsa_exception_fp_ieee_underflow 0
		.amdhsa_exception_fp_ieee_inexact 0
		.amdhsa_exception_int_div_zero 0
	.end_amdhsa_kernel
	.section	.text._ZN4vllm38concat_and_cache_mla_rope_fused_kernelIN3c108BFloat16EfLb0EthLNS_18Fp8KVCacheDataTypeE1EEEvPKlPT_S7_PKS6_PKT0_illlliPT3_S5_iiiiPKf,"axG",@progbits,_ZN4vllm38concat_and_cache_mla_rope_fused_kernelIN3c108BFloat16EfLb0EthLNS_18Fp8KVCacheDataTypeE1EEEvPKlPT_S7_PKS6_PKT0_illlliPT3_S5_iiiiPKf,comdat
.Lfunc_end85:
	.size	_ZN4vllm38concat_and_cache_mla_rope_fused_kernelIN3c108BFloat16EfLb0EthLNS_18Fp8KVCacheDataTypeE1EEEvPKlPT_S7_PKS6_PKT0_illlliPT3_S5_iiiiPKf, .Lfunc_end85-_ZN4vllm38concat_and_cache_mla_rope_fused_kernelIN3c108BFloat16EfLb0EthLNS_18Fp8KVCacheDataTypeE1EEEvPKlPT_S7_PKS6_PKT0_illlliPT3_S5_iiiiPKf
                                        ; -- End function
	.section	.AMDGPU.csdata,"",@progbits
; Kernel info:
; codeLenInByte = 5220
; NumSgprs: 45
; NumVgprs: 24
; ScratchSize: 0
; MemoryBound: 0
; FloatMode: 240
; IeeeMode: 1
; LDSByteSize: 0 bytes/workgroup (compile time only)
; SGPRBlocks: 5
; VGPRBlocks: 2
; NumSGPRsForWavesPerEU: 45
; NumVGPRsForWavesPerEU: 24
; Occupancy: 16
; WaveLimiterHint : 1
; COMPUTE_PGM_RSRC2:SCRATCH_EN: 0
; COMPUTE_PGM_RSRC2:USER_SGPR: 15
; COMPUTE_PGM_RSRC2:TRAP_HANDLER: 0
; COMPUTE_PGM_RSRC2:TGID_X_EN: 1
; COMPUTE_PGM_RSRC2:TGID_Y_EN: 0
; COMPUTE_PGM_RSRC2:TGID_Z_EN: 0
; COMPUTE_PGM_RSRC2:TIDIG_COMP_CNT: 0
	.section	.text._ZN4vllm38concat_and_cache_mla_rope_fused_kernelIN3c108BFloat16ENS1_4HalfELb1EthLNS_18Fp8KVCacheDataTypeE1EEEvPKlPT_S8_PKS7_PKT0_illlliPT3_S6_iiiiPKf,"axG",@progbits,_ZN4vllm38concat_and_cache_mla_rope_fused_kernelIN3c108BFloat16ENS1_4HalfELb1EthLNS_18Fp8KVCacheDataTypeE1EEEvPKlPT_S8_PKS7_PKT0_illlliPT3_S6_iiiiPKf,comdat
	.protected	_ZN4vllm38concat_and_cache_mla_rope_fused_kernelIN3c108BFloat16ENS1_4HalfELb1EthLNS_18Fp8KVCacheDataTypeE1EEEvPKlPT_S8_PKS7_PKT0_illlliPT3_S6_iiiiPKf ; -- Begin function _ZN4vllm38concat_and_cache_mla_rope_fused_kernelIN3c108BFloat16ENS1_4HalfELb1EthLNS_18Fp8KVCacheDataTypeE1EEEvPKlPT_S8_PKS7_PKT0_illlliPT3_S6_iiiiPKf
	.globl	_ZN4vllm38concat_and_cache_mla_rope_fused_kernelIN3c108BFloat16ENS1_4HalfELb1EthLNS_18Fp8KVCacheDataTypeE1EEEvPKlPT_S8_PKS7_PKT0_illlliPT3_S6_iiiiPKf
	.p2align	8
	.type	_ZN4vllm38concat_and_cache_mla_rope_fused_kernelIN3c108BFloat16ENS1_4HalfELb1EthLNS_18Fp8KVCacheDataTypeE1EEEvPKlPT_S8_PKS7_PKT0_illlliPT3_S6_iiiiPKf,@function
_ZN4vllm38concat_and_cache_mla_rope_fused_kernelIN3c108BFloat16ENS1_4HalfELb1EthLNS_18Fp8KVCacheDataTypeE1EEEvPKlPT_S8_PKS7_PKT0_illlliPT3_S6_iiiiPKf: ; @_ZN4vllm38concat_and_cache_mla_rope_fused_kernelIN3c108BFloat16ENS1_4HalfELb1EthLNS_18Fp8KVCacheDataTypeE1EEEvPKlPT_S8_PKS7_PKT0_illlliPT3_S6_iiiiPKf
; %bb.0:
	s_load_b64 s[4:5], s[0:1], 0x60
	s_mov_b32 s16, s15
	s_mov_b32 s17, 0
	s_delay_alu instid0(SALU_CYCLE_1)
	s_lshl_b64 s[2:3], s[16:17], 3
	s_waitcnt lgkmcnt(0)
	s_add_u32 s4, s4, s2
	s_addc_u32 s5, s5, s3
	s_load_b64 s[30:31], s[4:5], 0x0
	s_waitcnt lgkmcnt(0)
	v_cmp_lt_i64_e64 s4, s[30:31], 0
	s_delay_alu instid0(VALU_DEP_1)
	s_and_b32 vcc_lo, exec_lo, s4
	s_cbranch_vccnz .LBB86_67
; %bb.1:
	s_clause 0x2
	s_load_b32 s20, s[0:1], 0x28
	s_load_b64 s[4:5], s[0:1], 0x0
	s_load_b128 s[12:15], s[0:1], 0x10
	s_mov_b32 s23, exec_lo
	s_waitcnt lgkmcnt(0)
	s_ashr_i32 s17, s20, 31
	s_add_u32 s2, s4, s2
	s_addc_u32 s3, s5, s3
	s_load_b64 s[2:3], s[2:3], 0x0
	s_clause 0x3
	s_load_b64 s[26:27], s[0:1], 0x20
	s_load_b32 s21, s[0:1], 0x50
	s_load_b64 s[18:19], s[0:1], 0x58
	s_load_b256 s[4:11], s[0:1], 0x30
	s_waitcnt lgkmcnt(0)
	s_mul_i32 s17, s2, s17
	s_mul_hi_u32 s22, s2, s20
	s_mul_i32 s3, s3, s20
	s_add_i32 s17, s22, s17
	s_mul_i32 s2, s2, s20
	s_add_i32 s3, s17, s3
	s_delay_alu instid0(SALU_CYCLE_1) | instskip(NEXT) | instid1(SALU_CYCLE_1)
	s_lshl_b64 s[28:29], s[2:3], 1
	s_add_u32 s17, s26, s28
	s_addc_u32 s33, s27, s29
	s_lshr_b32 s2, s20, 31
	s_delay_alu instid0(SALU_CYCLE_1) | instskip(NEXT) | instid1(SALU_CYCLE_1)
	s_add_i32 s20, s20, s2
	s_ashr_i32 s20, s20, 1
	s_delay_alu instid0(SALU_CYCLE_1) | instskip(NEXT) | instid1(SALU_CYCLE_1)
	s_mul_i32 s22, s20, s21
	v_cmpx_gt_i32_e64 s22, v0
	s_cbranch_execz .LBB86_4
; %bb.2:
	s_clause 0x1
	s_load_b64 s[2:3], s[0:1], 0x8
	s_load_b32 s35, s[0:1], 0x8c
	s_mul_i32 s5, s16, s5
	s_mul_hi_u32 s21, s16, s4
	s_mul_i32 s4, s16, s4
	s_add_i32 s5, s21, s5
	s_ashr_i32 s21, s20, 31
	s_lshl_b64 s[4:5], s[4:5], 1
	s_mov_b32 s36, 0
	s_waitcnt lgkmcnt(0)
	s_add_u32 s24, s2, s4
	s_addc_u32 s25, s3, s5
	s_abs_i32 s34, s20
	s_and_b32 s35, s35, 0xffff
	v_cvt_f32_u32_e32 v1, s34
	s_sub_i32 s2, 0, s34
	s_sub_i32 s37, 0, s20
	s_lshl_b64 s[4:5], s[20:21], 1
	s_delay_alu instid0(VALU_DEP_1) | instskip(SKIP_2) | instid1(VALU_DEP_1)
	v_rcp_iflag_f32_e32 v1, v1
	s_waitcnt_depctr 0xfff
	v_mul_f32_e32 v1, 0x4f7ffffe, v1
	v_cvt_u32_f32_e32 v1, v1
	s_delay_alu instid0(VALU_DEP_1) | instskip(NEXT) | instid1(VALU_DEP_1)
	v_mul_lo_u32 v2, s2, v1
	v_mul_hi_u32 v2, v1, v2
	s_delay_alu instid0(VALU_DEP_1)
	v_dual_mov_b32 v1, v0 :: v_dual_add_nc_u32 v2, v1, v2
.LBB86_3:                               ; =>This Inner Loop Header: Depth=1
	s_delay_alu instid0(VALU_DEP_1) | instskip(SKIP_1) | instid1(VALU_DEP_2)
	v_sub_nc_u32_e32 v3, 0, v1
	v_ashrrev_i32_e32 v4, 31, v1
	v_max_i32_e32 v3, v1, v3
	s_delay_alu instid0(VALU_DEP_2) | instskip(NEXT) | instid1(VALU_DEP_2)
	v_xor_b32_e32 v4, s21, v4
	v_mul_hi_u32 v5, v3, v2
	s_delay_alu instid0(VALU_DEP_1) | instskip(SKIP_1) | instid1(VALU_DEP_2)
	v_mul_lo_u32 v6, v5, s34
	v_add_nc_u32_e32 v7, 1, v5
	v_sub_nc_u32_e32 v3, v3, v6
	s_delay_alu instid0(VALU_DEP_1) | instskip(SKIP_1) | instid1(VALU_DEP_4)
	v_subrev_nc_u32_e32 v6, s34, v3
	v_cmp_le_u32_e32 vcc_lo, s34, v3
	v_cndmask_b32_e32 v5, v5, v7, vcc_lo
	s_delay_alu instid0(VALU_DEP_1) | instskip(NEXT) | instid1(VALU_DEP_1)
	v_dual_cndmask_b32 v3, v3, v6 :: v_dual_add_nc_u32 v6, 1, v5
	v_cmp_le_u32_e32 vcc_lo, s34, v3
	s_delay_alu instid0(VALU_DEP_2) | instskip(NEXT) | instid1(VALU_DEP_1)
	v_cndmask_b32_e32 v3, v5, v6, vcc_lo
	v_xor_b32_e32 v3, v3, v4
	s_delay_alu instid0(VALU_DEP_1) | instskip(NEXT) | instid1(VALU_DEP_1)
	v_sub_nc_u32_e32 v7, v3, v4
	v_mad_u64_u32 v[3:4], null, s37, v7, v[1:2]
	v_ashrrev_i32_e32 v8, 31, v7
	v_mul_lo_u32 v9, v7, s7
	v_mad_u64_u32 v[5:6], null, v7, s6, 0
	v_add_nc_u32_e32 v1, s35, v1
	s_delay_alu instid0(VALU_DEP_4) | instskip(SKIP_1) | instid1(VALU_DEP_1)
	v_mul_lo_u32 v7, v8, s6
	v_ashrrev_i32_e32 v4, 31, v3
	v_lshlrev_b64 v[3:4], 1, v[3:4]
	s_delay_alu instid0(VALU_DEP_3) | instskip(NEXT) | instid1(VALU_DEP_2)
	v_add3_u32 v6, v6, v9, v7
	v_add_co_u32 v7, vcc_lo, s17, v3
	s_delay_alu instid0(VALU_DEP_3) | instskip(NEXT) | instid1(VALU_DEP_3)
	v_add_co_ci_u32_e32 v8, vcc_lo, s33, v4, vcc_lo
	v_lshlrev_b64 v[5:6], 1, v[5:6]
	global_load_u16 v9, v[7:8], off
	v_add_co_u32 v7, vcc_lo, v7, s4
	v_add_co_ci_u32_e32 v8, vcc_lo, s5, v8, vcc_lo
	v_add_co_u32 v5, vcc_lo, s24, v5
	v_add_co_ci_u32_e32 v6, vcc_lo, s25, v6, vcc_lo
	global_load_u16 v7, v[7:8], off
	v_add_co_u32 v3, vcc_lo, v5, v3
	v_add_co_ci_u32_e32 v4, vcc_lo, v6, v4, vcc_lo
	s_delay_alu instid0(VALU_DEP_2) | instskip(NEXT) | instid1(VALU_DEP_2)
	v_add_co_u32 v5, vcc_lo, v3, s4
	v_add_co_ci_u32_e32 v6, vcc_lo, s5, v4, vcc_lo
	s_clause 0x1
	global_load_u16 v8, v[3:4], off
	global_load_u16 v10, v[5:6], off
	s_waitcnt vmcnt(3)
	v_cvt_f32_f16_e32 v11, v9
	v_cmp_o_f16_e32 vcc_lo, v9, v9
	s_delay_alu instid0(VALU_DEP_2) | instskip(SKIP_2) | instid1(VALU_DEP_2)
	v_bfe_u32 v13, v11, 16, 1
	s_waitcnt vmcnt(2)
	v_cvt_f32_f16_e32 v12, v7
	v_add3_u32 v11, v11, v13, 0x7fff
	s_delay_alu instid0(VALU_DEP_2) | instskip(NEXT) | instid1(VALU_DEP_2)
	v_bfe_u32 v13, v12, 16, 1
	v_and_b32_e32 v11, 0xffff0000, v11
	s_delay_alu instid0(VALU_DEP_2)
	v_add3_u32 v12, v12, v13, 0x7fff
	s_waitcnt vmcnt(1)
	v_lshlrev_b32_e32 v8, 16, v8
	s_waitcnt vmcnt(0)
	v_dual_cndmask_b32 v9, 0x7fc00000, v11 :: v_dual_lshlrev_b32 v10, 16, v10
	v_cmp_o_f16_e32 vcc_lo, v7, v7
	v_and_b32_e32 v11, 0xffff0000, v12
	s_delay_alu instid0(VALU_DEP_3) | instskip(NEXT) | instid1(VALU_DEP_2)
	v_mul_f32_e32 v7, v9, v8
	v_cndmask_b32_e32 v11, 0x7fc00000, v11, vcc_lo
	s_delay_alu instid0(VALU_DEP_2) | instskip(SKIP_1) | instid1(VALU_DEP_3)
	v_bfe_u32 v12, v7, 16, 1
	v_cmp_o_f32_e64 s2, v7, v7
	v_mul_f32_e32 v8, v11, v8
	s_delay_alu instid0(VALU_DEP_3) | instskip(SKIP_2) | instid1(VALU_DEP_4)
	v_add3_u32 v12, v7, v12, 0x7fff
	v_mul_f32_e32 v9, v9, v10
	v_mul_f32_e32 v10, v11, v10
	v_bfe_u32 v14, v8, 16, 1
	s_delay_alu instid0(VALU_DEP_4) | instskip(NEXT) | instid1(VALU_DEP_4)
	v_and_b32_e32 v12, 0xffff0000, v12
	v_bfe_u32 v11, v9, 16, 1
	s_delay_alu instid0(VALU_DEP_4) | instskip(NEXT) | instid1(VALU_DEP_4)
	v_bfe_u32 v13, v10, 16, 1
	v_add3_u32 v14, v8, v14, 0x7fff
	v_cmp_o_f32_e32 vcc_lo, v9, v9
	s_delay_alu instid0(VALU_DEP_4) | instskip(NEXT) | instid1(VALU_DEP_4)
	v_add3_u32 v11, v9, v11, 0x7fff
	v_add3_u32 v13, v10, v13, 0x7fff
	v_cndmask_b32_e64 v9, 0x7fc00000, v12, s2
	v_and_b32_e32 v12, 0xffff0000, v14
	v_cmp_o_f32_e64 s2, v10, v10
	v_and_b32_e32 v11, 0xffff0000, v11
	s_delay_alu instid0(VALU_DEP_1) | instskip(SKIP_4) | instid1(VALU_DEP_3)
	v_cndmask_b32_e32 v11, 0x7fc00000, v11, vcc_lo
	v_cmp_o_f32_e32 vcc_lo, v8, v8
	v_cndmask_b32_e32 v8, 0x7fc00000, v12, vcc_lo
	v_and_b32_e32 v7, 0xffff0000, v13
	v_cmp_le_i32_e32 vcc_lo, s22, v1
	v_add_f32_e32 v8, v11, v8
	s_delay_alu instid0(VALU_DEP_3) | instskip(SKIP_1) | instid1(VALU_DEP_2)
	v_cndmask_b32_e64 v7, 0x7fc00000, v7, s2
	s_or_b32 s36, vcc_lo, s36
	v_bfe_u32 v10, v8, 16, 1
	s_delay_alu instid0(VALU_DEP_2) | instskip(SKIP_1) | instid1(VALU_DEP_3)
	v_sub_f32_e32 v7, v9, v7
	v_cmp_o_f32_e64 s2, v8, v8
	v_add3_u32 v10, v8, v10, 0x7fff
	s_delay_alu instid0(VALU_DEP_3) | instskip(SKIP_1) | instid1(VALU_DEP_3)
	v_bfe_u32 v9, v7, 16, 1
	v_cmp_o_f32_e64 s3, v7, v7
	v_lshrrev_b32_e32 v10, 16, v10
	s_delay_alu instid0(VALU_DEP_3) | instskip(NEXT) | instid1(VALU_DEP_2)
	v_add3_u32 v9, v7, v9, 0x7fff
	v_cndmask_b32_e64 v8, 0x7fc0, v10, s2
	s_delay_alu instid0(VALU_DEP_2) | instskip(NEXT) | instid1(VALU_DEP_1)
	v_lshrrev_b32_e32 v9, 16, v9
	v_cndmask_b32_e64 v7, 0x7fc0, v9, s3
	s_clause 0x1
	global_store_b16 v[3:4], v7, off
	global_store_b16 v[5:6], v8, off
	s_and_not1_b32 exec_lo, exec_lo, s36
	s_cbranch_execnz .LBB86_3
.LBB86_4:
	s_or_b32 exec_lo, exec_lo, s23
	s_load_b128 s[4:7], s[0:1], 0x68
	s_waitcnt lgkmcnt(0)
	s_ashr_i32 s3, s7, 31
	s_mov_b32 s2, s7
	s_delay_alu instid0(SALU_CYCLE_1) | instskip(SKIP_1) | instid1(SALU_CYCLE_1)
	s_or_b64 s[24:25], s[30:31], s[2:3]
	s_mov_b32 s24, 0
	s_cmp_lg_u64 s[24:25], 0
	s_cbranch_scc0 .LBB86_68
; %bb.5:
	s_add_u32 s34, s2, s3
	s_mov_b32 s22, s3
	s_mov_b32 s23, s3
	s_addc_u32 s35, s3, s3
	s_delay_alu instid0(SALU_CYCLE_1) | instskip(NEXT) | instid1(SALU_CYCLE_1)
	s_xor_b64 s[34:35], s[34:35], s[22:23]
	v_cvt_f32_u32_e32 v1, s34
	v_cvt_f32_u32_e32 v2, s35
	s_sub_u32 s25, 0, s34
	s_subb_u32 s36, 0, s35
	s_delay_alu instid0(VALU_DEP_1) | instskip(NEXT) | instid1(VALU_DEP_1)
	v_fmamk_f32 v1, v2, 0x4f800000, v1
	v_rcp_f32_e32 v1, v1
	s_waitcnt_depctr 0xfff
	v_mul_f32_e32 v1, 0x5f7ffffc, v1
	s_delay_alu instid0(VALU_DEP_1) | instskip(NEXT) | instid1(VALU_DEP_1)
	v_mul_f32_e32 v2, 0x2f800000, v1
	v_trunc_f32_e32 v2, v2
	s_delay_alu instid0(VALU_DEP_1) | instskip(SKIP_1) | instid1(VALU_DEP_2)
	v_fmamk_f32 v1, v2, 0xcf800000, v1
	v_cvt_u32_f32_e32 v2, v2
	v_cvt_u32_f32_e32 v1, v1
	s_delay_alu instid0(VALU_DEP_2) | instskip(NEXT) | instid1(VALU_DEP_2)
	v_readfirstlane_b32 s7, v2
	v_readfirstlane_b32 s21, v1
	s_delay_alu instid0(VALU_DEP_2) | instskip(NEXT) | instid1(VALU_DEP_1)
	s_mul_i32 s37, s25, s7
	s_mul_hi_u32 s39, s25, s21
	s_mul_i32 s38, s36, s21
	s_add_i32 s37, s39, s37
	s_mul_i32 s40, s25, s21
	s_add_i32 s37, s37, s38
	s_mul_hi_u32 s39, s21, s40
	s_mul_hi_u32 s41, s7, s40
	s_mul_i32 s38, s7, s40
	s_mul_hi_u32 s40, s21, s37
	s_mul_i32 s21, s21, s37
	s_mul_hi_u32 s42, s7, s37
	s_add_u32 s21, s39, s21
	s_addc_u32 s39, 0, s40
	s_add_u32 s21, s21, s38
	s_mul_i32 s37, s7, s37
	s_addc_u32 s21, s39, s41
	s_addc_u32 s38, s42, 0
	s_add_u32 s21, s21, s37
	s_addc_u32 s37, 0, s38
	v_add_co_u32 v1, s21, v1, s21
	s_delay_alu instid0(VALU_DEP_1) | instskip(SKIP_1) | instid1(VALU_DEP_1)
	s_cmp_lg_u32 s21, 0
	s_addc_u32 s7, s7, s37
	v_readfirstlane_b32 s21, v1
	s_mul_i32 s37, s25, s7
	s_delay_alu instid0(VALU_DEP_1)
	s_mul_hi_u32 s38, s25, s21
	s_mul_i32 s36, s36, s21
	s_add_i32 s37, s38, s37
	s_mul_i32 s25, s25, s21
	s_add_i32 s37, s37, s36
	s_mul_hi_u32 s38, s7, s25
	s_mul_i32 s39, s7, s25
	s_mul_hi_u32 s25, s21, s25
	s_mul_hi_u32 s40, s21, s37
	s_mul_i32 s21, s21, s37
	s_mul_hi_u32 s36, s7, s37
	s_add_u32 s21, s25, s21
	s_addc_u32 s25, 0, s40
	s_add_u32 s21, s21, s39
	s_mul_i32 s37, s7, s37
	s_addc_u32 s21, s25, s38
	s_addc_u32 s25, s36, 0
	s_add_u32 s21, s21, s37
	s_addc_u32 s25, 0, s25
	v_add_co_u32 v1, s21, v1, s21
	s_delay_alu instid0(VALU_DEP_1) | instskip(SKIP_2) | instid1(VALU_DEP_1)
	s_cmp_lg_u32 s21, 0
	s_addc_u32 s7, s7, s25
	s_ashr_i32 s36, s31, 31
	v_readfirstlane_b32 s21, v1
	s_add_u32 s38, s30, s36
	s_mov_b32 s37, s36
	s_addc_u32 s39, s31, s36
	s_delay_alu instid0(SALU_CYCLE_1) | instskip(NEXT) | instid1(SALU_CYCLE_1)
	s_xor_b64 s[38:39], s[38:39], s[36:37]
	s_mul_i32 s40, s38, s7
	s_mul_hi_u32 s41, s38, s21
	s_mul_hi_u32 s25, s38, s7
	;; [unrolled: 1-line block ×3, first 2 shown]
	s_mul_i32 s21, s39, s21
	s_add_u32 s40, s41, s40
	s_addc_u32 s25, 0, s25
	s_mul_hi_u32 s42, s39, s7
	s_add_u32 s21, s40, s21
	s_mul_i32 s7, s39, s7
	s_addc_u32 s21, s25, s43
	s_addc_u32 s25, s42, 0
	s_add_u32 s7, s21, s7
	s_addc_u32 s21, 0, s25
	s_mul_i32 s42, s34, s7
	s_mul_hi_u32 s25, s34, s7
	s_mul_i32 s41, s34, s21
	v_sub_co_u32 v1, s38, s38, s42
	s_mul_i32 s40, s35, s7
	s_add_i32 s25, s25, s41
	s_delay_alu instid0(SALU_CYCLE_1) | instskip(NEXT) | instid1(VALU_DEP_1)
	s_add_i32 s25, s25, s40
	v_sub_co_u32 v2, s41, v1, s34
	s_sub_i32 s40, s39, s25
	s_cmp_lg_u32 s38, 0
	s_subb_u32 s40, s40, s35
	s_cmp_lg_u32 s41, 0
	v_readfirstlane_b32 s41, v2
	s_subb_u32 s40, s40, 0
	s_delay_alu instid0(SALU_CYCLE_1) | instskip(SKIP_1) | instid1(VALU_DEP_1)
	s_cmp_ge_u32 s40, s35
	s_cselect_b32 s42, -1, 0
	s_cmp_ge_u32 s41, s34
	s_cselect_b32 s41, -1, 0
	s_cmp_eq_u32 s40, s35
	s_cselect_b32 s40, s41, s42
	s_add_u32 s41, s7, 1
	s_addc_u32 s42, s21, 0
	s_add_u32 s43, s7, 2
	s_addc_u32 s44, s21, 0
	s_cmp_lg_u32 s40, 0
	s_cselect_b32 s40, s43, s41
	s_cselect_b32 s41, s44, s42
	s_cmp_lg_u32 s38, 0
	v_readfirstlane_b32 s38, v1
	s_subb_u32 s25, s39, s25
	s_delay_alu instid0(SALU_CYCLE_1) | instskip(SKIP_1) | instid1(VALU_DEP_1)
	s_cmp_ge_u32 s25, s35
	s_cselect_b32 s39, -1, 0
	s_cmp_ge_u32 s38, s34
	s_cselect_b32 s34, -1, 0
	s_cmp_eq_u32 s25, s35
	s_cselect_b32 s25, s34, s39
	s_delay_alu instid0(SALU_CYCLE_1) | instskip(SKIP_3) | instid1(SALU_CYCLE_1)
	s_cmp_lg_u32 s25, 0
	s_cselect_b32 s35, s41, s21
	s_cselect_b32 s34, s40, s7
	s_xor_b64 s[22:23], s[36:37], s[22:23]
	s_xor_b64 s[34:35], s[34:35], s[22:23]
	s_delay_alu instid0(SALU_CYCLE_1)
	s_sub_u32 s22, s34, s22
	s_subb_u32 s23, s35, s23
	s_and_not1_b32 vcc_lo, exec_lo, s24
	s_cbranch_vccnz .LBB86_7
.LBB86_6:
	v_cvt_f32_u32_e32 v1, s2
	s_sub_i32 s21, 0, s2
	s_delay_alu instid0(VALU_DEP_1) | instskip(SKIP_2) | instid1(VALU_DEP_1)
	v_rcp_iflag_f32_e32 v1, v1
	s_waitcnt_depctr 0xfff
	v_mul_f32_e32 v1, 0x4f7ffffe, v1
	v_cvt_u32_f32_e32 v1, v1
	s_delay_alu instid0(VALU_DEP_1) | instskip(NEXT) | instid1(VALU_DEP_1)
	v_readfirstlane_b32 s7, v1
	s_mul_i32 s21, s21, s7
	s_delay_alu instid0(SALU_CYCLE_1) | instskip(NEXT) | instid1(SALU_CYCLE_1)
	s_mul_hi_u32 s21, s7, s21
	s_add_i32 s7, s7, s21
	s_delay_alu instid0(SALU_CYCLE_1) | instskip(NEXT) | instid1(SALU_CYCLE_1)
	s_mul_hi_u32 s7, s30, s7
	s_mul_i32 s21, s7, s2
	s_add_i32 s22, s7, 1
	s_sub_i32 s21, s30, s21
	s_delay_alu instid0(SALU_CYCLE_1)
	s_sub_i32 s23, s21, s2
	s_cmp_ge_u32 s21, s2
	s_cselect_b32 s7, s22, s7
	s_cselect_b32 s21, s23, s21
	s_add_i32 s22, s7, 1
	s_cmp_ge_u32 s21, s2
	s_mov_b32 s23, 0
	s_cselect_b32 s22, s22, s7
.LBB86_7:
	s_load_b64 s[24:25], s[0:1], 0x78
	s_mul_i32 s3, s22, s3
	s_mul_hi_u32 s7, s22, s2
	s_mul_i32 s34, s23, s4
	s_add_i32 s3, s7, s3
	s_mul_i32 s7, s23, s2
	s_mul_i32 s2, s22, s2
	s_add_i32 s7, s3, s7
	s_sub_u32 s3, s30, s2
	s_subb_u32 s7, s31, s7
	s_mul_hi_u32 s31, s22, s4
	s_mul_i32 s35, s22, s4
	s_mul_hi_u32 s30, s3, s5
	s_mul_i32 s7, s7, s5
	s_mul_i32 s23, s3, s5
	s_mov_b32 s36, exec_lo
	v_cmpx_gt_i32_e64 s20, v0
	s_cbranch_execz .LBB86_46
; %bb.8:
	s_load_b32 s2, s[0:1], 0x8c
	s_mul_i32 s9, s16, s9
	s_mul_hi_u32 s37, s16, s8
	s_mul_i32 s38, s16, s8
	s_add_i32 s39, s37, s9
	s_ashr_i32 s21, s20, 31
	s_lshl_b64 s[40:41], s[38:39], 1
	s_waitcnt lgkmcnt(0)
	s_load_b32 s8, s[24:25], 0x0
	s_add_u32 s9, s12, s40
	s_addc_u32 s37, s13, s41
	s_ashr_i32 s38, s4, 31
	s_ashr_i32 s39, s5, 31
	s_mul_i32 s38, s22, s38
	s_mul_i32 s39, s3, s39
	s_add_i32 s38, s31, s38
	s_add_i32 s39, s30, s39
	;; [unrolled: 1-line block ×3, first 2 shown]
	s_lshl_b64 s[42:43], s[20:21], 1
	s_ashr_i32 s44, s6, 31
	s_add_i32 s46, s39, s7
	s_and_b32 s38, s2, 0xffff
	v_dual_mov_b32 v2, 0 :: v_dual_lshlrev_b32 v9, 1, v0
	s_lshl_b32 s39, s38, 1
	s_add_u32 s2, s28, s42
	s_addc_u32 s28, s29, s43
	s_add_u32 s26, s26, s2
	s_addc_u32 s27, s27, s28
	;; [unrolled: 2-line block ×7, first 2 shown]
	v_add_co_u32 v3, s2, s2, v0
	s_delay_alu instid0(VALU_DEP_1)
	v_add_co_ci_u32_e64 v4, null, s28, 0, s2
	v_mov_b32_e32 v10, v0
	s_mov_b32 s28, 0
	s_branch .LBB86_10
.LBB86_9:                               ;   in Loop: Header=BB86_10 Depth=1
	s_or_b32 exec_lo, exec_lo, s2
	v_add_nc_u32_e32 v10, s38, v10
	v_add_co_u32 v5, vcc_lo, v3, s20
	s_add_u32 s17, s17, s39
	s_addc_u32 s33, s33, 0
	v_add_co_ci_u32_e32 v6, vcc_lo, s21, v4, vcc_lo
	s_add_u32 s26, s26, s39
	s_addc_u32 s27, s27, 0
	v_cmp_le_i32_e32 vcc_lo, s20, v10
	v_add_co_u32 v3, s2, v3, s38
	s_add_u32 s12, s12, s39
	s_addc_u32 s13, s13, 0
	v_add_co_ci_u32_e64 v4, s2, 0, v4, s2
	s_add_u32 s9, s9, s39
	s_addc_u32 s37, s37, 0
	s_or_b32 s28, vcc_lo, s28
	global_store_b8 v[5:6], v7, off
	s_and_not1_b32 exec_lo, exec_lo, s28
	s_cbranch_execz .LBB86_46
.LBB86_10:                              ; =>This Inner Loop Header: Depth=1
	v_add_co_u32 v5, s2, s17, v9
	s_delay_alu instid0(VALU_DEP_1) | instskip(SKIP_1) | instid1(VALU_DEP_1)
	v_add_co_ci_u32_e64 v6, null, s33, 0, s2
	v_add_co_u32 v7, s2, s26, v9
	v_add_co_ci_u32_e64 v8, null, s27, 0, s2
	global_load_u16 v1, v[5:6], off
	global_load_u16 v5, v[7:8], off
	v_add_co_u32 v13, s2, s12, v9
	s_delay_alu instid0(VALU_DEP_1) | instskip(SKIP_1) | instid1(VALU_DEP_1)
	v_add_co_ci_u32_e64 v14, null, s13, 0, s2
	v_add_co_u32 v15, s2, s9, v9
	v_add_co_ci_u32_e64 v16, null, s37, 0, s2
	global_load_u16 v6, v[13:14], off
	global_load_u16 v7, v[15:16], off
	s_waitcnt vmcnt(3)
	v_cvt_f32_f16_e32 v8, v1
	s_waitcnt vmcnt(2)
	v_cvt_f32_f16_e32 v11, v5
	v_cmp_o_f16_e32 vcc_lo, v1, v1
	s_delay_alu instid0(VALU_DEP_3) | instskip(NEXT) | instid1(VALU_DEP_3)
	v_bfe_u32 v12, v8, 16, 1
	v_bfe_u32 v17, v11, 16, 1
	s_delay_alu instid0(VALU_DEP_2) | instskip(NEXT) | instid1(VALU_DEP_2)
	v_add3_u32 v8, v8, v12, 0x7fff
	v_add3_u32 v11, v11, v17, 0x7fff
	s_waitcnt vmcnt(1)
	v_lshlrev_b32_e32 v6, 16, v6
	s_waitcnt vmcnt(0)
	v_lshlrev_b32_e32 v7, 16, v7
	v_and_b32_e32 v8, 0xffff0000, v8
	v_and_b32_e32 v11, 0xffff0000, v11
	s_delay_alu instid0(VALU_DEP_2) | instskip(SKIP_1) | instid1(VALU_DEP_3)
	v_cndmask_b32_e32 v1, 0x7fc00000, v8, vcc_lo
	v_cmp_o_f16_e32 vcc_lo, v5, v5
	v_cndmask_b32_e32 v5, 0x7fc00000, v11, vcc_lo
	s_delay_alu instid0(VALU_DEP_1) | instskip(NEXT) | instid1(VALU_DEP_1)
	v_mul_f32_e32 v11, v5, v6
	v_bfe_u32 v17, v11, 16, 1
	s_delay_alu instid0(VALU_DEP_1) | instskip(SKIP_2) | instid1(VALU_DEP_3)
	v_add3_u32 v17, v11, v17, 0x7fff
	v_mul_f32_e32 v8, v1, v7
	v_mul_f32_e32 v1, v1, v6
	v_and_b32_e32 v17, 0xffff0000, v17
	s_delay_alu instid0(VALU_DEP_3) | instskip(SKIP_1) | instid1(VALU_DEP_4)
	v_bfe_u32 v12, v8, 16, 1
	v_cmp_o_f32_e32 vcc_lo, v8, v8
	v_bfe_u32 v19, v1, 16, 1
	s_delay_alu instid0(VALU_DEP_3) | instskip(NEXT) | instid1(VALU_DEP_2)
	v_add3_u32 v12, v8, v12, 0x7fff
	v_add3_u32 v19, v1, v19, 0x7fff
	s_delay_alu instid0(VALU_DEP_2) | instskip(NEXT) | instid1(VALU_DEP_2)
	v_and_b32_e32 v12, 0xffff0000, v12
	v_and_b32_e32 v19, 0xffff0000, v19
	s_delay_alu instid0(VALU_DEP_2) | instskip(SKIP_2) | instid1(VALU_DEP_1)
	v_cndmask_b32_e32 v8, 0x7fc00000, v12, vcc_lo
	v_cmp_o_f32_e32 vcc_lo, v11, v11
	v_cndmask_b32_e32 v11, 0x7fc00000, v17, vcc_lo
	v_sub_f32_e32 v8, v8, v11
	s_delay_alu instid0(VALU_DEP_1) | instskip(SKIP_1) | instid1(VALU_DEP_2)
	v_bfe_u32 v11, v8, 16, 1
	v_cmp_o_f32_e32 vcc_lo, v8, v8
	v_add3_u32 v11, v8, v11, 0x7fff
	s_delay_alu instid0(VALU_DEP_1) | instskip(NEXT) | instid1(VALU_DEP_1)
	v_lshrrev_b32_e32 v11, 16, v11
	v_cndmask_b32_e32 v8, 0x7fc0, v11, vcc_lo
	s_delay_alu instid0(VALU_DEP_1) | instskip(SKIP_1) | instid1(VALU_DEP_1)
	v_cvt_f32_f16_e32 v11, v8
	s_waitcnt lgkmcnt(0)
	v_div_scale_f32 v12, null, s8, s8, v11
	s_delay_alu instid0(VALU_DEP_1) | instskip(SKIP_2) | instid1(VALU_DEP_1)
	v_rcp_f32_e32 v17, v12
	s_waitcnt_depctr 0xfff
	v_fma_f32 v18, -v12, v17, 1.0
	v_fmac_f32_e32 v17, v18, v17
	v_div_scale_f32 v18, vcc_lo, v11, s8, v11
	s_delay_alu instid0(VALU_DEP_1) | instskip(NEXT) | instid1(VALU_DEP_1)
	v_mul_f32_e32 v6, v18, v17
	v_fma_f32 v20, -v12, v6, v18
	s_delay_alu instid0(VALU_DEP_1) | instskip(NEXT) | instid1(VALU_DEP_1)
	v_dual_fmac_f32 v6, v20, v17 :: v_dual_mul_f32 v5, v5, v7
	v_fma_f32 v12, -v12, v6, v18
	s_delay_alu instid0(VALU_DEP_2) | instskip(SKIP_2) | instid1(VALU_DEP_4)
	v_bfe_u32 v7, v5, 16, 1
	v_cmp_o_f32_e64 s2, v5, v5
	v_mov_b32_e32 v18, v2
	v_div_fmas_f32 v6, v12, v17, v6
	s_delay_alu instid0(VALU_DEP_4) | instskip(SKIP_1) | instid1(VALU_DEP_3)
	v_add3_u32 v7, v5, v7, 0x7fff
	v_cmp_o_f32_e32 vcc_lo, v1, v1
	v_div_fixup_f32 v6, v6, s8, v11
	s_delay_alu instid0(VALU_DEP_3) | instskip(SKIP_1) | instid1(VALU_DEP_2)
	v_and_b32_e32 v7, 0xffff0000, v7
	v_cndmask_b32_e32 v1, 0x7fc00000, v19, vcc_lo
	v_cndmask_b32_e64 v5, 0x7fc00000, v7, s2
	s_mov_b32 s2, exec_lo
	s_delay_alu instid0(VALU_DEP_1) | instskip(SKIP_1) | instid1(VALU_DEP_2)
	v_add_f32_e32 v1, v1, v5
	v_cvt_f16_f32_e32 v5, v6
	v_bfe_u32 v6, v1, 16, 1
	s_delay_alu instid0(VALU_DEP_2) | instskip(SKIP_1) | instid1(VALU_DEP_3)
	v_cvt_f32_f16_e32 v5, v5
	v_cmp_o_f32_e32 vcc_lo, v1, v1
	v_add3_u32 v6, v1, v6, 0x7fff
	s_delay_alu instid0(VALU_DEP_3) | instskip(SKIP_2) | instid1(VALU_DEP_4)
	v_lshrrev_b32_e32 v7, 24, v5
	v_and_b32_e32 v17, 0x7f800000, v5
	v_and_b32_e32 v1, 0x7fffff, v5
	v_lshrrev_b32_e32 v6, 16, v6
	s_delay_alu instid0(VALU_DEP_4) | instskip(NEXT) | instid1(VALU_DEP_2)
	v_and_b32_e32 v12, 0x80, v7
	v_cndmask_b32_e32 v11, 0x7fc0, v6, vcc_lo
	s_delay_alu instid0(VALU_DEP_2)
	v_or_b32_e32 v6, 0x7e, v12
	global_store_b16 v[15:16], v8, off
	global_store_b16 v[13:14], v11, off
	v_cmpx_ne_u64_e32 0x7f800000, v[17:18]
	s_xor_b32 s29, exec_lo, s2
	s_cbranch_execz .LBB86_26
; %bb.11:                               ;   in Loop: Header=BB86_10 Depth=1
	v_dual_mov_b32 v8, v2 :: v_dual_and_b32 v7, 0x7fffffff, v5
	s_mov_b32 s2, exec_lo
	s_delay_alu instid0(VALU_DEP_1)
	v_cmpx_gt_u64_e32 0x43e00001, v[7:8]
	s_xor_b32 s40, exec_lo, s2
	s_cbranch_execz .LBB86_25
; %bb.12:                               ;   in Loop: Header=BB86_10 Depth=1
	v_mov_b32_e32 v6, 0
	s_mov_b32 s41, exec_lo
	v_cmpx_ne_u32_e32 0, v5
	s_cbranch_execz .LBB86_24
; %bb.13:                               ;   in Loop: Header=BB86_10 Depth=1
	v_bfe_u32 v13, v5, 23, 8
	v_or_b32_e32 v7, 0x800000, v1
	s_delay_alu instid0(VALU_DEP_2) | instskip(SKIP_1) | instid1(VALU_DEP_2)
	v_sub_nc_u32_e32 v5, 0x79, v13
	v_cmp_gt_u32_e32 vcc_lo, 0x7a, v13
	v_cndmask_b32_e32 v5, 0, v5, vcc_lo
	v_cmp_eq_u32_e32 vcc_lo, 0, v13
	s_delay_alu instid0(VALU_DEP_2) | instskip(SKIP_1) | instid1(VALU_DEP_2)
	v_cndmask_b32_e64 v14, v5, 0x78, vcc_lo
	v_cndmask_b32_e32 v1, v7, v1, vcc_lo
	v_add_nc_u32_e32 v5, 20, v14
	v_add_nc_u32_e32 v7, 19, v14
	s_delay_alu instid0(VALU_DEP_2) | instskip(NEXT) | instid1(VALU_DEP_2)
	v_lshlrev_b64 v[5:6], v5, -1
	v_lshlrev_b64 v[7:8], v7, 1
	s_delay_alu instid0(VALU_DEP_2) | instskip(NEXT) | instid1(VALU_DEP_3)
	v_not_b32_e32 v6, v6
	v_not_b32_e32 v5, v5
	s_delay_alu instid0(VALU_DEP_2) | instskip(NEXT) | instid1(VALU_DEP_2)
	v_and_b32_e32 v16, 0, v6
	v_and_b32_e32 v15, v1, v5
	v_lshrrev_b64 v[5:6], v14, v[1:2]
	s_delay_alu instid0(VALU_DEP_2) | instskip(NEXT) | instid1(VALU_DEP_2)
	v_cmp_eq_u64_e64 s2, v[15:16], v[7:8]
	v_dual_mov_b32 v8, v6 :: v_dual_mov_b32 v7, v5
	s_delay_alu instid0(VALU_DEP_2)
	s_and_saveexec_b32 s42, s2
; %bb.14:                               ;   in Loop: Header=BB86_10 Depth=1
	v_bfe_u32 v1, v5, 20, 1
	s_delay_alu instid0(VALU_DEP_1) | instskip(NEXT) | instid1(VALU_DEP_1)
	v_add_co_u32 v1, s2, v5, v1
	v_add_co_u32 v7, s2, v1, -1
; %bb.15:                               ;   in Loop: Header=BB86_10 Depth=1
	s_or_b32 exec_lo, exec_lo, s42
	v_add_nc_u32_e32 v1, 0xffffff81, v13
	v_lshrrev_b32_e32 v8, 23, v5
	s_mov_b32 s2, exec_lo
	s_delay_alu instid0(VALU_DEP_2) | instskip(NEXT) | instid1(VALU_DEP_1)
	v_cndmask_b32_e64 v1, v1, 0xffffff82, vcc_lo
	v_add3_u32 v8, v14, v1, v8
	v_and_b32_e32 v1, 0xfffff, v7
	s_delay_alu instid0(VALU_DEP_2) | instskip(NEXT) | instid1(VALU_DEP_2)
	v_add_nc_u32_e32 v7, 6, v8
	v_add_co_u32 v5, vcc_lo, v1, v5
	v_add_co_ci_u32_e32 v6, vcc_lo, 0, v6, vcc_lo
                                        ; implicit-def: $vgpr1
	s_delay_alu instid0(VALU_DEP_3)
	v_cmpx_ne_u32_e32 0, v7
	s_xor_b32 s2, exec_lo, s2
; %bb.16:                               ;   in Loop: Header=BB86_10 Depth=1
	s_delay_alu instid0(VALU_DEP_2) | instskip(SKIP_1) | instid1(VALU_DEP_1)
	v_cmp_lt_u64_e32 vcc_lo, 0xffffff, v[5:6]
	v_add_nc_u32_e32 v1, 7, v8
	v_cndmask_b32_e32 v1, v7, v1, vcc_lo
	v_cndmask_b32_e64 v7, 0, 1, vcc_lo
	s_delay_alu instid0(VALU_DEP_1)
	v_lshrrev_b64 v[5:6], v7, v[5:6]
; %bb.17:                               ;   in Loop: Header=BB86_10 Depth=1
	s_and_not1_saveexec_b32 s2, s2
; %bb.18:                               ;   in Loop: Header=BB86_10 Depth=1
	s_delay_alu instid0(VALU_DEP_1)
	v_bfe_u32 v1, v5, 23, 1
; %bb.19:                               ;   in Loop: Header=BB86_10 Depth=1
	s_or_b32 exec_lo, exec_lo, s2
	s_delay_alu instid0(VALU_DEP_2) | instskip(NEXT) | instid1(VALU_DEP_2)
	v_lshrrev_b64 v[5:6], 20, v[5:6]
	v_cmp_gt_i32_e32 vcc_lo, 16, v1
	v_cmp_ne_u32_e64 s2, 0, v1
	s_delay_alu instid0(VALU_DEP_3) | instskip(NEXT) | instid1(VALU_DEP_1)
	v_dual_cndmask_b32 v6, 0, v6 :: v_dual_cndmask_b32 v5, 7, v5
	v_cmp_ne_u64_e32 vcc_lo, 0, v[5:6]
                                        ; implicit-def: $vgpr6
	s_delay_alu instid0(VALU_DEP_3) | instskip(NEXT) | instid1(SALU_CYCLE_1)
	s_or_b32 s2, s2, vcc_lo
	s_and_saveexec_b32 s42, s2
	s_delay_alu instid0(SALU_CYCLE_1)
	s_xor_b32 s2, exec_lo, s42
; %bb.20:                               ;   in Loop: Header=BB86_10 Depth=1
	v_min_i32_e32 v1, 15, v1
	s_delay_alu instid0(VALU_DEP_1) | instskip(NEXT) | instid1(VALU_DEP_1)
	v_lshl_or_b32 v1, v1, 3, v12
                                        ; implicit-def: $vgpr12
	v_and_or_b32 v6, v5, 7, v1
; %bb.21:                               ;   in Loop: Header=BB86_10 Depth=1
	s_and_not1_saveexec_b32 s2, s2
; %bb.22:                               ;   in Loop: Header=BB86_10 Depth=1
	v_mov_b32_e32 v6, v12
; %bb.23:                               ;   in Loop: Header=BB86_10 Depth=1
	s_or_b32 exec_lo, exec_lo, s2
.LBB86_24:                              ;   in Loop: Header=BB86_10 Depth=1
	s_delay_alu instid0(SALU_CYCLE_1)
	s_or_b32 exec_lo, exec_lo, s41
.LBB86_25:                              ;   in Loop: Header=BB86_10 Depth=1
	s_and_not1_saveexec_b32 s2, s40
	s_delay_alu instid0(SALU_CYCLE_1)
	s_or_b32 exec_lo, exec_lo, s2
                                        ; implicit-def: $vgpr7
.LBB86_26:                              ;   in Loop: Header=BB86_10 Depth=1
	s_and_not1_saveexec_b32 s2, s29
; %bb.27:                               ;   in Loop: Header=BB86_10 Depth=1
	v_cmp_eq_u64_e32 vcc_lo, 0, v[1:2]
	v_or_b32_e32 v5, 0x7f, v7
	s_delay_alu instid0(VALU_DEP_1)
	v_cndmask_b32_e32 v6, v5, v6, vcc_lo
; %bb.28:                               ;   in Loop: Header=BB86_10 Depth=1
	s_or_b32 exec_lo, exec_lo, s2
	v_cvt_f32_f16_e32 v1, v11
	v_mov_b32_e32 v13, v2
	global_store_b8 v[3:4], v6, off
	s_mov_b32 s2, exec_lo
	v_div_scale_f32 v5, null, s8, s8, v1
	s_delay_alu instid0(VALU_DEP_1) | instskip(SKIP_2) | instid1(VALU_DEP_1)
	v_rcp_f32_e32 v7, v5
	s_waitcnt_depctr 0xfff
	v_fma_f32 v8, -v5, v7, 1.0
	v_fmac_f32_e32 v7, v8, v7
	v_div_scale_f32 v8, vcc_lo, v1, s8, v1
	s_delay_alu instid0(VALU_DEP_1) | instskip(NEXT) | instid1(VALU_DEP_1)
	v_mul_f32_e32 v11, v8, v7
	v_fma_f32 v12, -v5, v11, v8
	s_delay_alu instid0(VALU_DEP_1) | instskip(NEXT) | instid1(VALU_DEP_1)
	v_fmac_f32_e32 v11, v12, v7
	v_fma_f32 v5, -v5, v11, v8
	s_delay_alu instid0(VALU_DEP_1) | instskip(NEXT) | instid1(VALU_DEP_1)
	v_div_fmas_f32 v5, v5, v7, v11
	v_div_fixup_f32 v1, v5, s8, v1
	s_delay_alu instid0(VALU_DEP_1) | instskip(NEXT) | instid1(VALU_DEP_1)
	v_cvt_f16_f32_e32 v1, v1
	v_cvt_f32_f16_e32 v5, v1
	s_delay_alu instid0(VALU_DEP_1) | instskip(SKIP_2) | instid1(VALU_DEP_2)
	v_and_b32_e32 v12, 0x7f800000, v5
	v_lshrrev_b32_e32 v8, 24, v5
	v_and_b32_e32 v1, 0x7fffff, v5
	v_and_b32_e32 v11, 0x80, v8
	s_delay_alu instid0(VALU_DEP_1)
	v_or_b32_e32 v7, 0x7e, v11
	v_cmpx_ne_u64_e32 0x7f800000, v[12:13]
	s_xor_b32 s29, exec_lo, s2
	s_cbranch_execz .LBB86_44
; %bb.29:                               ;   in Loop: Header=BB86_10 Depth=1
	v_dual_mov_b32 v13, v2 :: v_dual_and_b32 v12, 0x7fffffff, v5
	s_mov_b32 s2, exec_lo
	s_delay_alu instid0(VALU_DEP_1)
	v_cmpx_gt_u64_e32 0x43e00001, v[12:13]
	s_xor_b32 s40, exec_lo, s2
	s_cbranch_execz .LBB86_43
; %bb.30:                               ;   in Loop: Header=BB86_10 Depth=1
	v_mov_b32_e32 v7, 0
	s_mov_b32 s41, exec_lo
	v_cmpx_ne_u32_e32 0, v5
	s_cbranch_execz .LBB86_42
; %bb.31:                               ;   in Loop: Header=BB86_10 Depth=1
	v_bfe_u32 v12, v5, 23, 8
	v_or_b32_e32 v7, 0x800000, v1
	s_delay_alu instid0(VALU_DEP_2) | instskip(SKIP_1) | instid1(VALU_DEP_2)
	v_sub_nc_u32_e32 v5, 0x79, v12
	v_cmp_gt_u32_e32 vcc_lo, 0x7a, v12
	v_cndmask_b32_e32 v5, 0, v5, vcc_lo
	v_cmp_eq_u32_e32 vcc_lo, 0, v12
	s_delay_alu instid0(VALU_DEP_2) | instskip(SKIP_1) | instid1(VALU_DEP_2)
	v_cndmask_b32_e64 v13, v5, 0x78, vcc_lo
	v_cndmask_b32_e32 v1, v7, v1, vcc_lo
	v_add_nc_u32_e32 v5, 20, v13
	v_add_nc_u32_e32 v7, 19, v13
	s_delay_alu instid0(VALU_DEP_2) | instskip(NEXT) | instid1(VALU_DEP_2)
	v_lshlrev_b64 v[5:6], v5, -1
	v_lshlrev_b64 v[7:8], v7, 1
	s_delay_alu instid0(VALU_DEP_2) | instskip(NEXT) | instid1(VALU_DEP_3)
	v_not_b32_e32 v6, v6
	v_not_b32_e32 v5, v5
	s_delay_alu instid0(VALU_DEP_2) | instskip(NEXT) | instid1(VALU_DEP_2)
	v_and_b32_e32 v15, 0, v6
	v_and_b32_e32 v14, v1, v5
	v_lshrrev_b64 v[5:6], v13, v[1:2]
	s_delay_alu instid0(VALU_DEP_2) | instskip(NEXT) | instid1(VALU_DEP_2)
	v_cmp_eq_u64_e64 s2, v[14:15], v[7:8]
	v_dual_mov_b32 v8, v6 :: v_dual_mov_b32 v7, v5
	s_delay_alu instid0(VALU_DEP_2)
	s_and_saveexec_b32 s42, s2
; %bb.32:                               ;   in Loop: Header=BB86_10 Depth=1
	v_bfe_u32 v1, v5, 20, 1
	s_delay_alu instid0(VALU_DEP_1) | instskip(NEXT) | instid1(VALU_DEP_1)
	v_add_co_u32 v1, s2, v5, v1
	v_add_co_u32 v7, s2, v1, -1
; %bb.33:                               ;   in Loop: Header=BB86_10 Depth=1
	s_or_b32 exec_lo, exec_lo, s42
	v_add_nc_u32_e32 v1, 0xffffff81, v12
	v_lshrrev_b32_e32 v8, 23, v5
	s_mov_b32 s2, exec_lo
	s_delay_alu instid0(VALU_DEP_2) | instskip(NEXT) | instid1(VALU_DEP_1)
	v_cndmask_b32_e64 v1, v1, 0xffffff82, vcc_lo
	v_add3_u32 v8, v13, v1, v8
	v_and_b32_e32 v1, 0xfffff, v7
	s_delay_alu instid0(VALU_DEP_2) | instskip(NEXT) | instid1(VALU_DEP_2)
	v_add_nc_u32_e32 v7, 6, v8
	v_add_co_u32 v5, vcc_lo, v1, v5
	v_add_co_ci_u32_e32 v6, vcc_lo, 0, v6, vcc_lo
                                        ; implicit-def: $vgpr1
	s_delay_alu instid0(VALU_DEP_3)
	v_cmpx_ne_u32_e32 0, v7
	s_xor_b32 s2, exec_lo, s2
; %bb.34:                               ;   in Loop: Header=BB86_10 Depth=1
	s_delay_alu instid0(VALU_DEP_2) | instskip(SKIP_1) | instid1(VALU_DEP_1)
	v_cmp_lt_u64_e32 vcc_lo, 0xffffff, v[5:6]
	v_add_nc_u32_e32 v1, 7, v8
	v_cndmask_b32_e32 v1, v7, v1, vcc_lo
	v_cndmask_b32_e64 v7, 0, 1, vcc_lo
	s_delay_alu instid0(VALU_DEP_1)
	v_lshrrev_b64 v[5:6], v7, v[5:6]
; %bb.35:                               ;   in Loop: Header=BB86_10 Depth=1
	s_and_not1_saveexec_b32 s2, s2
; %bb.36:                               ;   in Loop: Header=BB86_10 Depth=1
	s_delay_alu instid0(VALU_DEP_1)
	v_bfe_u32 v1, v5, 23, 1
; %bb.37:                               ;   in Loop: Header=BB86_10 Depth=1
	s_or_b32 exec_lo, exec_lo, s2
	s_delay_alu instid0(VALU_DEP_2) | instskip(NEXT) | instid1(VALU_DEP_2)
	v_lshrrev_b64 v[5:6], 20, v[5:6]
	v_cmp_gt_i32_e32 vcc_lo, 16, v1
	v_cmp_ne_u32_e64 s2, 0, v1
                                        ; implicit-def: $vgpr7
	s_delay_alu instid0(VALU_DEP_3) | instskip(NEXT) | instid1(VALU_DEP_1)
	v_dual_cndmask_b32 v6, 0, v6 :: v_dual_cndmask_b32 v5, 7, v5
	v_cmp_ne_u64_e32 vcc_lo, 0, v[5:6]
	s_delay_alu instid0(VALU_DEP_3) | instskip(NEXT) | instid1(SALU_CYCLE_1)
	s_or_b32 s2, s2, vcc_lo
	s_and_saveexec_b32 s42, s2
	s_delay_alu instid0(SALU_CYCLE_1)
	s_xor_b32 s2, exec_lo, s42
; %bb.38:                               ;   in Loop: Header=BB86_10 Depth=1
	v_min_i32_e32 v1, 15, v1
	s_delay_alu instid0(VALU_DEP_1) | instskip(NEXT) | instid1(VALU_DEP_1)
	v_lshl_or_b32 v1, v1, 3, v11
                                        ; implicit-def: $vgpr11
	v_and_or_b32 v7, v5, 7, v1
; %bb.39:                               ;   in Loop: Header=BB86_10 Depth=1
	s_and_not1_saveexec_b32 s2, s2
; %bb.40:                               ;   in Loop: Header=BB86_10 Depth=1
	v_mov_b32_e32 v7, v11
; %bb.41:                               ;   in Loop: Header=BB86_10 Depth=1
	s_or_b32 exec_lo, exec_lo, s2
.LBB86_42:                              ;   in Loop: Header=BB86_10 Depth=1
	s_delay_alu instid0(SALU_CYCLE_1)
	s_or_b32 exec_lo, exec_lo, s41
.LBB86_43:                              ;   in Loop: Header=BB86_10 Depth=1
	s_and_not1_saveexec_b32 s2, s40
	s_delay_alu instid0(SALU_CYCLE_1)
	s_or_b32 exec_lo, exec_lo, s2
                                        ; implicit-def: $vgpr8
.LBB86_44:                              ;   in Loop: Header=BB86_10 Depth=1
	s_and_not1_saveexec_b32 s2, s29
	s_cbranch_execz .LBB86_9
; %bb.45:                               ;   in Loop: Header=BB86_10 Depth=1
	v_cmp_eq_u64_e32 vcc_lo, 0, v[1:2]
	v_or_b32_e32 v5, 0x7f, v8
	s_delay_alu instid0(VALU_DEP_1)
	v_cndmask_b32_e32 v7, v5, v7, vcc_lo
	s_branch .LBB86_9
.LBB86_46:
	s_or_b32 exec_lo, exec_lo, s36
	s_delay_alu instid0(SALU_CYCLE_1)
	s_mov_b32 s2, exec_lo
	v_cmpx_gt_i32_e64 s6, v0
	s_cbranch_execz .LBB86_67
; %bb.47:
	s_mul_i32 s2, s16, s11
	s_mul_hi_u32 s9, s16, s10
	s_mul_i32 s8, s16, s10
	s_add_i32 s9, s9, s2
	s_load_b32 s0, s[0:1], 0x8c
	s_lshl_b64 s[8:9], s[8:9], 1
	v_mov_b32_e32 v3, 0
	s_add_u32 s1, s14, s8
	s_addc_u32 s2, s15, s9
	s_ashr_i32 s8, s4, 31
	s_waitcnt lgkmcnt(0)
	s_load_b32 s4, s[24:25], 0x0
	s_mul_i32 s8, s22, s8
	s_delay_alu instid0(SALU_CYCLE_1) | instskip(NEXT) | instid1(SALU_CYCLE_1)
	s_add_i32 s8, s31, s8
	s_add_i32 s8, s8, s34
	s_add_u32 s9, s18, s35
	s_addc_u32 s8, s19, s8
	s_ashr_i32 s5, s5, 31
	s_delay_alu instid0(SALU_CYCLE_1) | instskip(NEXT) | instid1(SALU_CYCLE_1)
	s_mul_i32 s3, s3, s5
	s_add_i32 s3, s30, s3
	s_delay_alu instid0(SALU_CYCLE_1)
	s_add_i32 s5, s3, s7
	s_add_u32 s3, s9, s23
	s_addc_u32 s5, s8, s5
	s_and_b32 s7, s0, 0xffff
	s_mov_b32 s8, 0
	s_branch .LBB86_49
.LBB86_48:                              ;   in Loop: Header=BB86_49 Depth=1
	s_or_b32 exec_lo, exec_lo, s0
	v_add_co_u32 v6, vcc_lo, s3, v0
	v_add_nc_u32_e32 v0, s7, v0
	v_add_co_ci_u32_e32 v7, vcc_lo, s5, v1, vcc_lo
	s_delay_alu instid0(VALU_DEP_2) | instskip(SKIP_2) | instid1(SALU_CYCLE_1)
	v_cmp_le_i32_e32 vcc_lo, s6, v0
	global_store_b8 v[6:7], v5, off
	s_or_b32 s8, vcc_lo, s8
	s_and_not1_b32 exec_lo, exec_lo, s8
	s_cbranch_execz .LBB86_67
.LBB86_49:                              ; =>This Inner Loop Header: Depth=1
	v_ashrrev_i32_e32 v1, 31, v0
	s_mov_b32 s0, exec_lo
	v_mov_b32_e32 v10, v3
	s_delay_alu instid0(VALU_DEP_2) | instskip(NEXT) | instid1(VALU_DEP_1)
	v_lshlrev_b64 v[4:5], 1, v[0:1]
	v_add_co_u32 v4, vcc_lo, s1, v4
	s_delay_alu instid0(VALU_DEP_2) | instskip(SKIP_4) | instid1(VALU_DEP_1)
	v_add_co_ci_u32_e32 v5, vcc_lo, s2, v5, vcc_lo
	global_load_u16 v2, v[4:5], off
	s_waitcnt vmcnt(0)
	v_cvt_f32_f16_e32 v2, v2
	s_waitcnt lgkmcnt(0)
	v_div_scale_f32 v4, null, s4, s4, v2
	s_delay_alu instid0(VALU_DEP_1) | instskip(SKIP_2) | instid1(VALU_DEP_1)
	v_rcp_f32_e32 v5, v4
	s_waitcnt_depctr 0xfff
	v_fma_f32 v6, -v4, v5, 1.0
	v_fmac_f32_e32 v5, v6, v5
	v_div_scale_f32 v6, vcc_lo, v2, s4, v2
	s_delay_alu instid0(VALU_DEP_1) | instskip(NEXT) | instid1(VALU_DEP_1)
	v_mul_f32_e32 v7, v6, v5
	v_fma_f32 v8, -v4, v7, v6
	s_delay_alu instid0(VALU_DEP_1) | instskip(NEXT) | instid1(VALU_DEP_1)
	v_fmac_f32_e32 v7, v8, v5
	v_fma_f32 v4, -v4, v7, v6
	s_delay_alu instid0(VALU_DEP_1) | instskip(NEXT) | instid1(VALU_DEP_1)
	v_div_fmas_f32 v4, v4, v5, v7
	v_div_fixup_f32 v2, v4, s4, v2
	s_delay_alu instid0(VALU_DEP_1) | instskip(NEXT) | instid1(VALU_DEP_1)
	v_cvt_f16_f32_e32 v2, v2
	v_cvt_f32_f16_e32 v4, v2
	s_delay_alu instid0(VALU_DEP_1) | instskip(SKIP_2) | instid1(VALU_DEP_2)
	v_and_b32_e32 v2, 0x7fffff, v4
	v_lshrrev_b32_e32 v6, 24, v4
	v_and_b32_e32 v9, 0x7f800000, v4
	v_and_b32_e32 v8, 0x80, v6
	s_delay_alu instid0(VALU_DEP_1) | instskip(NEXT) | instid1(VALU_DEP_3)
	v_or_b32_e32 v5, 0x7e, v8
	v_cmpx_ne_u64_e32 0x7f800000, v[9:10]
	s_xor_b32 s9, exec_lo, s0
	s_cbranch_execz .LBB86_65
; %bb.50:                               ;   in Loop: Header=BB86_49 Depth=1
	v_dual_mov_b32 v7, v3 :: v_dual_and_b32 v6, 0x7fffffff, v4
	s_mov_b32 s0, exec_lo
	s_delay_alu instid0(VALU_DEP_1)
	v_cmpx_gt_u64_e32 0x43e00001, v[6:7]
	s_xor_b32 s10, exec_lo, s0
	s_cbranch_execz .LBB86_64
; %bb.51:                               ;   in Loop: Header=BB86_49 Depth=1
	v_mov_b32_e32 v5, 0
	s_mov_b32 s11, exec_lo
	v_cmpx_ne_u32_e32 0, v4
	s_cbranch_execz .LBB86_63
; %bb.52:                               ;   in Loop: Header=BB86_49 Depth=1
	v_bfe_u32 v9, v4, 23, 8
	v_or_b32_e32 v6, 0x800000, v2
	s_delay_alu instid0(VALU_DEP_2) | instskip(SKIP_1) | instid1(VALU_DEP_2)
	v_sub_nc_u32_e32 v4, 0x79, v9
	v_cmp_gt_u32_e32 vcc_lo, 0x7a, v9
	v_cndmask_b32_e32 v4, 0, v4, vcc_lo
	v_cmp_eq_u32_e32 vcc_lo, 0, v9
	s_delay_alu instid0(VALU_DEP_2) | instskip(SKIP_1) | instid1(VALU_DEP_2)
	v_cndmask_b32_e64 v10, v4, 0x78, vcc_lo
	v_cndmask_b32_e32 v2, v6, v2, vcc_lo
	v_add_nc_u32_e32 v4, 20, v10
	v_add_nc_u32_e32 v6, 19, v10
	s_delay_alu instid0(VALU_DEP_2) | instskip(NEXT) | instid1(VALU_DEP_2)
	v_lshlrev_b64 v[4:5], v4, -1
	v_lshlrev_b64 v[6:7], v6, 1
	s_delay_alu instid0(VALU_DEP_2) | instskip(NEXT) | instid1(VALU_DEP_3)
	v_not_b32_e32 v5, v5
	v_not_b32_e32 v4, v4
	s_delay_alu instid0(VALU_DEP_2) | instskip(NEXT) | instid1(VALU_DEP_2)
	v_and_b32_e32 v12, 0, v5
	v_and_b32_e32 v11, v2, v4
	v_lshrrev_b64 v[4:5], v10, v[2:3]
	s_delay_alu instid0(VALU_DEP_2) | instskip(NEXT) | instid1(VALU_DEP_2)
	v_cmp_eq_u64_e64 s0, v[11:12], v[6:7]
	v_dual_mov_b32 v7, v5 :: v_dual_mov_b32 v6, v4
	s_delay_alu instid0(VALU_DEP_2)
	s_and_saveexec_b32 s12, s0
; %bb.53:                               ;   in Loop: Header=BB86_49 Depth=1
	v_bfe_u32 v2, v4, 20, 1
	s_delay_alu instid0(VALU_DEP_1) | instskip(NEXT) | instid1(VALU_DEP_1)
	v_add_co_u32 v2, s0, v4, v2
	v_add_co_u32 v6, s0, v2, -1
; %bb.54:                               ;   in Loop: Header=BB86_49 Depth=1
	s_or_b32 exec_lo, exec_lo, s12
	v_add_nc_u32_e32 v2, 0xffffff81, v9
	v_lshrrev_b32_e32 v7, 23, v4
	s_mov_b32 s0, exec_lo
	s_delay_alu instid0(VALU_DEP_2) | instskip(NEXT) | instid1(VALU_DEP_1)
	v_cndmask_b32_e64 v2, v2, 0xffffff82, vcc_lo
	v_add3_u32 v7, v10, v2, v7
	v_and_b32_e32 v2, 0xfffff, v6
	s_delay_alu instid0(VALU_DEP_2) | instskip(NEXT) | instid1(VALU_DEP_2)
	v_add_nc_u32_e32 v6, 6, v7
	v_add_co_u32 v4, vcc_lo, v2, v4
	v_add_co_ci_u32_e32 v5, vcc_lo, 0, v5, vcc_lo
                                        ; implicit-def: $vgpr2
	s_delay_alu instid0(VALU_DEP_3)
	v_cmpx_ne_u32_e32 0, v6
	s_xor_b32 s0, exec_lo, s0
; %bb.55:                               ;   in Loop: Header=BB86_49 Depth=1
	s_delay_alu instid0(VALU_DEP_2) | instskip(SKIP_1) | instid1(VALU_DEP_1)
	v_cmp_lt_u64_e32 vcc_lo, 0xffffff, v[4:5]
	v_add_nc_u32_e32 v2, 7, v7
	v_cndmask_b32_e32 v2, v6, v2, vcc_lo
	v_cndmask_b32_e64 v6, 0, 1, vcc_lo
	s_delay_alu instid0(VALU_DEP_1)
	v_lshrrev_b64 v[4:5], v6, v[4:5]
; %bb.56:                               ;   in Loop: Header=BB86_49 Depth=1
	s_and_not1_saveexec_b32 s0, s0
; %bb.57:                               ;   in Loop: Header=BB86_49 Depth=1
	s_delay_alu instid0(VALU_DEP_1)
	v_bfe_u32 v2, v4, 23, 1
; %bb.58:                               ;   in Loop: Header=BB86_49 Depth=1
	s_or_b32 exec_lo, exec_lo, s0
	s_delay_alu instid0(VALU_DEP_2) | instskip(NEXT) | instid1(VALU_DEP_2)
	v_lshrrev_b64 v[4:5], 20, v[4:5]
	v_cmp_gt_i32_e32 vcc_lo, 16, v2
	v_cmp_ne_u32_e64 s0, 0, v2
	s_delay_alu instid0(VALU_DEP_3) | instskip(NEXT) | instid1(VALU_DEP_1)
	v_dual_cndmask_b32 v5, 0, v5 :: v_dual_cndmask_b32 v4, 7, v4
	v_cmp_ne_u64_e32 vcc_lo, 0, v[4:5]
                                        ; implicit-def: $vgpr5
	s_delay_alu instid0(VALU_DEP_3) | instskip(NEXT) | instid1(SALU_CYCLE_1)
	s_or_b32 s0, s0, vcc_lo
	s_and_saveexec_b32 s12, s0
	s_delay_alu instid0(SALU_CYCLE_1)
	s_xor_b32 s0, exec_lo, s12
; %bb.59:                               ;   in Loop: Header=BB86_49 Depth=1
	v_min_i32_e32 v2, 15, v2
	s_delay_alu instid0(VALU_DEP_1) | instskip(NEXT) | instid1(VALU_DEP_1)
	v_lshl_or_b32 v2, v2, 3, v8
                                        ; implicit-def: $vgpr8
	v_and_or_b32 v5, v4, 7, v2
; %bb.60:                               ;   in Loop: Header=BB86_49 Depth=1
	s_and_not1_saveexec_b32 s0, s0
; %bb.61:                               ;   in Loop: Header=BB86_49 Depth=1
	v_mov_b32_e32 v5, v8
; %bb.62:                               ;   in Loop: Header=BB86_49 Depth=1
	s_or_b32 exec_lo, exec_lo, s0
.LBB86_63:                              ;   in Loop: Header=BB86_49 Depth=1
	s_delay_alu instid0(SALU_CYCLE_1)
	s_or_b32 exec_lo, exec_lo, s11
.LBB86_64:                              ;   in Loop: Header=BB86_49 Depth=1
	s_and_not1_saveexec_b32 s0, s10
	s_delay_alu instid0(SALU_CYCLE_1)
	s_or_b32 exec_lo, exec_lo, s0
                                        ; implicit-def: $vgpr6
.LBB86_65:                              ;   in Loop: Header=BB86_49 Depth=1
	s_and_not1_saveexec_b32 s0, s9
	s_cbranch_execz .LBB86_48
; %bb.66:                               ;   in Loop: Header=BB86_49 Depth=1
	v_cmp_eq_u64_e32 vcc_lo, 0, v[2:3]
	v_or_b32_e32 v4, 0x7f, v6
	s_delay_alu instid0(VALU_DEP_1)
	v_cndmask_b32_e32 v5, v4, v5, vcc_lo
	s_branch .LBB86_48
.LBB86_67:
	s_nop 0
	s_sendmsg sendmsg(MSG_DEALLOC_VGPRS)
	s_endpgm
.LBB86_68:
                                        ; implicit-def: $sgpr22_sgpr23
	s_branch .LBB86_6
	.section	.rodata,"a",@progbits
	.p2align	6, 0x0
	.amdhsa_kernel _ZN4vllm38concat_and_cache_mla_rope_fused_kernelIN3c108BFloat16ENS1_4HalfELb1EthLNS_18Fp8KVCacheDataTypeE1EEEvPKlPT_S8_PKS7_PKT0_illlliPT3_S6_iiiiPKf
		.amdhsa_group_segment_fixed_size 0
		.amdhsa_private_segment_fixed_size 0
		.amdhsa_kernarg_size 384
		.amdhsa_user_sgpr_count 15
		.amdhsa_user_sgpr_dispatch_ptr 0
		.amdhsa_user_sgpr_queue_ptr 0
		.amdhsa_user_sgpr_kernarg_segment_ptr 1
		.amdhsa_user_sgpr_dispatch_id 0
		.amdhsa_user_sgpr_private_segment_size 0
		.amdhsa_wavefront_size32 1
		.amdhsa_uses_dynamic_stack 0
		.amdhsa_enable_private_segment 0
		.amdhsa_system_sgpr_workgroup_id_x 1
		.amdhsa_system_sgpr_workgroup_id_y 0
		.amdhsa_system_sgpr_workgroup_id_z 0
		.amdhsa_system_sgpr_workgroup_info 0
		.amdhsa_system_vgpr_workitem_id 0
		.amdhsa_next_free_vgpr 21
		.amdhsa_next_free_sgpr 47
		.amdhsa_reserve_vcc 1
		.amdhsa_float_round_mode_32 0
		.amdhsa_float_round_mode_16_64 0
		.amdhsa_float_denorm_mode_32 3
		.amdhsa_float_denorm_mode_16_64 3
		.amdhsa_dx10_clamp 1
		.amdhsa_ieee_mode 1
		.amdhsa_fp16_overflow 0
		.amdhsa_workgroup_processor_mode 1
		.amdhsa_memory_ordered 1
		.amdhsa_forward_progress 0
		.amdhsa_shared_vgpr_count 0
		.amdhsa_exception_fp_ieee_invalid_op 0
		.amdhsa_exception_fp_denorm_src 0
		.amdhsa_exception_fp_ieee_div_zero 0
		.amdhsa_exception_fp_ieee_overflow 0
		.amdhsa_exception_fp_ieee_underflow 0
		.amdhsa_exception_fp_ieee_inexact 0
		.amdhsa_exception_int_div_zero 0
	.end_amdhsa_kernel
	.section	.text._ZN4vllm38concat_and_cache_mla_rope_fused_kernelIN3c108BFloat16ENS1_4HalfELb1EthLNS_18Fp8KVCacheDataTypeE1EEEvPKlPT_S8_PKS7_PKT0_illlliPT3_S6_iiiiPKf,"axG",@progbits,_ZN4vllm38concat_and_cache_mla_rope_fused_kernelIN3c108BFloat16ENS1_4HalfELb1EthLNS_18Fp8KVCacheDataTypeE1EEEvPKlPT_S8_PKS7_PKT0_illlliPT3_S6_iiiiPKf,comdat
.Lfunc_end86:
	.size	_ZN4vllm38concat_and_cache_mla_rope_fused_kernelIN3c108BFloat16ENS1_4HalfELb1EthLNS_18Fp8KVCacheDataTypeE1EEEvPKlPT_S8_PKS7_PKT0_illlliPT3_S6_iiiiPKf, .Lfunc_end86-_ZN4vllm38concat_and_cache_mla_rope_fused_kernelIN3c108BFloat16ENS1_4HalfELb1EthLNS_18Fp8KVCacheDataTypeE1EEEvPKlPT_S8_PKS7_PKT0_illlliPT3_S6_iiiiPKf
                                        ; -- End function
	.section	.AMDGPU.csdata,"",@progbits
; Kernel info:
; codeLenInByte = 5244
; NumSgprs: 49
; NumVgprs: 21
; ScratchSize: 0
; MemoryBound: 0
; FloatMode: 240
; IeeeMode: 1
; LDSByteSize: 0 bytes/workgroup (compile time only)
; SGPRBlocks: 6
; VGPRBlocks: 2
; NumSGPRsForWavesPerEU: 49
; NumVGPRsForWavesPerEU: 21
; Occupancy: 16
; WaveLimiterHint : 1
; COMPUTE_PGM_RSRC2:SCRATCH_EN: 0
; COMPUTE_PGM_RSRC2:USER_SGPR: 15
; COMPUTE_PGM_RSRC2:TRAP_HANDLER: 0
; COMPUTE_PGM_RSRC2:TGID_X_EN: 1
; COMPUTE_PGM_RSRC2:TGID_Y_EN: 0
; COMPUTE_PGM_RSRC2:TGID_Z_EN: 0
; COMPUTE_PGM_RSRC2:TIDIG_COMP_CNT: 0
	.section	.text._ZN4vllm38concat_and_cache_mla_rope_fused_kernelIN3c108BFloat16ENS1_4HalfELb0EthLNS_18Fp8KVCacheDataTypeE1EEEvPKlPT_S8_PKS7_PKT0_illlliPT3_S6_iiiiPKf,"axG",@progbits,_ZN4vllm38concat_and_cache_mla_rope_fused_kernelIN3c108BFloat16ENS1_4HalfELb0EthLNS_18Fp8KVCacheDataTypeE1EEEvPKlPT_S8_PKS7_PKT0_illlliPT3_S6_iiiiPKf,comdat
	.protected	_ZN4vllm38concat_and_cache_mla_rope_fused_kernelIN3c108BFloat16ENS1_4HalfELb0EthLNS_18Fp8KVCacheDataTypeE1EEEvPKlPT_S8_PKS7_PKT0_illlliPT3_S6_iiiiPKf ; -- Begin function _ZN4vllm38concat_and_cache_mla_rope_fused_kernelIN3c108BFloat16ENS1_4HalfELb0EthLNS_18Fp8KVCacheDataTypeE1EEEvPKlPT_S8_PKS7_PKT0_illlliPT3_S6_iiiiPKf
	.globl	_ZN4vllm38concat_and_cache_mla_rope_fused_kernelIN3c108BFloat16ENS1_4HalfELb0EthLNS_18Fp8KVCacheDataTypeE1EEEvPKlPT_S8_PKS7_PKT0_illlliPT3_S6_iiiiPKf
	.p2align	8
	.type	_ZN4vllm38concat_and_cache_mla_rope_fused_kernelIN3c108BFloat16ENS1_4HalfELb0EthLNS_18Fp8KVCacheDataTypeE1EEEvPKlPT_S8_PKS7_PKT0_illlliPT3_S6_iiiiPKf,@function
_ZN4vllm38concat_and_cache_mla_rope_fused_kernelIN3c108BFloat16ENS1_4HalfELb0EthLNS_18Fp8KVCacheDataTypeE1EEEvPKlPT_S8_PKS7_PKT0_illlliPT3_S6_iiiiPKf: ; @_ZN4vllm38concat_and_cache_mla_rope_fused_kernelIN3c108BFloat16ENS1_4HalfELb0EthLNS_18Fp8KVCacheDataTypeE1EEEvPKlPT_S8_PKS7_PKT0_illlliPT3_S6_iiiiPKf
; %bb.0:
	s_load_b64 s[4:5], s[0:1], 0x60
	s_mov_b32 s16, s15
	s_mov_b32 s17, 0
	s_delay_alu instid0(SALU_CYCLE_1)
	s_lshl_b64 s[2:3], s[16:17], 3
	s_waitcnt lgkmcnt(0)
	s_add_u32 s4, s4, s2
	s_addc_u32 s5, s5, s3
	s_load_b64 s[28:29], s[4:5], 0x0
	s_waitcnt lgkmcnt(0)
	v_cmp_lt_i64_e64 s4, s[28:29], 0
	s_delay_alu instid0(VALU_DEP_1)
	s_and_b32 vcc_lo, exec_lo, s4
	s_cbranch_vccnz .LBB87_67
; %bb.1:
	s_clause 0x3
	s_load_b32 s17, s[0:1], 0x28
	s_load_b64 s[4:5], s[0:1], 0x0
	s_load_b128 s[12:15], s[0:1], 0x10
	s_load_b32 s21, s[0:1], 0x50
	v_lshlrev_b32_e32 v3, 1, v0
	s_waitcnt lgkmcnt(0)
	s_ashr_i32 s24, s17, 31
	s_add_u32 s2, s4, s2
	s_addc_u32 s3, s5, s3
	s_load_b64 s[22:23], s[2:3], 0x0
	s_clause 0x2
	s_load_b64 s[26:27], s[0:1], 0x20
	s_load_b64 s[18:19], s[0:1], 0x58
	s_load_b256 s[4:11], s[0:1], 0x30
	s_lshr_b32 s2, s17, 31
	s_delay_alu instid0(SALU_CYCLE_1) | instskip(NEXT) | instid1(SALU_CYCLE_1)
	s_add_i32 s2, s17, s2
	s_ashr_i32 s20, s2, 1
	s_delay_alu instid0(SALU_CYCLE_1)
	s_mul_i32 s3, s20, s21
	s_waitcnt lgkmcnt(0)
	s_mul_i32 s2, s22, s24
	s_mul_hi_u32 s21, s22, s17
	s_mul_i32 s23, s23, s17
	s_add_i32 s2, s21, s2
	s_mul_i32 s30, s22, s17
	s_add_i32 s31, s2, s23
	s_mov_b32 s17, exec_lo
	v_cmpx_gt_i32_e64 s3, v0
	s_cbranch_execz .LBB87_4
; %bb.2:
	s_load_b64 s[24:25], s[0:1], 0x8
	s_lshl_b64 s[22:23], s[30:31], 1
	s_mul_i32 s2, s16, s5
	s_mul_hi_u32 s5, s16, s4
	s_add_u32 s22, s26, s22
	s_mul_i32 s4, s16, s4
	s_addc_u32 s23, s27, s23
	s_add_i32 s5, s5, s2
	s_load_b32 s2, s[0:1], 0x8c
	s_lshl_b64 s[4:5], s[4:5], 1
	s_ashr_i32 s21, s20, 31
	s_mov_b32 s34, 0
	s_waitcnt lgkmcnt(0)
	s_add_u32 s24, s24, s4
	s_addc_u32 s25, s25, s5
	s_abs_i32 s33, s20
	s_sub_i32 s36, 0, s20
	v_cvt_f32_u32_e32 v1, s33
	s_sub_i32 s4, 0, s33
	s_and_b32 s35, s2, 0xffff
	s_delay_alu instid0(VALU_DEP_1)
	v_rcp_iflag_f32_e32 v1, v1
	s_lshl_b32 s2, s20, 1
	s_lshl_b32 s38, s35, 1
	s_sub_i32 s37, 0, s2
	s_waitcnt_depctr 0xfff
	v_mul_f32_e32 v1, 0x4f7ffffe, v1
	s_delay_alu instid0(VALU_DEP_1) | instskip(NEXT) | instid1(VALU_DEP_1)
	v_cvt_u32_f32_e32 v2, v1
	v_mul_lo_u32 v1, s4, v2
	s_lshl_b64 s[4:5], s[20:21], 1
	s_delay_alu instid0(VALU_DEP_1) | instskip(NEXT) | instid1(VALU_DEP_1)
	v_mul_hi_u32 v4, v2, v1
	v_dual_mov_b32 v1, v3 :: v_dual_add_nc_u32 v4, v2, v4
	v_mov_b32_e32 v2, v0
.LBB87_3:                               ; =>This Inner Loop Header: Depth=1
	s_delay_alu instid0(VALU_DEP_1) | instskip(SKIP_1) | instid1(VALU_DEP_2)
	v_sub_nc_u32_e32 v5, 0, v2
	v_ashrrev_i32_e32 v6, 31, v2
	v_max_i32_e32 v5, v2, v5
	s_delay_alu instid0(VALU_DEP_2) | instskip(NEXT) | instid1(VALU_DEP_2)
	v_xor_b32_e32 v6, s21, v6
	v_mul_hi_u32 v7, v5, v4
	s_delay_alu instid0(VALU_DEP_1) | instskip(SKIP_1) | instid1(VALU_DEP_2)
	v_mul_lo_u32 v8, v7, s33
	v_add_nc_u32_e32 v9, 1, v7
	v_sub_nc_u32_e32 v5, v5, v8
	s_delay_alu instid0(VALU_DEP_1) | instskip(SKIP_1) | instid1(VALU_DEP_4)
	v_subrev_nc_u32_e32 v8, s33, v5
	v_cmp_le_u32_e32 vcc_lo, s33, v5
	v_cndmask_b32_e32 v7, v7, v9, vcc_lo
	s_delay_alu instid0(VALU_DEP_1) | instskip(NEXT) | instid1(VALU_DEP_1)
	v_dual_cndmask_b32 v5, v5, v8 :: v_dual_add_nc_u32 v8, 1, v7
	v_cmp_le_u32_e32 vcc_lo, s33, v5
	s_delay_alu instid0(VALU_DEP_2) | instskip(NEXT) | instid1(VALU_DEP_1)
	v_cndmask_b32_e32 v5, v7, v8, vcc_lo
	v_xor_b32_e32 v5, v5, v6
	s_delay_alu instid0(VALU_DEP_1) | instskip(NEXT) | instid1(VALU_DEP_1)
	v_sub_nc_u32_e32 v11, v5, v6
	v_mad_u64_u32 v[5:6], null, s36, v11, v[2:3]
	v_ashrrev_i32_e32 v6, 31, v11
	v_mul_lo_u32 v12, v11, s7
	v_mad_u64_u32 v[7:8], null, v11, s6, 0
	v_mad_u64_u32 v[9:10], null, s37, v11, v[1:2]
	s_delay_alu instid0(VALU_DEP_4) | instskip(SKIP_3) | instid1(VALU_DEP_3)
	v_mul_lo_u32 v11, v6, s6
	v_ashrrev_i32_e32 v6, 31, v5
	v_add_nc_u32_e32 v2, s35, v2
	v_add_nc_u32_e32 v1, s38, v1
	v_lshlrev_b64 v[5:6], 1, v[5:6]
	v_ashrrev_i32_e32 v10, 31, v9
	v_add3_u32 v8, v8, v12, v11
	s_delay_alu instid0(VALU_DEP_3) | instskip(NEXT) | instid1(VALU_DEP_4)
	v_add_co_u32 v5, vcc_lo, s22, v5
	v_add_co_ci_u32_e32 v6, vcc_lo, s23, v6, vcc_lo
	s_delay_alu instid0(VALU_DEP_3)
	v_lshlrev_b64 v[7:8], 1, v[7:8]
	v_lshlrev_b64 v[9:10], 1, v[9:10]
	global_load_u16 v11, v[5:6], off
	v_add_co_u32 v5, vcc_lo, v5, s4
	v_add_co_ci_u32_e32 v6, vcc_lo, s5, v6, vcc_lo
	v_add_co_u32 v7, vcc_lo, s24, v7
	v_add_co_ci_u32_e32 v8, vcc_lo, s25, v8, vcc_lo
	global_load_u16 v12, v[5:6], off
	v_add_co_u32 v5, vcc_lo, v7, v9
	v_add_co_ci_u32_e32 v6, vcc_lo, v8, v10, vcc_lo
	global_load_b32 v7, v[5:6], off
	s_waitcnt vmcnt(2)
	v_cvt_f32_f16_e32 v8, v11
	v_cmp_o_f16_e32 vcc_lo, v11, v11
	s_delay_alu instid0(VALU_DEP_2) | instskip(SKIP_2) | instid1(VALU_DEP_2)
	v_bfe_u32 v10, v8, 16, 1
	s_waitcnt vmcnt(1)
	v_cvt_f32_f16_e32 v9, v12
	v_add3_u32 v8, v8, v10, 0x7fff
	s_delay_alu instid0(VALU_DEP_2) | instskip(NEXT) | instid1(VALU_DEP_2)
	v_bfe_u32 v10, v9, 16, 1
	v_and_b32_e32 v8, 0xffff0000, v8
	s_waitcnt vmcnt(0)
	v_lshlrev_b32_e32 v13, 16, v7
	v_and_b32_e32 v7, 0xffff0000, v7
	v_add3_u32 v9, v9, v10, 0x7fff
	v_cndmask_b32_e32 v8, 0x7fc00000, v8, vcc_lo
	v_cmp_o_f16_e32 vcc_lo, v12, v12
	s_delay_alu instid0(VALU_DEP_3) | instskip(NEXT) | instid1(VALU_DEP_3)
	v_and_b32_e32 v9, 0xffff0000, v9
	v_mul_f32_e32 v10, v8, v13
	s_delay_alu instid0(VALU_DEP_2) | instskip(NEXT) | instid1(VALU_DEP_2)
	v_dual_mul_f32 v8, v8, v7 :: v_dual_cndmask_b32 v9, 0x7fc00000, v9
	v_bfe_u32 v11, v10, 16, 1
	s_delay_alu instid0(VALU_DEP_2) | instskip(SKIP_2) | instid1(VALU_DEP_4)
	v_bfe_u32 v12, v8, 16, 1
	v_cmp_o_f32_e32 vcc_lo, v10, v10
	v_cmp_o_f32_e64 s2, v8, v8
	v_add3_u32 v11, v10, v11, 0x7fff
	s_delay_alu instid0(VALU_DEP_4) | instskip(SKIP_2) | instid1(VALU_DEP_4)
	v_add3_u32 v12, v8, v12, 0x7fff
	v_mul_f32_e32 v7, v9, v7
	v_mul_f32_e32 v9, v9, v13
	v_and_b32_e32 v11, 0xffff0000, v11
	s_delay_alu instid0(VALU_DEP_4) | instskip(NEXT) | instid1(VALU_DEP_4)
	v_and_b32_e32 v12, 0xffff0000, v12
	v_bfe_u32 v13, v7, 16, 1
	s_delay_alu instid0(VALU_DEP_4) | instskip(NEXT) | instid1(VALU_DEP_4)
	v_bfe_u32 v14, v9, 16, 1
	v_cndmask_b32_e32 v11, 0x7fc00000, v11, vcc_lo
	s_delay_alu instid0(VALU_DEP_4) | instskip(NEXT) | instid1(VALU_DEP_4)
	v_cndmask_b32_e64 v12, 0x7fc00000, v12, s2
	v_add3_u32 v13, v7, v13, 0x7fff
	s_delay_alu instid0(VALU_DEP_4) | instskip(SKIP_1) | instid1(VALU_DEP_3)
	v_add3_u32 v14, v9, v14, 0x7fff
	v_cmp_o_f32_e64 s2, v7, v7
	v_and_b32_e32 v8, 0xffff0000, v13
	s_delay_alu instid0(VALU_DEP_3) | instskip(SKIP_1) | instid1(VALU_DEP_3)
	v_and_b32_e32 v10, 0xffff0000, v14
	v_cmp_o_f32_e32 vcc_lo, v9, v9
	v_cndmask_b32_e64 v7, 0x7fc00000, v8, s2
	s_delay_alu instid0(VALU_DEP_1) | instskip(NEXT) | instid1(VALU_DEP_1)
	v_dual_cndmask_b32 v8, 0x7fc00000, v10 :: v_dual_sub_f32 v7, v11, v7
	v_add_f32_e32 v8, v12, v8
	s_delay_alu instid0(VALU_DEP_2) | instskip(SKIP_1) | instid1(VALU_DEP_3)
	v_bfe_u32 v9, v7, 16, 1
	v_cmp_o_f32_e64 s2, v7, v7
	v_bfe_u32 v10, v8, 16, 1
	v_cmp_o_f32_e32 vcc_lo, v8, v8
	s_delay_alu instid0(VALU_DEP_4) | instskip(NEXT) | instid1(VALU_DEP_3)
	v_add3_u32 v9, v7, v9, 0x7fff
	v_add3_u32 v10, v8, v10, 0x7fff
	s_delay_alu instid0(VALU_DEP_2) | instskip(NEXT) | instid1(VALU_DEP_2)
	v_lshrrev_b32_e32 v9, 16, v9
	v_lshrrev_b32_e32 v10, 16, v10
	s_delay_alu instid0(VALU_DEP_2) | instskip(NEXT) | instid1(VALU_DEP_2)
	v_cndmask_b32_e64 v7, 0x7fc0, v9, s2
	v_cndmask_b32_e32 v8, 0x7fc0, v10, vcc_lo
	v_cmp_le_i32_e32 vcc_lo, s3, v2
	s_delay_alu instid0(VALU_DEP_2)
	v_perm_b32 v7, v8, v7, 0x5040100
	s_or_b32 s34, vcc_lo, s34
	global_store_b32 v[5:6], v7, off
	s_and_not1_b32 exec_lo, exec_lo, s34
	s_cbranch_execnz .LBB87_3
.LBB87_4:
	s_or_b32 exec_lo, exec_lo, s17
	s_load_b128 s[4:7], s[0:1], 0x68
	s_waitcnt lgkmcnt(0)
	s_ashr_i32 s3, s7, 31
	s_mov_b32 s2, s7
	s_delay_alu instid0(SALU_CYCLE_1) | instskip(SKIP_1) | instid1(SALU_CYCLE_1)
	s_or_b64 s[24:25], s[28:29], s[2:3]
	s_mov_b32 s24, 0
	s_cmp_lg_u64 s[24:25], 0
	s_cbranch_scc0 .LBB87_68
; %bb.5:
	s_add_u32 s34, s2, s3
	s_mov_b32 s22, s3
	s_mov_b32 s23, s3
	s_addc_u32 s35, s3, s3
	s_delay_alu instid0(SALU_CYCLE_1) | instskip(NEXT) | instid1(SALU_CYCLE_1)
	s_xor_b64 s[34:35], s[34:35], s[22:23]
	v_cvt_f32_u32_e32 v1, s34
	v_cvt_f32_u32_e32 v2, s35
	s_sub_u32 s21, 0, s34
	s_subb_u32 s25, 0, s35
	s_delay_alu instid0(VALU_DEP_1) | instskip(NEXT) | instid1(VALU_DEP_1)
	v_fmamk_f32 v1, v2, 0x4f800000, v1
	v_rcp_f32_e32 v1, v1
	s_waitcnt_depctr 0xfff
	v_mul_f32_e32 v1, 0x5f7ffffc, v1
	s_delay_alu instid0(VALU_DEP_1) | instskip(NEXT) | instid1(VALU_DEP_1)
	v_mul_f32_e32 v2, 0x2f800000, v1
	v_trunc_f32_e32 v2, v2
	s_delay_alu instid0(VALU_DEP_1) | instskip(SKIP_1) | instid1(VALU_DEP_2)
	v_fmamk_f32 v1, v2, 0xcf800000, v1
	v_cvt_u32_f32_e32 v2, v2
	v_cvt_u32_f32_e32 v1, v1
	s_delay_alu instid0(VALU_DEP_2) | instskip(NEXT) | instid1(VALU_DEP_2)
	v_readfirstlane_b32 s7, v2
	v_readfirstlane_b32 s17, v1
	s_delay_alu instid0(VALU_DEP_2) | instskip(NEXT) | instid1(VALU_DEP_1)
	s_mul_i32 s33, s21, s7
	s_mul_hi_u32 s37, s21, s17
	s_mul_i32 s36, s25, s17
	s_add_i32 s33, s37, s33
	s_mul_i32 s38, s21, s17
	s_add_i32 s33, s33, s36
	s_mul_hi_u32 s37, s17, s38
	s_mul_hi_u32 s39, s7, s38
	s_mul_i32 s36, s7, s38
	s_mul_hi_u32 s38, s17, s33
	s_mul_i32 s17, s17, s33
	s_mul_hi_u32 s40, s7, s33
	s_add_u32 s17, s37, s17
	s_addc_u32 s37, 0, s38
	s_add_u32 s17, s17, s36
	s_mul_i32 s33, s7, s33
	s_addc_u32 s17, s37, s39
	s_addc_u32 s36, s40, 0
	s_add_u32 s17, s17, s33
	s_addc_u32 s33, 0, s36
	v_add_co_u32 v1, s17, v1, s17
	s_delay_alu instid0(VALU_DEP_1) | instskip(SKIP_1) | instid1(VALU_DEP_1)
	s_cmp_lg_u32 s17, 0
	s_addc_u32 s7, s7, s33
	v_readfirstlane_b32 s17, v1
	s_mul_i32 s33, s21, s7
	s_delay_alu instid0(VALU_DEP_1)
	s_mul_hi_u32 s36, s21, s17
	s_mul_i32 s25, s25, s17
	s_add_i32 s33, s36, s33
	s_mul_i32 s21, s21, s17
	s_add_i32 s33, s33, s25
	s_mul_hi_u32 s36, s7, s21
	s_mul_i32 s37, s7, s21
	s_mul_hi_u32 s21, s17, s21
	s_mul_hi_u32 s38, s17, s33
	s_mul_i32 s17, s17, s33
	s_mul_hi_u32 s25, s7, s33
	s_add_u32 s17, s21, s17
	s_addc_u32 s21, 0, s38
	s_add_u32 s17, s17, s37
	s_mul_i32 s33, s7, s33
	s_addc_u32 s17, s21, s36
	s_addc_u32 s21, s25, 0
	s_add_u32 s17, s17, s33
	s_addc_u32 s21, 0, s21
	v_add_co_u32 v1, s17, v1, s17
	s_delay_alu instid0(VALU_DEP_1) | instskip(SKIP_2) | instid1(VALU_DEP_1)
	s_cmp_lg_u32 s17, 0
	s_addc_u32 s7, s7, s21
	s_ashr_i32 s36, s29, 31
	v_readfirstlane_b32 s17, v1
	s_add_u32 s38, s28, s36
	s_mov_b32 s37, s36
	s_addc_u32 s39, s29, s36
	s_delay_alu instid0(SALU_CYCLE_1) | instskip(NEXT) | instid1(SALU_CYCLE_1)
	s_xor_b64 s[38:39], s[38:39], s[36:37]
	s_mul_i32 s25, s38, s7
	s_mul_hi_u32 s33, s38, s17
	s_mul_hi_u32 s21, s38, s7
	s_mul_hi_u32 s41, s39, s17
	s_mul_i32 s17, s39, s17
	s_add_u32 s25, s33, s25
	s_addc_u32 s21, 0, s21
	s_mul_hi_u32 s40, s39, s7
	s_add_u32 s17, s25, s17
	s_mul_i32 s7, s39, s7
	s_addc_u32 s17, s21, s41
	s_addc_u32 s21, s40, 0
	s_add_u32 s7, s17, s7
	s_addc_u32 s17, 0, s21
	s_mul_hi_u32 s21, s34, s7
	s_mul_i32 s33, s34, s17
	s_mul_i32 s40, s34, s7
	s_add_i32 s21, s21, s33
	v_sub_co_u32 v1, s33, s38, s40
	s_mul_i32 s25, s35, s7
	s_delay_alu instid0(SALU_CYCLE_1) | instskip(NEXT) | instid1(VALU_DEP_1)
	s_add_i32 s21, s21, s25
	v_sub_co_u32 v2, s38, v1, s34
	s_sub_i32 s25, s39, s21
	s_cmp_lg_u32 s33, 0
	s_subb_u32 s25, s25, s35
	s_cmp_lg_u32 s38, 0
	v_readfirstlane_b32 s38, v2
	s_subb_u32 s25, s25, 0
	s_delay_alu instid0(SALU_CYCLE_1) | instskip(SKIP_1) | instid1(VALU_DEP_1)
	s_cmp_ge_u32 s25, s35
	s_cselect_b32 s40, -1, 0
	s_cmp_ge_u32 s38, s34
	s_cselect_b32 s38, -1, 0
	s_cmp_eq_u32 s25, s35
	s_cselect_b32 s25, s38, s40
	s_add_u32 s38, s7, 1
	s_addc_u32 s40, s17, 0
	s_add_u32 s41, s7, 2
	s_addc_u32 s42, s17, 0
	s_cmp_lg_u32 s25, 0
	s_cselect_b32 s25, s41, s38
	s_cselect_b32 s38, s42, s40
	s_cmp_lg_u32 s33, 0
	v_readfirstlane_b32 s33, v1
	s_subb_u32 s21, s39, s21
	s_delay_alu instid0(SALU_CYCLE_1) | instskip(SKIP_1) | instid1(VALU_DEP_1)
	s_cmp_ge_u32 s21, s35
	s_cselect_b32 s39, -1, 0
	s_cmp_ge_u32 s33, s34
	s_cselect_b32 s33, -1, 0
	s_cmp_eq_u32 s21, s35
	s_cselect_b32 s21, s33, s39
	s_delay_alu instid0(SALU_CYCLE_1) | instskip(SKIP_3) | instid1(SALU_CYCLE_1)
	s_cmp_lg_u32 s21, 0
	s_cselect_b32 s35, s38, s17
	s_cselect_b32 s34, s25, s7
	s_xor_b64 s[22:23], s[36:37], s[22:23]
	s_xor_b64 s[34:35], s[34:35], s[22:23]
	s_delay_alu instid0(SALU_CYCLE_1)
	s_sub_u32 s22, s34, s22
	s_subb_u32 s23, s35, s23
	s_and_not1_b32 vcc_lo, exec_lo, s24
	s_cbranch_vccnz .LBB87_7
.LBB87_6:
	v_cvt_f32_u32_e32 v1, s2
	s_sub_i32 s17, 0, s2
	s_mov_b32 s23, 0
	s_delay_alu instid0(VALU_DEP_1) | instskip(SKIP_2) | instid1(VALU_DEP_1)
	v_rcp_iflag_f32_e32 v1, v1
	s_waitcnt_depctr 0xfff
	v_mul_f32_e32 v1, 0x4f7ffffe, v1
	v_cvt_u32_f32_e32 v1, v1
	s_delay_alu instid0(VALU_DEP_1) | instskip(NEXT) | instid1(VALU_DEP_1)
	v_readfirstlane_b32 s7, v1
	s_mul_i32 s17, s17, s7
	s_delay_alu instid0(SALU_CYCLE_1) | instskip(NEXT) | instid1(SALU_CYCLE_1)
	s_mul_hi_u32 s17, s7, s17
	s_add_i32 s7, s7, s17
	s_delay_alu instid0(SALU_CYCLE_1) | instskip(NEXT) | instid1(SALU_CYCLE_1)
	s_mul_hi_u32 s7, s28, s7
	s_mul_i32 s17, s7, s2
	s_add_i32 s21, s7, 1
	s_sub_i32 s17, s28, s17
	s_delay_alu instid0(SALU_CYCLE_1)
	s_sub_i32 s22, s17, s2
	s_cmp_ge_u32 s17, s2
	s_cselect_b32 s7, s21, s7
	s_cselect_b32 s17, s22, s17
	s_add_i32 s21, s7, 1
	s_cmp_ge_u32 s17, s2
	s_cselect_b32 s22, s21, s7
.LBB87_7:
	s_load_b64 s[24:25], s[0:1], 0x78
	s_mul_i32 s3, s22, s3
	s_mul_hi_u32 s7, s22, s2
	s_mul_i32 s33, s22, s4
	s_add_i32 s3, s7, s3
	s_mul_i32 s7, s23, s2
	s_mul_i32 s2, s22, s2
	s_add_i32 s7, s3, s7
	s_sub_u32 s3, s28, s2
	s_subb_u32 s7, s29, s7
	s_mul_hi_u32 s28, s22, s4
	s_mul_i32 s29, s23, s4
	s_mul_hi_u32 s23, s3, s5
	s_mul_i32 s7, s7, s5
	s_mul_i32 s17, s3, s5
	s_mov_b32 s34, exec_lo
	v_cmpx_gt_i32_e64 s20, v0
	s_cbranch_execz .LBB87_46
; %bb.8:
	s_load_b32 s2, s[0:1], 0x8c
	s_ashr_i32 s38, s4, 31
	s_ashr_i32 s39, s5, 31
	s_lshl_b64 s[36:37], s[30:31], 1
	s_mul_i32 s30, s22, s38
	s_mul_i32 s38, s3, s39
	s_add_i32 s30, s28, s30
	s_add_i32 s38, s23, s38
	s_ashr_i32 s21, s20, 31
	s_ashr_i32 s40, s6, 31
	s_mul_i32 s9, s9, s16
	s_mul_hi_u32 s31, s8, s16
	s_add_i32 s39, s30, s29
	s_add_i32 s38, s38, s7
	s_mul_i32 s8, s8, s16
	s_waitcnt lgkmcnt(0)
	s_load_b32 s35, s[24:25], 0x0
	v_dual_mov_b32 v4, 0 :: v_dual_lshlrev_b32 v1, 2, v0
	v_mov_b32_e32 v17, v0
	s_and_b32 s30, s2, 0xffff
	s_add_u32 s2, s26, s36
	s_addc_u32 s27, s27, s37
	s_add_i32 s9, s31, s9
	v_add_co_u32 v11, s2, s2, v3
	s_lshl_b64 s[8:9], s[8:9], 1
	s_lshl_b32 s26, s30, 1
	s_lshl_b64 s[36:37], s[20:21], 1
	v_add_co_ci_u32_e64 v12, null, s27, 0, s2
	s_add_u32 s2, s12, s8
	s_addc_u32 s8, s13, s9
	v_add_co_u32 v1, s2, s2, v1
	s_lshl_b32 s12, s30, 2
	v_add_co_ci_u32_e64 v2, null, s8, 0, s2
	s_add_u32 s2, s33, s17
	s_addc_u32 s8, s39, s38
	s_add_u32 s9, s18, s6
	s_addc_u32 s13, s19, s40
	s_add_u32 s2, s9, s2
	v_add_co_u32 v13, vcc_lo, v11, s36
	s_addc_u32 s8, s13, s8
	v_add_co_u32 v15, s2, s2, v3
	v_add_co_ci_u32_e32 v14, vcc_lo, s37, v12, vcc_lo
	v_add_co_ci_u32_e64 v16, null, s8, 0, s2
	s_mov_b32 s13, 0
	s_mov_b64 s[8:9], 0
	s_branch .LBB87_10
.LBB87_9:                               ;   in Loop: Header=BB87_10 Depth=1
	s_or_b32 exec_lo, exec_lo, s2
	v_add_nc_u32_e32 v17, s30, v17
	v_add_co_u32 v1, s2, v1, s12
	s_delay_alu instid0(VALU_DEP_1) | instskip(NEXT) | instid1(VALU_DEP_3)
	v_add_co_ci_u32_e64 v2, s2, 0, v2, s2
	v_cmp_le_i32_e32 vcc_lo, s20, v17
	s_add_u32 s8, s8, s26
	s_addc_u32 s9, s9, 0
	global_store_b8 v[5:6], v8, off offset:1
	s_or_b32 s13, vcc_lo, s13
	s_delay_alu instid0(SALU_CYCLE_1)
	s_and_not1_b32 exec_lo, exec_lo, s13
	s_cbranch_execz .LBB87_46
.LBB87_10:                              ; =>This Inner Loop Header: Depth=1
	v_add_co_u32 v5, vcc_lo, v11, s8
	v_add_co_ci_u32_e32 v6, vcc_lo, s9, v12, vcc_lo
	v_add_co_u32 v7, vcc_lo, v13, s8
	v_add_co_ci_u32_e32 v8, vcc_lo, s9, v14, vcc_lo
	s_clause 0x1
	global_load_u16 v3, v[5:6], off
	global_load_u16 v5, v[7:8], off
	global_load_b32 v6, v[1:2], off
	s_waitcnt vmcnt(2)
	v_cvt_f32_f16_e32 v7, v3
	s_waitcnt vmcnt(1)
	v_cvt_f32_f16_e32 v8, v5
	v_cmp_o_f16_e32 vcc_lo, v3, v3
	s_delay_alu instid0(VALU_DEP_3) | instskip(NEXT) | instid1(VALU_DEP_3)
	v_bfe_u32 v9, v7, 16, 1
	v_bfe_u32 v10, v8, 16, 1
	s_delay_alu instid0(VALU_DEP_2) | instskip(NEXT) | instid1(VALU_DEP_2)
	v_add3_u32 v7, v7, v9, 0x7fff
	v_add3_u32 v8, v8, v10, 0x7fff
	s_waitcnt vmcnt(0)
	v_and_b32_e32 v9, 0xffff0000, v6
	s_delay_alu instid0(VALU_DEP_3) | instskip(NEXT) | instid1(VALU_DEP_1)
	v_and_b32_e32 v7, 0xffff0000, v7
	v_dual_cndmask_b32 v3, 0x7fc00000, v7 :: v_dual_lshlrev_b32 v6, 16, v6
	v_and_b32_e32 v8, 0xffff0000, v8
	v_cmp_o_f16_e32 vcc_lo, v5, v5
	s_delay_alu instid0(VALU_DEP_3) | instskip(SKIP_1) | instid1(VALU_DEP_4)
	v_mul_f32_e32 v7, v3, v6
	v_mul_f32_e32 v3, v3, v9
	v_cndmask_b32_e32 v5, 0x7fc00000, v8, vcc_lo
	s_delay_alu instid0(VALU_DEP_3) | instskip(SKIP_1) | instid1(VALU_DEP_3)
	v_bfe_u32 v10, v7, 16, 1
	v_cmp_o_f32_e32 vcc_lo, v7, v7
	v_mul_f32_e32 v8, v5, v9
	v_cmp_o_f32_e64 s2, v3, v3
	s_delay_alu instid0(VALU_DEP_4) | instskip(NEXT) | instid1(VALU_DEP_3)
	v_add3_u32 v10, v7, v10, 0x7fff
	v_bfe_u32 v18, v8, 16, 1
	s_delay_alu instid0(VALU_DEP_2) | instskip(NEXT) | instid1(VALU_DEP_2)
	v_and_b32_e32 v10, 0xffff0000, v10
	v_add3_u32 v18, v8, v18, 0x7fff
	s_delay_alu instid0(VALU_DEP_2) | instskip(SKIP_1) | instid1(VALU_DEP_3)
	v_cndmask_b32_e32 v7, 0x7fc00000, v10, vcc_lo
	v_cmp_o_f32_e32 vcc_lo, v8, v8
	v_and_b32_e32 v18, 0xffff0000, v18
	s_delay_alu instid0(VALU_DEP_1) | instskip(NEXT) | instid1(VALU_DEP_1)
	v_cndmask_b32_e32 v8, 0x7fc00000, v18, vcc_lo
	v_sub_f32_e32 v7, v7, v8
	s_delay_alu instid0(VALU_DEP_1) | instskip(SKIP_1) | instid1(VALU_DEP_2)
	v_bfe_u32 v8, v7, 16, 1
	v_cmp_o_f32_e32 vcc_lo, v7, v7
	v_add3_u32 v8, v7, v8, 0x7fff
	s_delay_alu instid0(VALU_DEP_1) | instskip(NEXT) | instid1(VALU_DEP_1)
	v_lshrrev_b32_e32 v8, 16, v8
	v_cndmask_b32_e32 v18, 0x7fc0, v8, vcc_lo
	s_delay_alu instid0(VALU_DEP_1) | instskip(SKIP_1) | instid1(VALU_DEP_1)
	v_cvt_f32_f16_e32 v7, v18
	s_waitcnt lgkmcnt(0)
	v_div_scale_f32 v8, null, s35, s35, v7
	v_div_scale_f32 v9, vcc_lo, v7, s35, v7
	s_delay_alu instid0(VALU_DEP_2) | instskip(SKIP_2) | instid1(VALU_DEP_1)
	v_rcp_f32_e32 v10, v8
	s_waitcnt_depctr 0xfff
	v_fma_f32 v19, -v8, v10, 1.0
	v_fmac_f32_e32 v10, v19, v10
	v_mul_f32_e32 v5, v5, v6
	v_bfe_u32 v6, v3, 16, 1
	s_delay_alu instid0(VALU_DEP_2) | instskip(NEXT) | instid1(VALU_DEP_2)
	v_bfe_u32 v20, v5, 16, 1
	v_add3_u32 v6, v3, v6, 0x7fff
	s_delay_alu instid0(VALU_DEP_2) | instskip(SKIP_1) | instid1(VALU_DEP_3)
	v_add3_u32 v20, v5, v20, 0x7fff
	v_mul_f32_e32 v19, v9, v10
	v_and_b32_e32 v6, 0xffff0000, v6
	s_delay_alu instid0(VALU_DEP_3) | instskip(NEXT) | instid1(VALU_DEP_3)
	v_and_b32_e32 v20, 0xffff0000, v20
	v_fma_f32 v21, -v8, v19, v9
	s_delay_alu instid0(VALU_DEP_3) | instskip(SKIP_1) | instid1(VALU_DEP_3)
	v_cndmask_b32_e64 v3, 0x7fc00000, v6, s2
	v_cmp_o_f32_e64 s2, v5, v5
	v_fmac_f32_e32 v19, v21, v10
	s_delay_alu instid0(VALU_DEP_2) | instskip(NEXT) | instid1(VALU_DEP_2)
	v_cndmask_b32_e64 v5, 0x7fc00000, v20, s2
	v_fma_f32 v6, -v8, v19, v9
	s_delay_alu instid0(VALU_DEP_2) | instskip(NEXT) | instid1(VALU_DEP_2)
	v_dual_mov_b32 v8, v4 :: v_dual_add_f32 v3, v3, v5
	v_div_fmas_f32 v6, v6, v10, v19
	s_delay_alu instid0(VALU_DEP_2) | instskip(NEXT) | instid1(VALU_DEP_2)
	v_cmp_o_f32_e32 vcc_lo, v3, v3
	v_div_fixup_f32 v5, v6, s35, v7
	v_bfe_u32 v6, v3, 16, 1
	s_delay_alu instid0(VALU_DEP_2) | instskip(NEXT) | instid1(VALU_DEP_2)
	v_cvt_f16_f32_e32 v5, v5
	v_add3_u32 v6, v3, v6, 0x7fff
	s_delay_alu instid0(VALU_DEP_2) | instskip(NEXT) | instid1(VALU_DEP_2)
	v_cvt_f32_f16_e32 v5, v5
	v_lshrrev_b32_e32 v7, 16, v6
	s_delay_alu instid0(VALU_DEP_2) | instskip(NEXT) | instid1(VALU_DEP_2)
	v_lshrrev_b32_e32 v6, 24, v5
	v_cndmask_b32_e32 v3, 0x7fc0, v7, vcc_lo
	v_and_b32_e32 v7, 0x7f800000, v5
	s_delay_alu instid0(VALU_DEP_3) | instskip(NEXT) | instid1(VALU_DEP_3)
	v_and_b32_e32 v10, 0x80, v6
	v_perm_b32 v9, v3, v18, 0x5040100
	s_delay_alu instid0(VALU_DEP_3) | instskip(SKIP_1) | instid1(VALU_DEP_4)
	v_cmp_ne_u64_e32 vcc_lo, 0x7f800000, v[7:8]
	v_and_b32_e32 v3, 0x7fffff, v5
	v_or_b32_e32 v7, 0x7e, v10
	global_store_b32 v[1:2], v9, off
	s_and_saveexec_b32 s2, vcc_lo
	s_delay_alu instid0(SALU_CYCLE_1)
	s_xor_b32 s21, exec_lo, s2
	s_cbranch_execz .LBB87_26
; %bb.11:                               ;   in Loop: Header=BB87_10 Depth=1
	v_dual_mov_b32 v19, v4 :: v_dual_and_b32 v18, 0x7fffffff, v5
	s_mov_b32 s2, exec_lo
	s_delay_alu instid0(VALU_DEP_1)
	v_cmpx_gt_u64_e32 0x43e00001, v[18:19]
	s_xor_b32 s27, exec_lo, s2
	s_cbranch_execz .LBB87_25
; %bb.12:                               ;   in Loop: Header=BB87_10 Depth=1
	v_mov_b32_e32 v7, 0
	s_mov_b32 s31, exec_lo
	v_cmpx_ne_u32_e32 0, v5
	s_cbranch_execz .LBB87_24
; %bb.13:                               ;   in Loop: Header=BB87_10 Depth=1
	v_bfe_u32 v18, v5, 23, 8
	v_or_b32_e32 v7, 0x800000, v3
	s_delay_alu instid0(VALU_DEP_2) | instskip(SKIP_1) | instid1(VALU_DEP_2)
	v_sub_nc_u32_e32 v5, 0x79, v18
	v_cmp_gt_u32_e32 vcc_lo, 0x7a, v18
	v_cndmask_b32_e32 v5, 0, v5, vcc_lo
	v_cmp_eq_u32_e32 vcc_lo, 0, v18
	s_delay_alu instid0(VALU_DEP_2) | instskip(SKIP_1) | instid1(VALU_DEP_2)
	v_cndmask_b32_e64 v19, v5, 0x78, vcc_lo
	v_cndmask_b32_e32 v3, v7, v3, vcc_lo
	v_add_nc_u32_e32 v5, 20, v19
	v_add_nc_u32_e32 v7, 19, v19
	s_delay_alu instid0(VALU_DEP_2) | instskip(NEXT) | instid1(VALU_DEP_2)
	v_lshlrev_b64 v[5:6], v5, -1
	v_lshlrev_b64 v[7:8], v7, 1
	s_delay_alu instid0(VALU_DEP_2) | instskip(NEXT) | instid1(VALU_DEP_3)
	v_not_b32_e32 v6, v6
	v_not_b32_e32 v5, v5
	s_delay_alu instid0(VALU_DEP_2) | instskip(NEXT) | instid1(VALU_DEP_2)
	v_and_b32_e32 v21, 0, v6
	v_and_b32_e32 v20, v3, v5
	v_lshrrev_b64 v[5:6], v19, v[3:4]
	s_delay_alu instid0(VALU_DEP_2) | instskip(NEXT) | instid1(VALU_DEP_2)
	v_cmp_eq_u64_e64 s2, v[20:21], v[7:8]
	v_dual_mov_b32 v8, v6 :: v_dual_mov_b32 v7, v5
	s_delay_alu instid0(VALU_DEP_2)
	s_and_saveexec_b32 s36, s2
; %bb.14:                               ;   in Loop: Header=BB87_10 Depth=1
	v_bfe_u32 v3, v5, 20, 1
	s_delay_alu instid0(VALU_DEP_1) | instskip(NEXT) | instid1(VALU_DEP_1)
	v_add_co_u32 v3, s2, v5, v3
	v_add_co_u32 v7, s2, v3, -1
; %bb.15:                               ;   in Loop: Header=BB87_10 Depth=1
	s_or_b32 exec_lo, exec_lo, s36
	v_add_nc_u32_e32 v3, 0xffffff81, v18
	v_lshrrev_b32_e32 v8, 23, v5
	s_mov_b32 s2, exec_lo
	s_delay_alu instid0(VALU_DEP_2) | instskip(NEXT) | instid1(VALU_DEP_1)
	v_cndmask_b32_e64 v3, v3, 0xffffff82, vcc_lo
	v_add3_u32 v8, v19, v3, v8
	v_and_b32_e32 v3, 0xfffff, v7
	s_delay_alu instid0(VALU_DEP_2) | instskip(NEXT) | instid1(VALU_DEP_2)
	v_add_nc_u32_e32 v7, 6, v8
	v_add_co_u32 v5, vcc_lo, v3, v5
	v_add_co_ci_u32_e32 v6, vcc_lo, 0, v6, vcc_lo
                                        ; implicit-def: $vgpr3
	s_delay_alu instid0(VALU_DEP_3)
	v_cmpx_ne_u32_e32 0, v7
	s_xor_b32 s2, exec_lo, s2
; %bb.16:                               ;   in Loop: Header=BB87_10 Depth=1
	s_delay_alu instid0(VALU_DEP_2) | instskip(SKIP_1) | instid1(VALU_DEP_1)
	v_cmp_lt_u64_e32 vcc_lo, 0xffffff, v[5:6]
	v_add_nc_u32_e32 v3, 7, v8
	v_cndmask_b32_e32 v3, v7, v3, vcc_lo
	v_cndmask_b32_e64 v7, 0, 1, vcc_lo
	s_delay_alu instid0(VALU_DEP_1)
	v_lshrrev_b64 v[5:6], v7, v[5:6]
; %bb.17:                               ;   in Loop: Header=BB87_10 Depth=1
	s_and_not1_saveexec_b32 s2, s2
; %bb.18:                               ;   in Loop: Header=BB87_10 Depth=1
	s_delay_alu instid0(VALU_DEP_1)
	v_bfe_u32 v3, v5, 23, 1
; %bb.19:                               ;   in Loop: Header=BB87_10 Depth=1
	s_or_b32 exec_lo, exec_lo, s2
	s_delay_alu instid0(VALU_DEP_2) | instskip(NEXT) | instid1(VALU_DEP_2)
	v_lshrrev_b64 v[5:6], 20, v[5:6]
	v_cmp_gt_i32_e32 vcc_lo, 16, v3
	v_cmp_ne_u32_e64 s2, 0, v3
                                        ; implicit-def: $vgpr7
	s_delay_alu instid0(VALU_DEP_3) | instskip(NEXT) | instid1(VALU_DEP_1)
	v_dual_cndmask_b32 v6, 0, v6 :: v_dual_cndmask_b32 v5, 7, v5
	v_cmp_ne_u64_e32 vcc_lo, 0, v[5:6]
	s_delay_alu instid0(VALU_DEP_3) | instskip(NEXT) | instid1(SALU_CYCLE_1)
	s_or_b32 s2, s2, vcc_lo
	s_and_saveexec_b32 s36, s2
	s_delay_alu instid0(SALU_CYCLE_1)
	s_xor_b32 s2, exec_lo, s36
; %bb.20:                               ;   in Loop: Header=BB87_10 Depth=1
	v_min_i32_e32 v3, 15, v3
	s_delay_alu instid0(VALU_DEP_1) | instskip(NEXT) | instid1(VALU_DEP_1)
	v_lshl_or_b32 v3, v3, 3, v10
                                        ; implicit-def: $vgpr10
	v_and_or_b32 v7, v5, 7, v3
; %bb.21:                               ;   in Loop: Header=BB87_10 Depth=1
	s_and_not1_saveexec_b32 s2, s2
; %bb.22:                               ;   in Loop: Header=BB87_10 Depth=1
	v_mov_b32_e32 v7, v10
; %bb.23:                               ;   in Loop: Header=BB87_10 Depth=1
	s_or_b32 exec_lo, exec_lo, s2
.LBB87_24:                              ;   in Loop: Header=BB87_10 Depth=1
	s_delay_alu instid0(SALU_CYCLE_1)
	s_or_b32 exec_lo, exec_lo, s31
.LBB87_25:                              ;   in Loop: Header=BB87_10 Depth=1
	s_and_not1_saveexec_b32 s2, s27
	s_delay_alu instid0(SALU_CYCLE_1)
	s_or_b32 exec_lo, exec_lo, s2
                                        ; implicit-def: $vgpr6
.LBB87_26:                              ;   in Loop: Header=BB87_10 Depth=1
	s_and_not1_saveexec_b32 s2, s21
; %bb.27:                               ;   in Loop: Header=BB87_10 Depth=1
	v_cmp_eq_u64_e32 vcc_lo, 0, v[3:4]
	v_or_b32_e32 v5, 0x7f, v6
	s_delay_alu instid0(VALU_DEP_1)
	v_cndmask_b32_e32 v7, v5, v7, vcc_lo
; %bb.28:                               ;   in Loop: Header=BB87_10 Depth=1
	s_or_b32 exec_lo, exec_lo, s2
	v_lshrrev_b32_e32 v3, 16, v9
	v_mov_b32_e32 v20, v4
	s_mov_b32 s2, exec_lo
	s_delay_alu instid0(VALU_DEP_2) | instskip(NEXT) | instid1(VALU_DEP_1)
	v_cvt_f32_f16_e32 v3, v3
	v_div_scale_f32 v5, null, s35, s35, v3
	v_div_scale_f32 v9, vcc_lo, v3, s35, v3
	s_delay_alu instid0(VALU_DEP_2) | instskip(SKIP_2) | instid1(VALU_DEP_1)
	v_rcp_f32_e32 v6, v5
	s_waitcnt_depctr 0xfff
	v_fma_f32 v8, -v5, v6, 1.0
	v_fmac_f32_e32 v6, v8, v6
	s_delay_alu instid0(VALU_DEP_1) | instskip(NEXT) | instid1(VALU_DEP_1)
	v_mul_f32_e32 v8, v9, v6
	v_fma_f32 v10, -v5, v8, v9
	s_delay_alu instid0(VALU_DEP_1) | instskip(NEXT) | instid1(VALU_DEP_1)
	v_fmac_f32_e32 v8, v10, v6
	v_fma_f32 v5, -v5, v8, v9
	s_delay_alu instid0(VALU_DEP_1) | instskip(NEXT) | instid1(VALU_DEP_1)
	v_div_fmas_f32 v5, v5, v6, v8
	v_div_fixup_f32 v3, v5, s35, v3
	v_add_co_u32 v5, vcc_lo, v15, s8
	v_add_co_ci_u32_e32 v6, vcc_lo, s9, v16, vcc_lo
	s_delay_alu instid0(VALU_DEP_3) | instskip(SKIP_2) | instid1(VALU_DEP_1)
	v_cvt_f16_f32_e32 v3, v3
	global_store_b8 v[5:6], v7, off
	v_cvt_f32_f16_e32 v9, v3
	v_and_b32_e32 v3, 0x7fffff, v9
	v_lshrrev_b32_e32 v10, 24, v9
	v_and_b32_e32 v19, 0x7f800000, v9
	s_delay_alu instid0(VALU_DEP_2) | instskip(NEXT) | instid1(VALU_DEP_1)
	v_and_b32_e32 v18, 0x80, v10
	v_or_b32_e32 v8, 0x7e, v18
	s_delay_alu instid0(VALU_DEP_3)
	v_cmpx_ne_u64_e32 0x7f800000, v[19:20]
	s_xor_b32 s21, exec_lo, s2
	s_cbranch_execz .LBB87_44
; %bb.29:                               ;   in Loop: Header=BB87_10 Depth=1
	v_dual_mov_b32 v20, v4 :: v_dual_and_b32 v19, 0x7fffffff, v9
	s_mov_b32 s2, exec_lo
	s_delay_alu instid0(VALU_DEP_1)
	v_cmpx_gt_u64_e32 0x43e00001, v[19:20]
	s_xor_b32 s27, exec_lo, s2
	s_cbranch_execz .LBB87_43
; %bb.30:                               ;   in Loop: Header=BB87_10 Depth=1
	v_mov_b32_e32 v8, 0
	s_mov_b32 s31, exec_lo
	v_cmpx_ne_u32_e32 0, v9
	s_cbranch_execz .LBB87_42
; %bb.31:                               ;   in Loop: Header=BB87_10 Depth=1
	v_bfe_u32 v19, v9, 23, 8
	v_or_b32_e32 v9, 0x800000, v3
	s_delay_alu instid0(VALU_DEP_2) | instskip(SKIP_1) | instid1(VALU_DEP_2)
	v_sub_nc_u32_e32 v7, 0x79, v19
	v_cmp_gt_u32_e32 vcc_lo, 0x7a, v19
	v_cndmask_b32_e32 v7, 0, v7, vcc_lo
	v_cmp_eq_u32_e32 vcc_lo, 0, v19
	s_delay_alu instid0(VALU_DEP_2) | instskip(SKIP_1) | instid1(VALU_DEP_2)
	v_cndmask_b32_e64 v20, v7, 0x78, vcc_lo
	v_cndmask_b32_e32 v3, v9, v3, vcc_lo
	v_add_nc_u32_e32 v7, 20, v20
	v_add_nc_u32_e32 v9, 19, v20
	s_delay_alu instid0(VALU_DEP_2) | instskip(NEXT) | instid1(VALU_DEP_2)
	v_lshlrev_b64 v[7:8], v7, -1
	v_lshlrev_b64 v[9:10], v9, 1
	s_delay_alu instid0(VALU_DEP_2) | instskip(NEXT) | instid1(VALU_DEP_3)
	v_not_b32_e32 v8, v8
	v_not_b32_e32 v7, v7
	s_delay_alu instid0(VALU_DEP_2) | instskip(NEXT) | instid1(VALU_DEP_2)
	v_and_b32_e32 v22, 0, v8
	v_and_b32_e32 v21, v3, v7
	v_lshrrev_b64 v[7:8], v20, v[3:4]
	s_delay_alu instid0(VALU_DEP_2) | instskip(NEXT) | instid1(VALU_DEP_2)
	v_cmp_eq_u64_e64 s2, v[21:22], v[9:10]
	v_dual_mov_b32 v10, v8 :: v_dual_mov_b32 v9, v7
	s_delay_alu instid0(VALU_DEP_2)
	s_and_saveexec_b32 s36, s2
; %bb.32:                               ;   in Loop: Header=BB87_10 Depth=1
	v_bfe_u32 v3, v7, 20, 1
	s_delay_alu instid0(VALU_DEP_1) | instskip(NEXT) | instid1(VALU_DEP_1)
	v_add_co_u32 v3, s2, v7, v3
	v_add_co_u32 v9, s2, v3, -1
; %bb.33:                               ;   in Loop: Header=BB87_10 Depth=1
	s_or_b32 exec_lo, exec_lo, s36
	v_add_nc_u32_e32 v3, 0xffffff81, v19
	v_lshrrev_b32_e32 v10, 23, v7
	s_mov_b32 s2, exec_lo
	s_delay_alu instid0(VALU_DEP_2) | instskip(NEXT) | instid1(VALU_DEP_1)
	v_cndmask_b32_e64 v3, v3, 0xffffff82, vcc_lo
	v_add3_u32 v10, v20, v3, v10
	v_and_b32_e32 v3, 0xfffff, v9
	s_delay_alu instid0(VALU_DEP_2) | instskip(NEXT) | instid1(VALU_DEP_2)
	v_add_nc_u32_e32 v9, 6, v10
	v_add_co_u32 v7, vcc_lo, v3, v7
	v_add_co_ci_u32_e32 v8, vcc_lo, 0, v8, vcc_lo
                                        ; implicit-def: $vgpr3
	s_delay_alu instid0(VALU_DEP_3)
	v_cmpx_ne_u32_e32 0, v9
	s_xor_b32 s2, exec_lo, s2
; %bb.34:                               ;   in Loop: Header=BB87_10 Depth=1
	s_delay_alu instid0(VALU_DEP_2) | instskip(SKIP_1) | instid1(VALU_DEP_1)
	v_cmp_lt_u64_e32 vcc_lo, 0xffffff, v[7:8]
	v_add_nc_u32_e32 v3, 7, v10
	v_cndmask_b32_e32 v3, v9, v3, vcc_lo
	v_cndmask_b32_e64 v9, 0, 1, vcc_lo
	s_delay_alu instid0(VALU_DEP_1)
	v_lshrrev_b64 v[7:8], v9, v[7:8]
; %bb.35:                               ;   in Loop: Header=BB87_10 Depth=1
	s_and_not1_saveexec_b32 s2, s2
; %bb.36:                               ;   in Loop: Header=BB87_10 Depth=1
	s_delay_alu instid0(VALU_DEP_1)
	v_bfe_u32 v3, v7, 23, 1
; %bb.37:                               ;   in Loop: Header=BB87_10 Depth=1
	s_or_b32 exec_lo, exec_lo, s2
	s_delay_alu instid0(VALU_DEP_2) | instskip(NEXT) | instid1(VALU_DEP_2)
	v_lshrrev_b64 v[7:8], 20, v[7:8]
	v_cmp_gt_i32_e32 vcc_lo, 16, v3
	v_cmp_ne_u32_e64 s2, 0, v3
	s_delay_alu instid0(VALU_DEP_3) | instskip(NEXT) | instid1(VALU_DEP_1)
	v_dual_cndmask_b32 v8, 0, v8 :: v_dual_cndmask_b32 v7, 7, v7
	v_cmp_ne_u64_e32 vcc_lo, 0, v[7:8]
                                        ; implicit-def: $vgpr8
	s_delay_alu instid0(VALU_DEP_3) | instskip(NEXT) | instid1(SALU_CYCLE_1)
	s_or_b32 s2, s2, vcc_lo
	s_and_saveexec_b32 s36, s2
	s_delay_alu instid0(SALU_CYCLE_1)
	s_xor_b32 s2, exec_lo, s36
; %bb.38:                               ;   in Loop: Header=BB87_10 Depth=1
	v_min_i32_e32 v3, 15, v3
	s_delay_alu instid0(VALU_DEP_1) | instskip(NEXT) | instid1(VALU_DEP_1)
	v_lshl_or_b32 v3, v3, 3, v18
                                        ; implicit-def: $vgpr18
	v_and_or_b32 v8, v7, 7, v3
; %bb.39:                               ;   in Loop: Header=BB87_10 Depth=1
	s_and_not1_saveexec_b32 s2, s2
; %bb.40:                               ;   in Loop: Header=BB87_10 Depth=1
	v_mov_b32_e32 v8, v18
; %bb.41:                               ;   in Loop: Header=BB87_10 Depth=1
	s_or_b32 exec_lo, exec_lo, s2
.LBB87_42:                              ;   in Loop: Header=BB87_10 Depth=1
	s_delay_alu instid0(SALU_CYCLE_1)
	s_or_b32 exec_lo, exec_lo, s31
.LBB87_43:                              ;   in Loop: Header=BB87_10 Depth=1
	s_and_not1_saveexec_b32 s2, s27
	s_delay_alu instid0(SALU_CYCLE_1)
	s_or_b32 exec_lo, exec_lo, s2
                                        ; implicit-def: $vgpr10
.LBB87_44:                              ;   in Loop: Header=BB87_10 Depth=1
	s_and_not1_saveexec_b32 s2, s21
	s_cbranch_execz .LBB87_9
; %bb.45:                               ;   in Loop: Header=BB87_10 Depth=1
	v_cmp_eq_u64_e32 vcc_lo, 0, v[3:4]
	v_or_b32_e32 v7, 0x7f, v10
	s_delay_alu instid0(VALU_DEP_1)
	v_cndmask_b32_e32 v8, v7, v8, vcc_lo
	s_branch .LBB87_9
.LBB87_46:
	s_or_b32 exec_lo, exec_lo, s34
	s_delay_alu instid0(SALU_CYCLE_1)
	s_mov_b32 s2, exec_lo
	v_cmpx_gt_i32_e64 s6, v0
	s_cbranch_execz .LBB87_67
; %bb.47:
	s_mul_i32 s2, s16, s11
	s_mul_hi_u32 s9, s16, s10
	s_mul_i32 s8, s16, s10
	s_add_i32 s9, s9, s2
	s_load_b32 s0, s[0:1], 0x8c
	s_lshl_b64 s[8:9], s[8:9], 1
	v_mov_b32_e32 v3, 0
	s_add_u32 s1, s14, s8
	s_addc_u32 s2, s15, s9
	s_ashr_i32 s8, s4, 31
	s_waitcnt lgkmcnt(0)
	s_load_b32 s4, s[24:25], 0x0
	s_mul_i32 s8, s22, s8
	s_delay_alu instid0(SALU_CYCLE_1) | instskip(NEXT) | instid1(SALU_CYCLE_1)
	s_add_i32 s8, s28, s8
	s_add_i32 s8, s8, s29
	s_add_u32 s9, s18, s33
	s_addc_u32 s8, s19, s8
	s_ashr_i32 s5, s5, 31
	s_delay_alu instid0(SALU_CYCLE_1) | instskip(NEXT) | instid1(SALU_CYCLE_1)
	s_mul_i32 s3, s3, s5
	s_add_i32 s3, s23, s3
	s_delay_alu instid0(SALU_CYCLE_1)
	s_add_i32 s5, s3, s7
	s_add_u32 s3, s9, s17
	s_addc_u32 s5, s8, s5
	s_and_b32 s7, s0, 0xffff
	s_mov_b32 s8, 0
	s_branch .LBB87_49
.LBB87_48:                              ;   in Loop: Header=BB87_49 Depth=1
	s_or_b32 exec_lo, exec_lo, s0
	v_add_co_u32 v6, vcc_lo, s3, v0
	v_add_nc_u32_e32 v0, s7, v0
	v_add_co_ci_u32_e32 v7, vcc_lo, s5, v1, vcc_lo
	s_delay_alu instid0(VALU_DEP_2) | instskip(SKIP_2) | instid1(SALU_CYCLE_1)
	v_cmp_le_i32_e32 vcc_lo, s6, v0
	global_store_b8 v[6:7], v5, off
	s_or_b32 s8, vcc_lo, s8
	s_and_not1_b32 exec_lo, exec_lo, s8
	s_cbranch_execz .LBB87_67
.LBB87_49:                              ; =>This Inner Loop Header: Depth=1
	v_ashrrev_i32_e32 v1, 31, v0
	s_mov_b32 s0, exec_lo
	v_mov_b32_e32 v10, v3
	s_delay_alu instid0(VALU_DEP_2) | instskip(NEXT) | instid1(VALU_DEP_1)
	v_lshlrev_b64 v[4:5], 1, v[0:1]
	v_add_co_u32 v4, vcc_lo, s1, v4
	s_delay_alu instid0(VALU_DEP_2) | instskip(SKIP_4) | instid1(VALU_DEP_1)
	v_add_co_ci_u32_e32 v5, vcc_lo, s2, v5, vcc_lo
	global_load_u16 v2, v[4:5], off
	s_waitcnt vmcnt(0)
	v_cvt_f32_f16_e32 v2, v2
	s_waitcnt lgkmcnt(0)
	v_div_scale_f32 v4, null, s4, s4, v2
	s_delay_alu instid0(VALU_DEP_1) | instskip(SKIP_2) | instid1(VALU_DEP_1)
	v_rcp_f32_e32 v5, v4
	s_waitcnt_depctr 0xfff
	v_fma_f32 v6, -v4, v5, 1.0
	v_fmac_f32_e32 v5, v6, v5
	v_div_scale_f32 v6, vcc_lo, v2, s4, v2
	s_delay_alu instid0(VALU_DEP_1) | instskip(NEXT) | instid1(VALU_DEP_1)
	v_mul_f32_e32 v7, v6, v5
	v_fma_f32 v8, -v4, v7, v6
	s_delay_alu instid0(VALU_DEP_1) | instskip(NEXT) | instid1(VALU_DEP_1)
	v_fmac_f32_e32 v7, v8, v5
	v_fma_f32 v4, -v4, v7, v6
	s_delay_alu instid0(VALU_DEP_1) | instskip(NEXT) | instid1(VALU_DEP_1)
	v_div_fmas_f32 v4, v4, v5, v7
	v_div_fixup_f32 v2, v4, s4, v2
	s_delay_alu instid0(VALU_DEP_1) | instskip(NEXT) | instid1(VALU_DEP_1)
	v_cvt_f16_f32_e32 v2, v2
	v_cvt_f32_f16_e32 v4, v2
	s_delay_alu instid0(VALU_DEP_1) | instskip(SKIP_2) | instid1(VALU_DEP_2)
	v_and_b32_e32 v2, 0x7fffff, v4
	v_lshrrev_b32_e32 v6, 24, v4
	v_and_b32_e32 v9, 0x7f800000, v4
	v_and_b32_e32 v8, 0x80, v6
	s_delay_alu instid0(VALU_DEP_1) | instskip(NEXT) | instid1(VALU_DEP_3)
	v_or_b32_e32 v5, 0x7e, v8
	v_cmpx_ne_u64_e32 0x7f800000, v[9:10]
	s_xor_b32 s9, exec_lo, s0
	s_cbranch_execz .LBB87_65
; %bb.50:                               ;   in Loop: Header=BB87_49 Depth=1
	v_dual_mov_b32 v7, v3 :: v_dual_and_b32 v6, 0x7fffffff, v4
	s_mov_b32 s0, exec_lo
	s_delay_alu instid0(VALU_DEP_1)
	v_cmpx_gt_u64_e32 0x43e00001, v[6:7]
	s_xor_b32 s10, exec_lo, s0
	s_cbranch_execz .LBB87_64
; %bb.51:                               ;   in Loop: Header=BB87_49 Depth=1
	v_mov_b32_e32 v5, 0
	s_mov_b32 s11, exec_lo
	v_cmpx_ne_u32_e32 0, v4
	s_cbranch_execz .LBB87_63
; %bb.52:                               ;   in Loop: Header=BB87_49 Depth=1
	v_bfe_u32 v9, v4, 23, 8
	v_or_b32_e32 v6, 0x800000, v2
	s_delay_alu instid0(VALU_DEP_2) | instskip(SKIP_1) | instid1(VALU_DEP_2)
	v_sub_nc_u32_e32 v4, 0x79, v9
	v_cmp_gt_u32_e32 vcc_lo, 0x7a, v9
	v_cndmask_b32_e32 v4, 0, v4, vcc_lo
	v_cmp_eq_u32_e32 vcc_lo, 0, v9
	s_delay_alu instid0(VALU_DEP_2) | instskip(SKIP_1) | instid1(VALU_DEP_2)
	v_cndmask_b32_e64 v10, v4, 0x78, vcc_lo
	v_cndmask_b32_e32 v2, v6, v2, vcc_lo
	v_add_nc_u32_e32 v4, 20, v10
	v_add_nc_u32_e32 v6, 19, v10
	s_delay_alu instid0(VALU_DEP_2) | instskip(NEXT) | instid1(VALU_DEP_2)
	v_lshlrev_b64 v[4:5], v4, -1
	v_lshlrev_b64 v[6:7], v6, 1
	s_delay_alu instid0(VALU_DEP_2) | instskip(NEXT) | instid1(VALU_DEP_3)
	v_not_b32_e32 v5, v5
	v_not_b32_e32 v4, v4
	s_delay_alu instid0(VALU_DEP_2) | instskip(NEXT) | instid1(VALU_DEP_2)
	v_and_b32_e32 v12, 0, v5
	v_and_b32_e32 v11, v2, v4
	v_lshrrev_b64 v[4:5], v10, v[2:3]
	s_delay_alu instid0(VALU_DEP_2) | instskip(NEXT) | instid1(VALU_DEP_2)
	v_cmp_eq_u64_e64 s0, v[11:12], v[6:7]
	v_dual_mov_b32 v7, v5 :: v_dual_mov_b32 v6, v4
	s_delay_alu instid0(VALU_DEP_2)
	s_and_saveexec_b32 s12, s0
; %bb.53:                               ;   in Loop: Header=BB87_49 Depth=1
	v_bfe_u32 v2, v4, 20, 1
	s_delay_alu instid0(VALU_DEP_1) | instskip(NEXT) | instid1(VALU_DEP_1)
	v_add_co_u32 v2, s0, v4, v2
	v_add_co_u32 v6, s0, v2, -1
; %bb.54:                               ;   in Loop: Header=BB87_49 Depth=1
	s_or_b32 exec_lo, exec_lo, s12
	v_add_nc_u32_e32 v2, 0xffffff81, v9
	v_lshrrev_b32_e32 v7, 23, v4
	s_mov_b32 s0, exec_lo
	s_delay_alu instid0(VALU_DEP_2) | instskip(NEXT) | instid1(VALU_DEP_1)
	v_cndmask_b32_e64 v2, v2, 0xffffff82, vcc_lo
	v_add3_u32 v7, v10, v2, v7
	v_and_b32_e32 v2, 0xfffff, v6
	s_delay_alu instid0(VALU_DEP_2) | instskip(NEXT) | instid1(VALU_DEP_2)
	v_add_nc_u32_e32 v6, 6, v7
	v_add_co_u32 v4, vcc_lo, v2, v4
	v_add_co_ci_u32_e32 v5, vcc_lo, 0, v5, vcc_lo
                                        ; implicit-def: $vgpr2
	s_delay_alu instid0(VALU_DEP_3)
	v_cmpx_ne_u32_e32 0, v6
	s_xor_b32 s0, exec_lo, s0
; %bb.55:                               ;   in Loop: Header=BB87_49 Depth=1
	s_delay_alu instid0(VALU_DEP_2) | instskip(SKIP_1) | instid1(VALU_DEP_1)
	v_cmp_lt_u64_e32 vcc_lo, 0xffffff, v[4:5]
	v_add_nc_u32_e32 v2, 7, v7
	v_cndmask_b32_e32 v2, v6, v2, vcc_lo
	v_cndmask_b32_e64 v6, 0, 1, vcc_lo
	s_delay_alu instid0(VALU_DEP_1)
	v_lshrrev_b64 v[4:5], v6, v[4:5]
; %bb.56:                               ;   in Loop: Header=BB87_49 Depth=1
	s_and_not1_saveexec_b32 s0, s0
; %bb.57:                               ;   in Loop: Header=BB87_49 Depth=1
	s_delay_alu instid0(VALU_DEP_1)
	v_bfe_u32 v2, v4, 23, 1
; %bb.58:                               ;   in Loop: Header=BB87_49 Depth=1
	s_or_b32 exec_lo, exec_lo, s0
	s_delay_alu instid0(VALU_DEP_2) | instskip(NEXT) | instid1(VALU_DEP_2)
	v_lshrrev_b64 v[4:5], 20, v[4:5]
	v_cmp_gt_i32_e32 vcc_lo, 16, v2
	v_cmp_ne_u32_e64 s0, 0, v2
	s_delay_alu instid0(VALU_DEP_3) | instskip(NEXT) | instid1(VALU_DEP_1)
	v_dual_cndmask_b32 v5, 0, v5 :: v_dual_cndmask_b32 v4, 7, v4
	v_cmp_ne_u64_e32 vcc_lo, 0, v[4:5]
                                        ; implicit-def: $vgpr5
	s_delay_alu instid0(VALU_DEP_3) | instskip(NEXT) | instid1(SALU_CYCLE_1)
	s_or_b32 s0, s0, vcc_lo
	s_and_saveexec_b32 s12, s0
	s_delay_alu instid0(SALU_CYCLE_1)
	s_xor_b32 s0, exec_lo, s12
; %bb.59:                               ;   in Loop: Header=BB87_49 Depth=1
	v_min_i32_e32 v2, 15, v2
	s_delay_alu instid0(VALU_DEP_1) | instskip(NEXT) | instid1(VALU_DEP_1)
	v_lshl_or_b32 v2, v2, 3, v8
                                        ; implicit-def: $vgpr8
	v_and_or_b32 v5, v4, 7, v2
; %bb.60:                               ;   in Loop: Header=BB87_49 Depth=1
	s_and_not1_saveexec_b32 s0, s0
; %bb.61:                               ;   in Loop: Header=BB87_49 Depth=1
	v_mov_b32_e32 v5, v8
; %bb.62:                               ;   in Loop: Header=BB87_49 Depth=1
	s_or_b32 exec_lo, exec_lo, s0
.LBB87_63:                              ;   in Loop: Header=BB87_49 Depth=1
	s_delay_alu instid0(SALU_CYCLE_1)
	s_or_b32 exec_lo, exec_lo, s11
.LBB87_64:                              ;   in Loop: Header=BB87_49 Depth=1
	s_and_not1_saveexec_b32 s0, s10
	s_delay_alu instid0(SALU_CYCLE_1)
	s_or_b32 exec_lo, exec_lo, s0
                                        ; implicit-def: $vgpr6
.LBB87_65:                              ;   in Loop: Header=BB87_49 Depth=1
	s_and_not1_saveexec_b32 s0, s9
	s_cbranch_execz .LBB87_48
; %bb.66:                               ;   in Loop: Header=BB87_49 Depth=1
	v_cmp_eq_u64_e32 vcc_lo, 0, v[2:3]
	v_or_b32_e32 v4, 0x7f, v6
	s_delay_alu instid0(VALU_DEP_1)
	v_cndmask_b32_e32 v5, v4, v5, vcc_lo
	s_branch .LBB87_48
.LBB87_67:
	s_nop 0
	s_sendmsg sendmsg(MSG_DEALLOC_VGPRS)
	s_endpgm
.LBB87_68:
                                        ; implicit-def: $sgpr22_sgpr23
	s_branch .LBB87_6
	.section	.rodata,"a",@progbits
	.p2align	6, 0x0
	.amdhsa_kernel _ZN4vllm38concat_and_cache_mla_rope_fused_kernelIN3c108BFloat16ENS1_4HalfELb0EthLNS_18Fp8KVCacheDataTypeE1EEEvPKlPT_S8_PKS7_PKT0_illlliPT3_S6_iiiiPKf
		.amdhsa_group_segment_fixed_size 0
		.amdhsa_private_segment_fixed_size 0
		.amdhsa_kernarg_size 384
		.amdhsa_user_sgpr_count 15
		.amdhsa_user_sgpr_dispatch_ptr 0
		.amdhsa_user_sgpr_queue_ptr 0
		.amdhsa_user_sgpr_kernarg_segment_ptr 1
		.amdhsa_user_sgpr_dispatch_id 0
		.amdhsa_user_sgpr_private_segment_size 0
		.amdhsa_wavefront_size32 1
		.amdhsa_uses_dynamic_stack 0
		.amdhsa_enable_private_segment 0
		.amdhsa_system_sgpr_workgroup_id_x 1
		.amdhsa_system_sgpr_workgroup_id_y 0
		.amdhsa_system_sgpr_workgroup_id_z 0
		.amdhsa_system_sgpr_workgroup_info 0
		.amdhsa_system_vgpr_workitem_id 0
		.amdhsa_next_free_vgpr 23
		.amdhsa_next_free_sgpr 43
		.amdhsa_reserve_vcc 1
		.amdhsa_float_round_mode_32 0
		.amdhsa_float_round_mode_16_64 0
		.amdhsa_float_denorm_mode_32 3
		.amdhsa_float_denorm_mode_16_64 3
		.amdhsa_dx10_clamp 1
		.amdhsa_ieee_mode 1
		.amdhsa_fp16_overflow 0
		.amdhsa_workgroup_processor_mode 1
		.amdhsa_memory_ordered 1
		.amdhsa_forward_progress 0
		.amdhsa_shared_vgpr_count 0
		.amdhsa_exception_fp_ieee_invalid_op 0
		.amdhsa_exception_fp_denorm_src 0
		.amdhsa_exception_fp_ieee_div_zero 0
		.amdhsa_exception_fp_ieee_overflow 0
		.amdhsa_exception_fp_ieee_underflow 0
		.amdhsa_exception_fp_ieee_inexact 0
		.amdhsa_exception_int_div_zero 0
	.end_amdhsa_kernel
	.section	.text._ZN4vllm38concat_and_cache_mla_rope_fused_kernelIN3c108BFloat16ENS1_4HalfELb0EthLNS_18Fp8KVCacheDataTypeE1EEEvPKlPT_S8_PKS7_PKT0_illlliPT3_S6_iiiiPKf,"axG",@progbits,_ZN4vllm38concat_and_cache_mla_rope_fused_kernelIN3c108BFloat16ENS1_4HalfELb0EthLNS_18Fp8KVCacheDataTypeE1EEEvPKlPT_S8_PKS7_PKT0_illlliPT3_S6_iiiiPKf,comdat
.Lfunc_end87:
	.size	_ZN4vllm38concat_and_cache_mla_rope_fused_kernelIN3c108BFloat16ENS1_4HalfELb0EthLNS_18Fp8KVCacheDataTypeE1EEEvPKlPT_S8_PKS7_PKT0_illlliPT3_S6_iiiiPKf, .Lfunc_end87-_ZN4vllm38concat_and_cache_mla_rope_fused_kernelIN3c108BFloat16ENS1_4HalfELb0EthLNS_18Fp8KVCacheDataTypeE1EEEvPKlPT_S8_PKS7_PKT0_illlliPT3_S6_iiiiPKf
                                        ; -- End function
	.section	.AMDGPU.csdata,"",@progbits
; Kernel info:
; codeLenInByte = 5244
; NumSgprs: 45
; NumVgprs: 23
; ScratchSize: 0
; MemoryBound: 0
; FloatMode: 240
; IeeeMode: 1
; LDSByteSize: 0 bytes/workgroup (compile time only)
; SGPRBlocks: 5
; VGPRBlocks: 2
; NumSGPRsForWavesPerEU: 45
; NumVGPRsForWavesPerEU: 23
; Occupancy: 16
; WaveLimiterHint : 1
; COMPUTE_PGM_RSRC2:SCRATCH_EN: 0
; COMPUTE_PGM_RSRC2:USER_SGPR: 15
; COMPUTE_PGM_RSRC2:TRAP_HANDLER: 0
; COMPUTE_PGM_RSRC2:TGID_X_EN: 1
; COMPUTE_PGM_RSRC2:TGID_Y_EN: 0
; COMPUTE_PGM_RSRC2:TGID_Z_EN: 0
; COMPUTE_PGM_RSRC2:TIDIG_COMP_CNT: 0
	.section	.text._ZN4vllm38concat_and_cache_mla_rope_fused_kernelIN3c108BFloat16ES2_Lb1EthLNS_18Fp8KVCacheDataTypeE1EEEvPKlPT_S7_PKS6_PKT0_illlliPT3_S5_iiiiPKf,"axG",@progbits,_ZN4vllm38concat_and_cache_mla_rope_fused_kernelIN3c108BFloat16ES2_Lb1EthLNS_18Fp8KVCacheDataTypeE1EEEvPKlPT_S7_PKS6_PKT0_illlliPT3_S5_iiiiPKf,comdat
	.protected	_ZN4vllm38concat_and_cache_mla_rope_fused_kernelIN3c108BFloat16ES2_Lb1EthLNS_18Fp8KVCacheDataTypeE1EEEvPKlPT_S7_PKS6_PKT0_illlliPT3_S5_iiiiPKf ; -- Begin function _ZN4vllm38concat_and_cache_mla_rope_fused_kernelIN3c108BFloat16ES2_Lb1EthLNS_18Fp8KVCacheDataTypeE1EEEvPKlPT_S7_PKS6_PKT0_illlliPT3_S5_iiiiPKf
	.globl	_ZN4vllm38concat_and_cache_mla_rope_fused_kernelIN3c108BFloat16ES2_Lb1EthLNS_18Fp8KVCacheDataTypeE1EEEvPKlPT_S7_PKS6_PKT0_illlliPT3_S5_iiiiPKf
	.p2align	8
	.type	_ZN4vllm38concat_and_cache_mla_rope_fused_kernelIN3c108BFloat16ES2_Lb1EthLNS_18Fp8KVCacheDataTypeE1EEEvPKlPT_S7_PKS6_PKT0_illlliPT3_S5_iiiiPKf,@function
_ZN4vllm38concat_and_cache_mla_rope_fused_kernelIN3c108BFloat16ES2_Lb1EthLNS_18Fp8KVCacheDataTypeE1EEEvPKlPT_S7_PKS6_PKT0_illlliPT3_S5_iiiiPKf: ; @_ZN4vllm38concat_and_cache_mla_rope_fused_kernelIN3c108BFloat16ES2_Lb1EthLNS_18Fp8KVCacheDataTypeE1EEEvPKlPT_S7_PKS6_PKT0_illlliPT3_S5_iiiiPKf
; %bb.0:
	s_load_b64 s[4:5], s[0:1], 0x60
	s_mov_b32 s16, s15
	s_mov_b32 s17, 0
	s_delay_alu instid0(SALU_CYCLE_1)
	s_lshl_b64 s[2:3], s[16:17], 3
	s_waitcnt lgkmcnt(0)
	s_add_u32 s4, s4, s2
	s_addc_u32 s5, s5, s3
	s_load_b64 s[30:31], s[4:5], 0x0
	s_waitcnt lgkmcnt(0)
	v_cmp_lt_i64_e64 s4, s[30:31], 0
	s_delay_alu instid0(VALU_DEP_1)
	s_and_b32 vcc_lo, exec_lo, s4
	s_cbranch_vccnz .LBB88_67
; %bb.1:
	s_clause 0x2
	s_load_b32 s20, s[0:1], 0x28
	s_load_b64 s[4:5], s[0:1], 0x0
	s_load_b128 s[12:15], s[0:1], 0x10
	s_mov_b32 s23, exec_lo
	s_waitcnt lgkmcnt(0)
	s_ashr_i32 s17, s20, 31
	s_add_u32 s2, s4, s2
	s_addc_u32 s3, s5, s3
	s_load_b64 s[2:3], s[2:3], 0x0
	s_clause 0x3
	s_load_b64 s[26:27], s[0:1], 0x20
	s_load_b32 s21, s[0:1], 0x50
	s_load_b64 s[18:19], s[0:1], 0x58
	s_load_b256 s[4:11], s[0:1], 0x30
	s_waitcnt lgkmcnt(0)
	s_mul_i32 s17, s2, s17
	s_mul_hi_u32 s22, s2, s20
	s_mul_i32 s3, s3, s20
	s_add_i32 s17, s22, s17
	s_mul_i32 s2, s2, s20
	s_add_i32 s3, s17, s3
	s_delay_alu instid0(SALU_CYCLE_1) | instskip(NEXT) | instid1(SALU_CYCLE_1)
	s_lshl_b64 s[28:29], s[2:3], 1
	s_add_u32 s17, s26, s28
	s_addc_u32 s33, s27, s29
	s_lshr_b32 s2, s20, 31
	s_delay_alu instid0(SALU_CYCLE_1) | instskip(NEXT) | instid1(SALU_CYCLE_1)
	s_add_i32 s20, s20, s2
	s_ashr_i32 s20, s20, 1
	s_delay_alu instid0(SALU_CYCLE_1) | instskip(NEXT) | instid1(SALU_CYCLE_1)
	s_mul_i32 s22, s20, s21
	v_cmpx_gt_i32_e64 s22, v0
	s_cbranch_execz .LBB88_4
; %bb.2:
	s_clause 0x1
	s_load_b64 s[2:3], s[0:1], 0x8
	s_load_b32 s35, s[0:1], 0x8c
	s_mul_i32 s5, s16, s5
	s_mul_hi_u32 s21, s16, s4
	s_mul_i32 s4, s16, s4
	s_add_i32 s5, s21, s5
	s_ashr_i32 s21, s20, 31
	s_lshl_b64 s[4:5], s[4:5], 1
	s_mov_b32 s36, 0
	s_waitcnt lgkmcnt(0)
	s_add_u32 s24, s2, s4
	s_addc_u32 s25, s3, s5
	s_abs_i32 s34, s20
	s_and_b32 s35, s35, 0xffff
	v_cvt_f32_u32_e32 v1, s34
	s_sub_i32 s2, 0, s34
	s_sub_i32 s37, 0, s20
	s_lshl_b64 s[4:5], s[20:21], 1
	s_delay_alu instid0(VALU_DEP_1) | instskip(SKIP_2) | instid1(VALU_DEP_1)
	v_rcp_iflag_f32_e32 v1, v1
	s_waitcnt_depctr 0xfff
	v_mul_f32_e32 v1, 0x4f7ffffe, v1
	v_cvt_u32_f32_e32 v1, v1
	s_delay_alu instid0(VALU_DEP_1) | instskip(NEXT) | instid1(VALU_DEP_1)
	v_mul_lo_u32 v2, s2, v1
	v_mul_hi_u32 v2, v1, v2
	s_delay_alu instid0(VALU_DEP_1)
	v_dual_mov_b32 v1, v0 :: v_dual_add_nc_u32 v2, v1, v2
.LBB88_3:                               ; =>This Inner Loop Header: Depth=1
	s_delay_alu instid0(VALU_DEP_1) | instskip(SKIP_1) | instid1(VALU_DEP_2)
	v_sub_nc_u32_e32 v3, 0, v1
	v_ashrrev_i32_e32 v4, 31, v1
	v_max_i32_e32 v3, v1, v3
	s_delay_alu instid0(VALU_DEP_2) | instskip(NEXT) | instid1(VALU_DEP_2)
	v_xor_b32_e32 v4, s21, v4
	v_mul_hi_u32 v5, v3, v2
	s_delay_alu instid0(VALU_DEP_1) | instskip(SKIP_1) | instid1(VALU_DEP_2)
	v_mul_lo_u32 v6, v5, s34
	v_add_nc_u32_e32 v7, 1, v5
	v_sub_nc_u32_e32 v3, v3, v6
	s_delay_alu instid0(VALU_DEP_1) | instskip(SKIP_1) | instid1(VALU_DEP_4)
	v_subrev_nc_u32_e32 v6, s34, v3
	v_cmp_le_u32_e32 vcc_lo, s34, v3
	v_cndmask_b32_e32 v5, v5, v7, vcc_lo
	s_delay_alu instid0(VALU_DEP_1) | instskip(NEXT) | instid1(VALU_DEP_1)
	v_dual_cndmask_b32 v3, v3, v6 :: v_dual_add_nc_u32 v6, 1, v5
	v_cmp_le_u32_e32 vcc_lo, s34, v3
	s_delay_alu instid0(VALU_DEP_2) | instskip(NEXT) | instid1(VALU_DEP_1)
	v_cndmask_b32_e32 v3, v5, v6, vcc_lo
	v_xor_b32_e32 v3, v3, v4
	s_delay_alu instid0(VALU_DEP_1) | instskip(NEXT) | instid1(VALU_DEP_1)
	v_sub_nc_u32_e32 v7, v3, v4
	v_mad_u64_u32 v[3:4], null, s37, v7, v[1:2]
	v_ashrrev_i32_e32 v8, 31, v7
	v_mul_lo_u32 v9, v7, s7
	v_mad_u64_u32 v[5:6], null, v7, s6, 0
	v_add_nc_u32_e32 v1, s35, v1
	s_delay_alu instid0(VALU_DEP_4) | instskip(SKIP_1) | instid1(VALU_DEP_1)
	v_mul_lo_u32 v7, v8, s6
	v_ashrrev_i32_e32 v4, 31, v3
	v_lshlrev_b64 v[3:4], 1, v[3:4]
	s_delay_alu instid0(VALU_DEP_3) | instskip(NEXT) | instid1(VALU_DEP_2)
	v_add3_u32 v6, v6, v9, v7
	v_add_co_u32 v7, vcc_lo, s17, v3
	s_delay_alu instid0(VALU_DEP_2) | instskip(NEXT) | instid1(VALU_DEP_4)
	v_lshlrev_b64 v[5:6], 1, v[5:6]
	v_add_co_ci_u32_e32 v8, vcc_lo, s33, v4, vcc_lo
	s_delay_alu instid0(VALU_DEP_3) | instskip(NEXT) | instid1(VALU_DEP_2)
	v_add_co_u32 v9, vcc_lo, v7, s4
	v_add_co_ci_u32_e32 v10, vcc_lo, s5, v8, vcc_lo
	s_delay_alu instid0(VALU_DEP_4)
	v_add_co_u32 v5, vcc_lo, s24, v5
	v_add_co_ci_u32_e32 v6, vcc_lo, s25, v6, vcc_lo
	global_load_u16 v7, v[7:8], off
	v_add_co_u32 v3, vcc_lo, v5, v3
	v_add_co_ci_u32_e32 v4, vcc_lo, v6, v4, vcc_lo
	global_load_u16 v8, v[9:10], off
	v_add_co_u32 v5, vcc_lo, v3, s4
	v_add_co_ci_u32_e32 v6, vcc_lo, s5, v4, vcc_lo
	s_clause 0x1
	global_load_u16 v9, v[3:4], off
	global_load_u16 v10, v[5:6], off
	s_waitcnt vmcnt(3)
	v_lshlrev_b32_e32 v7, 16, v7
	s_waitcnt vmcnt(2)
	v_lshlrev_b32_e32 v8, 16, v8
	;; [unrolled: 2-line block ×3, first 2 shown]
	s_waitcnt vmcnt(0)
	s_delay_alu instid0(VALU_DEP_1) | instskip(SKIP_1) | instid1(VALU_DEP_2)
	v_dual_mul_f32 v11, v7, v9 :: v_dual_lshlrev_b32 v10, 16, v10
	v_mul_f32_e32 v9, v8, v9
	v_mul_f32_e32 v8, v8, v10
	;; [unrolled: 1-line block ×3, first 2 shown]
	s_delay_alu instid0(VALU_DEP_4) | instskip(NEXT) | instid1(VALU_DEP_4)
	v_bfe_u32 v12, v11, 16, 1
	v_bfe_u32 v10, v9, 16, 1
	s_delay_alu instid0(VALU_DEP_4) | instskip(NEXT) | instid1(VALU_DEP_4)
	v_bfe_u32 v13, v8, 16, 1
	v_bfe_u32 v14, v7, 16, 1
	v_cmp_o_f32_e64 s2, v11, v11
	v_add3_u32 v12, v11, v12, 0x7fff
	v_add3_u32 v10, v9, v10, 0x7fff
	;; [unrolled: 1-line block ×4, first 2 shown]
	s_delay_alu instid0(VALU_DEP_4) | instskip(NEXT) | instid1(VALU_DEP_4)
	v_and_b32_e32 v12, 0xffff0000, v12
	v_and_b32_e32 v10, 0xffff0000, v10
	v_cmp_o_f32_e32 vcc_lo, v9, v9
	v_and_b32_e32 v9, 0xffff0000, v13
	s_delay_alu instid0(VALU_DEP_4) | instskip(SKIP_3) | instid1(VALU_DEP_3)
	v_cndmask_b32_e64 v11, 0x7fc00000, v12, s2
	v_cmp_o_f32_e64 s2, v8, v8
	v_cndmask_b32_e32 v10, 0x7fc00000, v10, vcc_lo
	v_cmp_o_f32_e32 vcc_lo, v7, v7
	v_cndmask_b32_e64 v7, 0x7fc00000, v9, s2
	s_delay_alu instid0(VALU_DEP_1) | instskip(NEXT) | instid1(VALU_DEP_1)
	v_dual_sub_f32 v7, v11, v7 :: v_dual_and_b32 v12, 0xffff0000, v14
	v_cndmask_b32_e32 v8, 0x7fc00000, v12, vcc_lo
	v_cmp_le_i32_e32 vcc_lo, s22, v1
	s_delay_alu instid0(VALU_DEP_3) | instskip(NEXT) | instid1(VALU_DEP_3)
	v_bfe_u32 v9, v7, 16, 1
	v_add_f32_e32 v8, v10, v8
	v_cmp_o_f32_e64 s3, v7, v7
	s_or_b32 s36, vcc_lo, s36
	s_delay_alu instid0(VALU_DEP_3) | instskip(NEXT) | instid1(VALU_DEP_3)
	v_add3_u32 v9, v7, v9, 0x7fff
	v_bfe_u32 v10, v8, 16, 1
	v_cmp_o_f32_e64 s2, v8, v8
	s_delay_alu instid0(VALU_DEP_3) | instskip(NEXT) | instid1(VALU_DEP_3)
	v_lshrrev_b32_e32 v9, 16, v9
	v_add3_u32 v10, v8, v10, 0x7fff
	s_delay_alu instid0(VALU_DEP_2) | instskip(NEXT) | instid1(VALU_DEP_2)
	v_cndmask_b32_e64 v7, 0x7fc0, v9, s3
	v_lshrrev_b32_e32 v10, 16, v10
	s_delay_alu instid0(VALU_DEP_1)
	v_cndmask_b32_e64 v8, 0x7fc0, v10, s2
	s_clause 0x1
	global_store_b16 v[3:4], v7, off
	global_store_b16 v[5:6], v8, off
	s_and_not1_b32 exec_lo, exec_lo, s36
	s_cbranch_execnz .LBB88_3
.LBB88_4:
	s_or_b32 exec_lo, exec_lo, s23
	s_load_b128 s[4:7], s[0:1], 0x68
	s_waitcnt lgkmcnt(0)
	s_ashr_i32 s3, s7, 31
	s_mov_b32 s2, s7
	s_delay_alu instid0(SALU_CYCLE_1) | instskip(SKIP_1) | instid1(SALU_CYCLE_1)
	s_or_b64 s[24:25], s[30:31], s[2:3]
	s_mov_b32 s24, 0
	s_cmp_lg_u64 s[24:25], 0
	s_cbranch_scc0 .LBB88_68
; %bb.5:
	s_add_u32 s34, s2, s3
	s_mov_b32 s22, s3
	s_mov_b32 s23, s3
	s_addc_u32 s35, s3, s3
	s_delay_alu instid0(SALU_CYCLE_1) | instskip(NEXT) | instid1(SALU_CYCLE_1)
	s_xor_b64 s[34:35], s[34:35], s[22:23]
	v_cvt_f32_u32_e32 v1, s34
	v_cvt_f32_u32_e32 v2, s35
	s_sub_u32 s25, 0, s34
	s_subb_u32 s36, 0, s35
	s_delay_alu instid0(VALU_DEP_1) | instskip(NEXT) | instid1(VALU_DEP_1)
	v_fmamk_f32 v1, v2, 0x4f800000, v1
	v_rcp_f32_e32 v1, v1
	s_waitcnt_depctr 0xfff
	v_mul_f32_e32 v1, 0x5f7ffffc, v1
	s_delay_alu instid0(VALU_DEP_1) | instskip(NEXT) | instid1(VALU_DEP_1)
	v_mul_f32_e32 v2, 0x2f800000, v1
	v_trunc_f32_e32 v2, v2
	s_delay_alu instid0(VALU_DEP_1) | instskip(SKIP_1) | instid1(VALU_DEP_2)
	v_fmamk_f32 v1, v2, 0xcf800000, v1
	v_cvt_u32_f32_e32 v2, v2
	v_cvt_u32_f32_e32 v1, v1
	s_delay_alu instid0(VALU_DEP_2) | instskip(NEXT) | instid1(VALU_DEP_2)
	v_readfirstlane_b32 s7, v2
	v_readfirstlane_b32 s21, v1
	s_delay_alu instid0(VALU_DEP_2) | instskip(NEXT) | instid1(VALU_DEP_1)
	s_mul_i32 s37, s25, s7
	s_mul_hi_u32 s39, s25, s21
	s_mul_i32 s38, s36, s21
	s_add_i32 s37, s39, s37
	s_mul_i32 s40, s25, s21
	s_add_i32 s37, s37, s38
	s_mul_hi_u32 s39, s21, s40
	s_mul_hi_u32 s41, s7, s40
	s_mul_i32 s38, s7, s40
	s_mul_hi_u32 s40, s21, s37
	s_mul_i32 s21, s21, s37
	s_mul_hi_u32 s42, s7, s37
	s_add_u32 s21, s39, s21
	s_addc_u32 s39, 0, s40
	s_add_u32 s21, s21, s38
	s_mul_i32 s37, s7, s37
	s_addc_u32 s21, s39, s41
	s_addc_u32 s38, s42, 0
	s_add_u32 s21, s21, s37
	s_addc_u32 s37, 0, s38
	v_add_co_u32 v1, s21, v1, s21
	s_delay_alu instid0(VALU_DEP_1) | instskip(SKIP_1) | instid1(VALU_DEP_1)
	s_cmp_lg_u32 s21, 0
	s_addc_u32 s7, s7, s37
	v_readfirstlane_b32 s21, v1
	s_mul_i32 s37, s25, s7
	s_delay_alu instid0(VALU_DEP_1)
	s_mul_hi_u32 s38, s25, s21
	s_mul_i32 s36, s36, s21
	s_add_i32 s37, s38, s37
	s_mul_i32 s25, s25, s21
	s_add_i32 s37, s37, s36
	s_mul_hi_u32 s38, s7, s25
	s_mul_i32 s39, s7, s25
	s_mul_hi_u32 s25, s21, s25
	s_mul_hi_u32 s40, s21, s37
	s_mul_i32 s21, s21, s37
	s_mul_hi_u32 s36, s7, s37
	s_add_u32 s21, s25, s21
	s_addc_u32 s25, 0, s40
	s_add_u32 s21, s21, s39
	s_mul_i32 s37, s7, s37
	s_addc_u32 s21, s25, s38
	s_addc_u32 s25, s36, 0
	s_add_u32 s21, s21, s37
	s_addc_u32 s25, 0, s25
	v_add_co_u32 v1, s21, v1, s21
	s_delay_alu instid0(VALU_DEP_1) | instskip(SKIP_2) | instid1(VALU_DEP_1)
	s_cmp_lg_u32 s21, 0
	s_addc_u32 s7, s7, s25
	s_ashr_i32 s36, s31, 31
	v_readfirstlane_b32 s21, v1
	s_add_u32 s38, s30, s36
	s_mov_b32 s37, s36
	s_addc_u32 s39, s31, s36
	s_delay_alu instid0(SALU_CYCLE_1) | instskip(NEXT) | instid1(SALU_CYCLE_1)
	s_xor_b64 s[38:39], s[38:39], s[36:37]
	s_mul_i32 s40, s38, s7
	s_mul_hi_u32 s41, s38, s21
	s_mul_hi_u32 s25, s38, s7
	;; [unrolled: 1-line block ×3, first 2 shown]
	s_mul_i32 s21, s39, s21
	s_add_u32 s40, s41, s40
	s_addc_u32 s25, 0, s25
	s_mul_hi_u32 s42, s39, s7
	s_add_u32 s21, s40, s21
	s_mul_i32 s7, s39, s7
	s_addc_u32 s21, s25, s43
	s_addc_u32 s25, s42, 0
	s_add_u32 s7, s21, s7
	s_addc_u32 s21, 0, s25
	s_mul_i32 s42, s34, s7
	s_mul_hi_u32 s25, s34, s7
	s_mul_i32 s41, s34, s21
	v_sub_co_u32 v1, s38, s38, s42
	s_mul_i32 s40, s35, s7
	s_add_i32 s25, s25, s41
	s_delay_alu instid0(SALU_CYCLE_1) | instskip(NEXT) | instid1(VALU_DEP_1)
	s_add_i32 s25, s25, s40
	v_sub_co_u32 v2, s41, v1, s34
	s_sub_i32 s40, s39, s25
	s_cmp_lg_u32 s38, 0
	s_subb_u32 s40, s40, s35
	s_cmp_lg_u32 s41, 0
	v_readfirstlane_b32 s41, v2
	s_subb_u32 s40, s40, 0
	s_delay_alu instid0(SALU_CYCLE_1) | instskip(SKIP_1) | instid1(VALU_DEP_1)
	s_cmp_ge_u32 s40, s35
	s_cselect_b32 s42, -1, 0
	s_cmp_ge_u32 s41, s34
	s_cselect_b32 s41, -1, 0
	s_cmp_eq_u32 s40, s35
	s_cselect_b32 s40, s41, s42
	s_add_u32 s41, s7, 1
	s_addc_u32 s42, s21, 0
	s_add_u32 s43, s7, 2
	s_addc_u32 s44, s21, 0
	s_cmp_lg_u32 s40, 0
	s_cselect_b32 s40, s43, s41
	s_cselect_b32 s41, s44, s42
	s_cmp_lg_u32 s38, 0
	v_readfirstlane_b32 s38, v1
	s_subb_u32 s25, s39, s25
	s_delay_alu instid0(SALU_CYCLE_1) | instskip(SKIP_1) | instid1(VALU_DEP_1)
	s_cmp_ge_u32 s25, s35
	s_cselect_b32 s39, -1, 0
	s_cmp_ge_u32 s38, s34
	s_cselect_b32 s34, -1, 0
	s_cmp_eq_u32 s25, s35
	s_cselect_b32 s25, s34, s39
	s_delay_alu instid0(SALU_CYCLE_1) | instskip(SKIP_3) | instid1(SALU_CYCLE_1)
	s_cmp_lg_u32 s25, 0
	s_cselect_b32 s35, s41, s21
	s_cselect_b32 s34, s40, s7
	s_xor_b64 s[22:23], s[36:37], s[22:23]
	s_xor_b64 s[34:35], s[34:35], s[22:23]
	s_delay_alu instid0(SALU_CYCLE_1)
	s_sub_u32 s22, s34, s22
	s_subb_u32 s23, s35, s23
	s_and_not1_b32 vcc_lo, exec_lo, s24
	s_cbranch_vccnz .LBB88_7
.LBB88_6:
	v_cvt_f32_u32_e32 v1, s2
	s_sub_i32 s21, 0, s2
	s_delay_alu instid0(VALU_DEP_1) | instskip(SKIP_2) | instid1(VALU_DEP_1)
	v_rcp_iflag_f32_e32 v1, v1
	s_waitcnt_depctr 0xfff
	v_mul_f32_e32 v1, 0x4f7ffffe, v1
	v_cvt_u32_f32_e32 v1, v1
	s_delay_alu instid0(VALU_DEP_1) | instskip(NEXT) | instid1(VALU_DEP_1)
	v_readfirstlane_b32 s7, v1
	s_mul_i32 s21, s21, s7
	s_delay_alu instid0(SALU_CYCLE_1) | instskip(NEXT) | instid1(SALU_CYCLE_1)
	s_mul_hi_u32 s21, s7, s21
	s_add_i32 s7, s7, s21
	s_delay_alu instid0(SALU_CYCLE_1) | instskip(NEXT) | instid1(SALU_CYCLE_1)
	s_mul_hi_u32 s7, s30, s7
	s_mul_i32 s21, s7, s2
	s_add_i32 s22, s7, 1
	s_sub_i32 s21, s30, s21
	s_delay_alu instid0(SALU_CYCLE_1)
	s_sub_i32 s23, s21, s2
	s_cmp_ge_u32 s21, s2
	s_cselect_b32 s7, s22, s7
	s_cselect_b32 s21, s23, s21
	s_add_i32 s22, s7, 1
	s_cmp_ge_u32 s21, s2
	s_mov_b32 s23, 0
	s_cselect_b32 s22, s22, s7
.LBB88_7:
	s_load_b64 s[24:25], s[0:1], 0x78
	s_mul_i32 s3, s22, s3
	s_mul_hi_u32 s7, s22, s2
	s_mul_i32 s34, s23, s4
	s_add_i32 s3, s7, s3
	s_mul_i32 s7, s23, s2
	s_mul_i32 s2, s22, s2
	s_add_i32 s7, s3, s7
	s_sub_u32 s3, s30, s2
	s_subb_u32 s7, s31, s7
	s_mul_hi_u32 s31, s22, s4
	s_mul_i32 s35, s22, s4
	s_mul_hi_u32 s30, s3, s5
	s_mul_i32 s7, s7, s5
	s_mul_i32 s23, s3, s5
	s_mov_b32 s36, exec_lo
	v_cmpx_gt_i32_e64 s20, v0
	s_cbranch_execz .LBB88_46
; %bb.8:
	s_load_b32 s2, s[0:1], 0x8c
	s_mul_i32 s9, s16, s9
	s_mul_hi_u32 s37, s16, s8
	s_mul_i32 s38, s16, s8
	s_add_i32 s39, s37, s9
	s_ashr_i32 s21, s20, 31
	s_lshl_b64 s[40:41], s[38:39], 1
	s_waitcnt lgkmcnt(0)
	s_load_b32 s8, s[24:25], 0x0
	s_add_u32 s9, s12, s40
	s_addc_u32 s37, s13, s41
	s_ashr_i32 s38, s4, 31
	s_ashr_i32 s39, s5, 31
	s_mul_i32 s38, s22, s38
	s_mul_i32 s39, s3, s39
	s_add_i32 s38, s31, s38
	s_add_i32 s39, s30, s39
	;; [unrolled: 1-line block ×3, first 2 shown]
	s_lshl_b64 s[42:43], s[20:21], 1
	s_ashr_i32 s44, s6, 31
	s_add_i32 s46, s39, s7
	s_and_b32 s38, s2, 0xffff
	v_dual_mov_b32 v2, 0 :: v_dual_lshlrev_b32 v9, 1, v0
	s_lshl_b32 s39, s38, 1
	s_add_u32 s2, s28, s42
	s_addc_u32 s28, s29, s43
	s_add_u32 s26, s26, s2
	s_addc_u32 s27, s27, s28
	;; [unrolled: 2-line block ×7, first 2 shown]
	v_add_co_u32 v3, s2, s2, v0
	s_delay_alu instid0(VALU_DEP_1)
	v_add_co_ci_u32_e64 v4, null, s28, 0, s2
	v_mov_b32_e32 v10, v0
	s_mov_b32 s28, 0
	s_branch .LBB88_10
.LBB88_9:                               ;   in Loop: Header=BB88_10 Depth=1
	s_or_b32 exec_lo, exec_lo, s2
	v_add_nc_u32_e32 v10, s38, v10
	v_add_co_u32 v5, vcc_lo, v3, s20
	s_add_u32 s17, s17, s39
	s_addc_u32 s33, s33, 0
	v_add_co_ci_u32_e32 v6, vcc_lo, s21, v4, vcc_lo
	s_add_u32 s26, s26, s39
	s_addc_u32 s27, s27, 0
	v_cmp_le_i32_e32 vcc_lo, s20, v10
	v_add_co_u32 v3, s2, v3, s38
	s_add_u32 s12, s12, s39
	s_addc_u32 s13, s13, 0
	v_add_co_ci_u32_e64 v4, s2, 0, v4, s2
	s_add_u32 s9, s9, s39
	s_addc_u32 s37, s37, 0
	s_or_b32 s28, vcc_lo, s28
	global_store_b8 v[5:6], v7, off
	s_and_not1_b32 exec_lo, exec_lo, s28
	s_cbranch_execz .LBB88_46
.LBB88_10:                              ; =>This Inner Loop Header: Depth=1
	v_add_co_u32 v5, s2, s17, v9
	s_delay_alu instid0(VALU_DEP_1) | instskip(SKIP_1) | instid1(VALU_DEP_1)
	v_add_co_ci_u32_e64 v6, null, s33, 0, s2
	v_add_co_u32 v13, s2, s9, v9
	v_add_co_ci_u32_e64 v14, null, s37, 0, s2
	v_add_co_u32 v15, s2, s12, v9
	s_delay_alu instid0(VALU_DEP_1) | instskip(SKIP_1) | instid1(VALU_DEP_1)
	v_add_co_ci_u32_e64 v16, null, s13, 0, s2
	v_add_co_u32 v7, s2, s26, v9
	v_add_co_ci_u32_e64 v8, null, s27, 0, s2
	global_load_u16 v1, v[13:14], off
	global_load_u16 v5, v[5:6], off
	;; [unrolled: 1-line block ×4, first 2 shown]
	s_waitcnt vmcnt(3)
	v_lshlrev_b32_e32 v1, 16, v1
	s_waitcnt vmcnt(2)
	v_lshlrev_b32_e32 v5, 16, v5
	;; [unrolled: 2-line block ×3, first 2 shown]
	s_waitcnt vmcnt(0)
	s_delay_alu instid0(VALU_DEP_2) | instskip(NEXT) | instid1(VALU_DEP_1)
	v_dual_mul_f32 v8, v5, v1 :: v_dual_lshlrev_b32 v7, 16, v7
	v_bfe_u32 v12, v8, 16, 1
	v_cmp_o_f32_e32 vcc_lo, v8, v8
	s_delay_alu instid0(VALU_DEP_2) | instskip(NEXT) | instid1(VALU_DEP_1)
	v_add3_u32 v12, v8, v12, 0x7fff
	v_dual_mul_f32 v11, v7, v6 :: v_dual_and_b32 v12, 0xffff0000, v12
	s_delay_alu instid0(VALU_DEP_1) | instskip(NEXT) | instid1(VALU_DEP_2)
	v_bfe_u32 v17, v11, 16, 1
	v_cndmask_b32_e32 v8, 0x7fc00000, v12, vcc_lo
	s_delay_alu instid0(VALU_DEP_2) | instskip(SKIP_2) | instid1(VALU_DEP_3)
	v_add3_u32 v17, v11, v17, 0x7fff
	v_cmp_o_f32_e32 vcc_lo, v11, v11
	v_mul_f32_e32 v1, v7, v1
	v_and_b32_e32 v17, 0xffff0000, v17
	s_delay_alu instid0(VALU_DEP_2) | instskip(NEXT) | instid1(VALU_DEP_2)
	v_bfe_u32 v19, v1, 16, 1
	v_cndmask_b32_e32 v11, 0x7fc00000, v17, vcc_lo
	s_delay_alu instid0(VALU_DEP_2) | instskip(NEXT) | instid1(VALU_DEP_2)
	v_add3_u32 v19, v1, v19, 0x7fff
	v_sub_f32_e32 v8, v8, v11
	s_delay_alu instid0(VALU_DEP_2) | instskip(NEXT) | instid1(VALU_DEP_2)
	v_and_b32_e32 v19, 0xffff0000, v19
	v_bfe_u32 v11, v8, 16, 1
	v_cmp_o_f32_e32 vcc_lo, v8, v8
	s_delay_alu instid0(VALU_DEP_2) | instskip(NEXT) | instid1(VALU_DEP_1)
	v_add3_u32 v11, v8, v11, 0x7fff
	v_lshrrev_b32_e32 v11, 16, v11
	s_delay_alu instid0(VALU_DEP_1) | instskip(NEXT) | instid1(VALU_DEP_1)
	v_cndmask_b32_e32 v8, 0x7fc0, v11, vcc_lo
	v_cvt_f32_f16_e32 v11, v8
	s_waitcnt lgkmcnt(0)
	s_delay_alu instid0(VALU_DEP_1) | instskip(NEXT) | instid1(VALU_DEP_1)
	v_div_scale_f32 v12, null, s8, s8, v11
	v_rcp_f32_e32 v17, v12
	s_waitcnt_depctr 0xfff
	v_fma_f32 v18, -v12, v17, 1.0
	s_delay_alu instid0(VALU_DEP_1) | instskip(SKIP_1) | instid1(VALU_DEP_1)
	v_fmac_f32_e32 v17, v18, v17
	v_div_scale_f32 v18, vcc_lo, v11, s8, v11
	v_dual_mul_f32 v5, v5, v6 :: v_dual_mul_f32 v6, v18, v17
	s_delay_alu instid0(VALU_DEP_1) | instskip(SKIP_1) | instid1(VALU_DEP_3)
	v_bfe_u32 v7, v5, 16, 1
	v_cmp_o_f32_e64 s2, v5, v5
	v_fma_f32 v20, -v12, v6, v18
	s_delay_alu instid0(VALU_DEP_3) | instskip(NEXT) | instid1(VALU_DEP_1)
	v_add3_u32 v7, v5, v7, 0x7fff
	v_dual_fmac_f32 v6, v20, v17 :: v_dual_and_b32 v7, 0xffff0000, v7
	s_delay_alu instid0(VALU_DEP_1) | instskip(SKIP_1) | instid1(VALU_DEP_3)
	v_fma_f32 v12, -v12, v6, v18
	v_mov_b32_e32 v18, v2
	v_cndmask_b32_e64 v5, 0x7fc00000, v7, s2
	s_mov_b32 s2, exec_lo
	s_delay_alu instid0(VALU_DEP_3) | instskip(SKIP_1) | instid1(VALU_DEP_2)
	v_div_fmas_f32 v6, v12, v17, v6
	v_cmp_o_f32_e32 vcc_lo, v1, v1
	v_div_fixup_f32 v6, v6, s8, v11
	v_cndmask_b32_e32 v1, 0x7fc00000, v19, vcc_lo
	s_delay_alu instid0(VALU_DEP_1) | instskip(NEXT) | instid1(VALU_DEP_3)
	v_add_f32_e32 v1, v1, v5
	v_cvt_f16_f32_e32 v5, v6
	s_delay_alu instid0(VALU_DEP_2) | instskip(NEXT) | instid1(VALU_DEP_2)
	v_bfe_u32 v6, v1, 16, 1
	v_cvt_f32_f16_e32 v5, v5
	v_cmp_o_f32_e32 vcc_lo, v1, v1
	s_delay_alu instid0(VALU_DEP_3) | instskip(NEXT) | instid1(VALU_DEP_3)
	v_add3_u32 v6, v1, v6, 0x7fff
	v_lshrrev_b32_e32 v7, 24, v5
	v_and_b32_e32 v17, 0x7f800000, v5
	v_and_b32_e32 v1, 0x7fffff, v5
	s_delay_alu instid0(VALU_DEP_4) | instskip(NEXT) | instid1(VALU_DEP_4)
	v_lshrrev_b32_e32 v6, 16, v6
	v_and_b32_e32 v12, 0x80, v7
	s_delay_alu instid0(VALU_DEP_2) | instskip(NEXT) | instid1(VALU_DEP_2)
	v_cndmask_b32_e32 v11, 0x7fc0, v6, vcc_lo
	v_or_b32_e32 v6, 0x7e, v12
	global_store_b16 v[13:14], v8, off
	global_store_b16 v[15:16], v11, off
	v_cmpx_ne_u64_e32 0x7f800000, v[17:18]
	s_xor_b32 s29, exec_lo, s2
	s_cbranch_execz .LBB88_26
; %bb.11:                               ;   in Loop: Header=BB88_10 Depth=1
	v_dual_mov_b32 v8, v2 :: v_dual_and_b32 v7, 0x7fffffff, v5
	s_mov_b32 s2, exec_lo
	s_delay_alu instid0(VALU_DEP_1)
	v_cmpx_gt_u64_e32 0x43e00001, v[7:8]
	s_xor_b32 s40, exec_lo, s2
	s_cbranch_execz .LBB88_25
; %bb.12:                               ;   in Loop: Header=BB88_10 Depth=1
	v_mov_b32_e32 v6, 0
	s_mov_b32 s41, exec_lo
	v_cmpx_ne_u32_e32 0, v5
	s_cbranch_execz .LBB88_24
; %bb.13:                               ;   in Loop: Header=BB88_10 Depth=1
	v_bfe_u32 v13, v5, 23, 8
	v_or_b32_e32 v7, 0x800000, v1
	s_delay_alu instid0(VALU_DEP_2) | instskip(SKIP_1) | instid1(VALU_DEP_2)
	v_sub_nc_u32_e32 v5, 0x79, v13
	v_cmp_gt_u32_e32 vcc_lo, 0x7a, v13
	v_cndmask_b32_e32 v5, 0, v5, vcc_lo
	v_cmp_eq_u32_e32 vcc_lo, 0, v13
	s_delay_alu instid0(VALU_DEP_2) | instskip(SKIP_1) | instid1(VALU_DEP_2)
	v_cndmask_b32_e64 v14, v5, 0x78, vcc_lo
	v_cndmask_b32_e32 v1, v7, v1, vcc_lo
	v_add_nc_u32_e32 v5, 20, v14
	v_add_nc_u32_e32 v7, 19, v14
	s_delay_alu instid0(VALU_DEP_2) | instskip(NEXT) | instid1(VALU_DEP_2)
	v_lshlrev_b64 v[5:6], v5, -1
	v_lshlrev_b64 v[7:8], v7, 1
	s_delay_alu instid0(VALU_DEP_2) | instskip(NEXT) | instid1(VALU_DEP_3)
	v_not_b32_e32 v6, v6
	v_not_b32_e32 v5, v5
	s_delay_alu instid0(VALU_DEP_2) | instskip(NEXT) | instid1(VALU_DEP_2)
	v_and_b32_e32 v16, 0, v6
	v_and_b32_e32 v15, v1, v5
	v_lshrrev_b64 v[5:6], v14, v[1:2]
	s_delay_alu instid0(VALU_DEP_2) | instskip(NEXT) | instid1(VALU_DEP_2)
	v_cmp_eq_u64_e64 s2, v[15:16], v[7:8]
	v_dual_mov_b32 v8, v6 :: v_dual_mov_b32 v7, v5
	s_delay_alu instid0(VALU_DEP_2)
	s_and_saveexec_b32 s42, s2
; %bb.14:                               ;   in Loop: Header=BB88_10 Depth=1
	v_bfe_u32 v1, v5, 20, 1
	s_delay_alu instid0(VALU_DEP_1) | instskip(NEXT) | instid1(VALU_DEP_1)
	v_add_co_u32 v1, s2, v5, v1
	v_add_co_u32 v7, s2, v1, -1
; %bb.15:                               ;   in Loop: Header=BB88_10 Depth=1
	s_or_b32 exec_lo, exec_lo, s42
	v_add_nc_u32_e32 v1, 0xffffff81, v13
	v_lshrrev_b32_e32 v8, 23, v5
	s_mov_b32 s2, exec_lo
	s_delay_alu instid0(VALU_DEP_2) | instskip(NEXT) | instid1(VALU_DEP_1)
	v_cndmask_b32_e64 v1, v1, 0xffffff82, vcc_lo
	v_add3_u32 v8, v14, v1, v8
	v_and_b32_e32 v1, 0xfffff, v7
	s_delay_alu instid0(VALU_DEP_2) | instskip(NEXT) | instid1(VALU_DEP_2)
	v_add_nc_u32_e32 v7, 6, v8
	v_add_co_u32 v5, vcc_lo, v1, v5
	v_add_co_ci_u32_e32 v6, vcc_lo, 0, v6, vcc_lo
                                        ; implicit-def: $vgpr1
	s_delay_alu instid0(VALU_DEP_3)
	v_cmpx_ne_u32_e32 0, v7
	s_xor_b32 s2, exec_lo, s2
; %bb.16:                               ;   in Loop: Header=BB88_10 Depth=1
	s_delay_alu instid0(VALU_DEP_2) | instskip(SKIP_1) | instid1(VALU_DEP_1)
	v_cmp_lt_u64_e32 vcc_lo, 0xffffff, v[5:6]
	v_add_nc_u32_e32 v1, 7, v8
	v_cndmask_b32_e32 v1, v7, v1, vcc_lo
	v_cndmask_b32_e64 v7, 0, 1, vcc_lo
	s_delay_alu instid0(VALU_DEP_1)
	v_lshrrev_b64 v[5:6], v7, v[5:6]
; %bb.17:                               ;   in Loop: Header=BB88_10 Depth=1
	s_and_not1_saveexec_b32 s2, s2
; %bb.18:                               ;   in Loop: Header=BB88_10 Depth=1
	s_delay_alu instid0(VALU_DEP_1)
	v_bfe_u32 v1, v5, 23, 1
; %bb.19:                               ;   in Loop: Header=BB88_10 Depth=1
	s_or_b32 exec_lo, exec_lo, s2
	s_delay_alu instid0(VALU_DEP_2) | instskip(NEXT) | instid1(VALU_DEP_2)
	v_lshrrev_b64 v[5:6], 20, v[5:6]
	v_cmp_gt_i32_e32 vcc_lo, 16, v1
	v_cmp_ne_u32_e64 s2, 0, v1
	s_delay_alu instid0(VALU_DEP_3) | instskip(NEXT) | instid1(VALU_DEP_1)
	v_dual_cndmask_b32 v6, 0, v6 :: v_dual_cndmask_b32 v5, 7, v5
	v_cmp_ne_u64_e32 vcc_lo, 0, v[5:6]
                                        ; implicit-def: $vgpr6
	s_delay_alu instid0(VALU_DEP_3) | instskip(NEXT) | instid1(SALU_CYCLE_1)
	s_or_b32 s2, s2, vcc_lo
	s_and_saveexec_b32 s42, s2
	s_delay_alu instid0(SALU_CYCLE_1)
	s_xor_b32 s2, exec_lo, s42
; %bb.20:                               ;   in Loop: Header=BB88_10 Depth=1
	v_min_i32_e32 v1, 15, v1
	s_delay_alu instid0(VALU_DEP_1) | instskip(NEXT) | instid1(VALU_DEP_1)
	v_lshl_or_b32 v1, v1, 3, v12
                                        ; implicit-def: $vgpr12
	v_and_or_b32 v6, v5, 7, v1
; %bb.21:                               ;   in Loop: Header=BB88_10 Depth=1
	s_and_not1_saveexec_b32 s2, s2
; %bb.22:                               ;   in Loop: Header=BB88_10 Depth=1
	v_mov_b32_e32 v6, v12
; %bb.23:                               ;   in Loop: Header=BB88_10 Depth=1
	s_or_b32 exec_lo, exec_lo, s2
.LBB88_24:                              ;   in Loop: Header=BB88_10 Depth=1
	s_delay_alu instid0(SALU_CYCLE_1)
	s_or_b32 exec_lo, exec_lo, s41
.LBB88_25:                              ;   in Loop: Header=BB88_10 Depth=1
	s_and_not1_saveexec_b32 s2, s40
	s_delay_alu instid0(SALU_CYCLE_1)
	s_or_b32 exec_lo, exec_lo, s2
                                        ; implicit-def: $vgpr7
.LBB88_26:                              ;   in Loop: Header=BB88_10 Depth=1
	s_and_not1_saveexec_b32 s2, s29
; %bb.27:                               ;   in Loop: Header=BB88_10 Depth=1
	v_cmp_eq_u64_e32 vcc_lo, 0, v[1:2]
	v_or_b32_e32 v5, 0x7f, v7
	s_delay_alu instid0(VALU_DEP_1)
	v_cndmask_b32_e32 v6, v5, v6, vcc_lo
; %bb.28:                               ;   in Loop: Header=BB88_10 Depth=1
	s_or_b32 exec_lo, exec_lo, s2
	v_cvt_f32_f16_e32 v1, v11
	v_mov_b32_e32 v13, v2
	global_store_b8 v[3:4], v6, off
	s_mov_b32 s2, exec_lo
	v_div_scale_f32 v5, null, s8, s8, v1
	s_delay_alu instid0(VALU_DEP_1) | instskip(SKIP_2) | instid1(VALU_DEP_1)
	v_rcp_f32_e32 v7, v5
	s_waitcnt_depctr 0xfff
	v_fma_f32 v8, -v5, v7, 1.0
	v_fmac_f32_e32 v7, v8, v7
	v_div_scale_f32 v8, vcc_lo, v1, s8, v1
	s_delay_alu instid0(VALU_DEP_1) | instskip(NEXT) | instid1(VALU_DEP_1)
	v_mul_f32_e32 v11, v8, v7
	v_fma_f32 v12, -v5, v11, v8
	s_delay_alu instid0(VALU_DEP_1) | instskip(NEXT) | instid1(VALU_DEP_1)
	v_fmac_f32_e32 v11, v12, v7
	v_fma_f32 v5, -v5, v11, v8
	s_delay_alu instid0(VALU_DEP_1) | instskip(NEXT) | instid1(VALU_DEP_1)
	v_div_fmas_f32 v5, v5, v7, v11
	v_div_fixup_f32 v1, v5, s8, v1
	s_delay_alu instid0(VALU_DEP_1) | instskip(NEXT) | instid1(VALU_DEP_1)
	v_cvt_f16_f32_e32 v1, v1
	v_cvt_f32_f16_e32 v5, v1
	s_delay_alu instid0(VALU_DEP_1) | instskip(SKIP_2) | instid1(VALU_DEP_2)
	v_and_b32_e32 v12, 0x7f800000, v5
	v_lshrrev_b32_e32 v8, 24, v5
	v_and_b32_e32 v1, 0x7fffff, v5
	v_and_b32_e32 v11, 0x80, v8
	s_delay_alu instid0(VALU_DEP_1)
	v_or_b32_e32 v7, 0x7e, v11
	v_cmpx_ne_u64_e32 0x7f800000, v[12:13]
	s_xor_b32 s29, exec_lo, s2
	s_cbranch_execz .LBB88_44
; %bb.29:                               ;   in Loop: Header=BB88_10 Depth=1
	v_dual_mov_b32 v13, v2 :: v_dual_and_b32 v12, 0x7fffffff, v5
	s_mov_b32 s2, exec_lo
	s_delay_alu instid0(VALU_DEP_1)
	v_cmpx_gt_u64_e32 0x43e00001, v[12:13]
	s_xor_b32 s40, exec_lo, s2
	s_cbranch_execz .LBB88_43
; %bb.30:                               ;   in Loop: Header=BB88_10 Depth=1
	v_mov_b32_e32 v7, 0
	s_mov_b32 s41, exec_lo
	v_cmpx_ne_u32_e32 0, v5
	s_cbranch_execz .LBB88_42
; %bb.31:                               ;   in Loop: Header=BB88_10 Depth=1
	v_bfe_u32 v12, v5, 23, 8
	v_or_b32_e32 v7, 0x800000, v1
	s_delay_alu instid0(VALU_DEP_2) | instskip(SKIP_1) | instid1(VALU_DEP_2)
	v_sub_nc_u32_e32 v5, 0x79, v12
	v_cmp_gt_u32_e32 vcc_lo, 0x7a, v12
	v_cndmask_b32_e32 v5, 0, v5, vcc_lo
	v_cmp_eq_u32_e32 vcc_lo, 0, v12
	s_delay_alu instid0(VALU_DEP_2) | instskip(SKIP_1) | instid1(VALU_DEP_2)
	v_cndmask_b32_e64 v13, v5, 0x78, vcc_lo
	v_cndmask_b32_e32 v1, v7, v1, vcc_lo
	v_add_nc_u32_e32 v5, 20, v13
	v_add_nc_u32_e32 v7, 19, v13
	s_delay_alu instid0(VALU_DEP_2) | instskip(NEXT) | instid1(VALU_DEP_2)
	v_lshlrev_b64 v[5:6], v5, -1
	v_lshlrev_b64 v[7:8], v7, 1
	s_delay_alu instid0(VALU_DEP_2) | instskip(NEXT) | instid1(VALU_DEP_3)
	v_not_b32_e32 v6, v6
	v_not_b32_e32 v5, v5
	s_delay_alu instid0(VALU_DEP_2) | instskip(NEXT) | instid1(VALU_DEP_2)
	v_and_b32_e32 v15, 0, v6
	v_and_b32_e32 v14, v1, v5
	v_lshrrev_b64 v[5:6], v13, v[1:2]
	s_delay_alu instid0(VALU_DEP_2) | instskip(NEXT) | instid1(VALU_DEP_2)
	v_cmp_eq_u64_e64 s2, v[14:15], v[7:8]
	v_dual_mov_b32 v8, v6 :: v_dual_mov_b32 v7, v5
	s_delay_alu instid0(VALU_DEP_2)
	s_and_saveexec_b32 s42, s2
; %bb.32:                               ;   in Loop: Header=BB88_10 Depth=1
	v_bfe_u32 v1, v5, 20, 1
	s_delay_alu instid0(VALU_DEP_1) | instskip(NEXT) | instid1(VALU_DEP_1)
	v_add_co_u32 v1, s2, v5, v1
	v_add_co_u32 v7, s2, v1, -1
; %bb.33:                               ;   in Loop: Header=BB88_10 Depth=1
	s_or_b32 exec_lo, exec_lo, s42
	v_add_nc_u32_e32 v1, 0xffffff81, v12
	v_lshrrev_b32_e32 v8, 23, v5
	s_mov_b32 s2, exec_lo
	s_delay_alu instid0(VALU_DEP_2) | instskip(NEXT) | instid1(VALU_DEP_1)
	v_cndmask_b32_e64 v1, v1, 0xffffff82, vcc_lo
	v_add3_u32 v8, v13, v1, v8
	v_and_b32_e32 v1, 0xfffff, v7
	s_delay_alu instid0(VALU_DEP_2) | instskip(NEXT) | instid1(VALU_DEP_2)
	v_add_nc_u32_e32 v7, 6, v8
	v_add_co_u32 v5, vcc_lo, v1, v5
	v_add_co_ci_u32_e32 v6, vcc_lo, 0, v6, vcc_lo
                                        ; implicit-def: $vgpr1
	s_delay_alu instid0(VALU_DEP_3)
	v_cmpx_ne_u32_e32 0, v7
	s_xor_b32 s2, exec_lo, s2
; %bb.34:                               ;   in Loop: Header=BB88_10 Depth=1
	s_delay_alu instid0(VALU_DEP_2) | instskip(SKIP_1) | instid1(VALU_DEP_1)
	v_cmp_lt_u64_e32 vcc_lo, 0xffffff, v[5:6]
	v_add_nc_u32_e32 v1, 7, v8
	v_cndmask_b32_e32 v1, v7, v1, vcc_lo
	v_cndmask_b32_e64 v7, 0, 1, vcc_lo
	s_delay_alu instid0(VALU_DEP_1)
	v_lshrrev_b64 v[5:6], v7, v[5:6]
; %bb.35:                               ;   in Loop: Header=BB88_10 Depth=1
	s_and_not1_saveexec_b32 s2, s2
; %bb.36:                               ;   in Loop: Header=BB88_10 Depth=1
	s_delay_alu instid0(VALU_DEP_1)
	v_bfe_u32 v1, v5, 23, 1
; %bb.37:                               ;   in Loop: Header=BB88_10 Depth=1
	s_or_b32 exec_lo, exec_lo, s2
	s_delay_alu instid0(VALU_DEP_2) | instskip(NEXT) | instid1(VALU_DEP_2)
	v_lshrrev_b64 v[5:6], 20, v[5:6]
	v_cmp_gt_i32_e32 vcc_lo, 16, v1
	v_cmp_ne_u32_e64 s2, 0, v1
                                        ; implicit-def: $vgpr7
	s_delay_alu instid0(VALU_DEP_3) | instskip(NEXT) | instid1(VALU_DEP_1)
	v_dual_cndmask_b32 v6, 0, v6 :: v_dual_cndmask_b32 v5, 7, v5
	v_cmp_ne_u64_e32 vcc_lo, 0, v[5:6]
	s_delay_alu instid0(VALU_DEP_3) | instskip(NEXT) | instid1(SALU_CYCLE_1)
	s_or_b32 s2, s2, vcc_lo
	s_and_saveexec_b32 s42, s2
	s_delay_alu instid0(SALU_CYCLE_1)
	s_xor_b32 s2, exec_lo, s42
; %bb.38:                               ;   in Loop: Header=BB88_10 Depth=1
	v_min_i32_e32 v1, 15, v1
	s_delay_alu instid0(VALU_DEP_1) | instskip(NEXT) | instid1(VALU_DEP_1)
	v_lshl_or_b32 v1, v1, 3, v11
                                        ; implicit-def: $vgpr11
	v_and_or_b32 v7, v5, 7, v1
; %bb.39:                               ;   in Loop: Header=BB88_10 Depth=1
	s_and_not1_saveexec_b32 s2, s2
; %bb.40:                               ;   in Loop: Header=BB88_10 Depth=1
	v_mov_b32_e32 v7, v11
; %bb.41:                               ;   in Loop: Header=BB88_10 Depth=1
	s_or_b32 exec_lo, exec_lo, s2
.LBB88_42:                              ;   in Loop: Header=BB88_10 Depth=1
	s_delay_alu instid0(SALU_CYCLE_1)
	s_or_b32 exec_lo, exec_lo, s41
.LBB88_43:                              ;   in Loop: Header=BB88_10 Depth=1
	s_and_not1_saveexec_b32 s2, s40
	s_delay_alu instid0(SALU_CYCLE_1)
	s_or_b32 exec_lo, exec_lo, s2
                                        ; implicit-def: $vgpr8
.LBB88_44:                              ;   in Loop: Header=BB88_10 Depth=1
	s_and_not1_saveexec_b32 s2, s29
	s_cbranch_execz .LBB88_9
; %bb.45:                               ;   in Loop: Header=BB88_10 Depth=1
	v_cmp_eq_u64_e32 vcc_lo, 0, v[1:2]
	v_or_b32_e32 v5, 0x7f, v8
	s_delay_alu instid0(VALU_DEP_1)
	v_cndmask_b32_e32 v7, v5, v7, vcc_lo
	s_branch .LBB88_9
.LBB88_46:
	s_or_b32 exec_lo, exec_lo, s36
	s_delay_alu instid0(SALU_CYCLE_1)
	s_mov_b32 s2, exec_lo
	v_cmpx_gt_i32_e64 s6, v0
	s_cbranch_execz .LBB88_67
; %bb.47:
	s_mul_i32 s2, s16, s11
	s_mul_hi_u32 s9, s16, s10
	s_mul_i32 s8, s16, s10
	s_add_i32 s9, s9, s2
	s_load_b32 s0, s[0:1], 0x8c
	s_lshl_b64 s[8:9], s[8:9], 1
	v_mov_b32_e32 v3, 0
	s_add_u32 s1, s14, s8
	s_addc_u32 s2, s15, s9
	s_ashr_i32 s8, s4, 31
	s_waitcnt lgkmcnt(0)
	s_load_b32 s4, s[24:25], 0x0
	s_mul_i32 s8, s22, s8
	s_delay_alu instid0(SALU_CYCLE_1) | instskip(NEXT) | instid1(SALU_CYCLE_1)
	s_add_i32 s8, s31, s8
	s_add_i32 s8, s8, s34
	s_add_u32 s9, s18, s35
	s_addc_u32 s8, s19, s8
	s_ashr_i32 s5, s5, 31
	s_delay_alu instid0(SALU_CYCLE_1) | instskip(NEXT) | instid1(SALU_CYCLE_1)
	s_mul_i32 s3, s3, s5
	s_add_i32 s3, s30, s3
	s_delay_alu instid0(SALU_CYCLE_1)
	s_add_i32 s5, s3, s7
	s_add_u32 s3, s9, s23
	s_addc_u32 s5, s8, s5
	s_and_b32 s7, s0, 0xffff
	s_mov_b32 s8, 0
	s_branch .LBB88_49
.LBB88_48:                              ;   in Loop: Header=BB88_49 Depth=1
	s_or_b32 exec_lo, exec_lo, s0
	v_add_co_u32 v6, vcc_lo, s3, v0
	v_add_nc_u32_e32 v0, s7, v0
	v_add_co_ci_u32_e32 v7, vcc_lo, s5, v1, vcc_lo
	s_delay_alu instid0(VALU_DEP_2) | instskip(SKIP_2) | instid1(SALU_CYCLE_1)
	v_cmp_le_i32_e32 vcc_lo, s6, v0
	global_store_b8 v[6:7], v5, off
	s_or_b32 s8, vcc_lo, s8
	s_and_not1_b32 exec_lo, exec_lo, s8
	s_cbranch_execz .LBB88_67
.LBB88_49:                              ; =>This Inner Loop Header: Depth=1
	v_ashrrev_i32_e32 v1, 31, v0
	s_mov_b32 s0, exec_lo
	v_mov_b32_e32 v10, v3
	s_delay_alu instid0(VALU_DEP_2) | instskip(NEXT) | instid1(VALU_DEP_1)
	v_lshlrev_b64 v[4:5], 1, v[0:1]
	v_add_co_u32 v4, vcc_lo, s1, v4
	s_delay_alu instid0(VALU_DEP_2) | instskip(SKIP_4) | instid1(VALU_DEP_1)
	v_add_co_ci_u32_e32 v5, vcc_lo, s2, v5, vcc_lo
	global_load_u16 v2, v[4:5], off
	s_waitcnt vmcnt(0)
	v_cvt_f32_f16_e32 v2, v2
	s_waitcnt lgkmcnt(0)
	v_div_scale_f32 v4, null, s4, s4, v2
	s_delay_alu instid0(VALU_DEP_1) | instskip(SKIP_2) | instid1(VALU_DEP_1)
	v_rcp_f32_e32 v5, v4
	s_waitcnt_depctr 0xfff
	v_fma_f32 v6, -v4, v5, 1.0
	v_fmac_f32_e32 v5, v6, v5
	v_div_scale_f32 v6, vcc_lo, v2, s4, v2
	s_delay_alu instid0(VALU_DEP_1) | instskip(NEXT) | instid1(VALU_DEP_1)
	v_mul_f32_e32 v7, v6, v5
	v_fma_f32 v8, -v4, v7, v6
	s_delay_alu instid0(VALU_DEP_1) | instskip(NEXT) | instid1(VALU_DEP_1)
	v_fmac_f32_e32 v7, v8, v5
	v_fma_f32 v4, -v4, v7, v6
	s_delay_alu instid0(VALU_DEP_1) | instskip(NEXT) | instid1(VALU_DEP_1)
	v_div_fmas_f32 v4, v4, v5, v7
	v_div_fixup_f32 v2, v4, s4, v2
	s_delay_alu instid0(VALU_DEP_1) | instskip(NEXT) | instid1(VALU_DEP_1)
	v_cvt_f16_f32_e32 v2, v2
	v_cvt_f32_f16_e32 v4, v2
	s_delay_alu instid0(VALU_DEP_1) | instskip(SKIP_2) | instid1(VALU_DEP_2)
	v_and_b32_e32 v2, 0x7fffff, v4
	v_lshrrev_b32_e32 v6, 24, v4
	v_and_b32_e32 v9, 0x7f800000, v4
	v_and_b32_e32 v8, 0x80, v6
	s_delay_alu instid0(VALU_DEP_1) | instskip(NEXT) | instid1(VALU_DEP_3)
	v_or_b32_e32 v5, 0x7e, v8
	v_cmpx_ne_u64_e32 0x7f800000, v[9:10]
	s_xor_b32 s9, exec_lo, s0
	s_cbranch_execz .LBB88_65
; %bb.50:                               ;   in Loop: Header=BB88_49 Depth=1
	v_dual_mov_b32 v7, v3 :: v_dual_and_b32 v6, 0x7fffffff, v4
	s_mov_b32 s0, exec_lo
	s_delay_alu instid0(VALU_DEP_1)
	v_cmpx_gt_u64_e32 0x43e00001, v[6:7]
	s_xor_b32 s10, exec_lo, s0
	s_cbranch_execz .LBB88_64
; %bb.51:                               ;   in Loop: Header=BB88_49 Depth=1
	v_mov_b32_e32 v5, 0
	s_mov_b32 s11, exec_lo
	v_cmpx_ne_u32_e32 0, v4
	s_cbranch_execz .LBB88_63
; %bb.52:                               ;   in Loop: Header=BB88_49 Depth=1
	v_bfe_u32 v9, v4, 23, 8
	v_or_b32_e32 v6, 0x800000, v2
	s_delay_alu instid0(VALU_DEP_2) | instskip(SKIP_1) | instid1(VALU_DEP_2)
	v_sub_nc_u32_e32 v4, 0x79, v9
	v_cmp_gt_u32_e32 vcc_lo, 0x7a, v9
	v_cndmask_b32_e32 v4, 0, v4, vcc_lo
	v_cmp_eq_u32_e32 vcc_lo, 0, v9
	s_delay_alu instid0(VALU_DEP_2) | instskip(SKIP_1) | instid1(VALU_DEP_2)
	v_cndmask_b32_e64 v10, v4, 0x78, vcc_lo
	v_cndmask_b32_e32 v2, v6, v2, vcc_lo
	v_add_nc_u32_e32 v4, 20, v10
	v_add_nc_u32_e32 v6, 19, v10
	s_delay_alu instid0(VALU_DEP_2) | instskip(NEXT) | instid1(VALU_DEP_2)
	v_lshlrev_b64 v[4:5], v4, -1
	v_lshlrev_b64 v[6:7], v6, 1
	s_delay_alu instid0(VALU_DEP_2) | instskip(NEXT) | instid1(VALU_DEP_3)
	v_not_b32_e32 v5, v5
	v_not_b32_e32 v4, v4
	s_delay_alu instid0(VALU_DEP_2) | instskip(NEXT) | instid1(VALU_DEP_2)
	v_and_b32_e32 v12, 0, v5
	v_and_b32_e32 v11, v2, v4
	v_lshrrev_b64 v[4:5], v10, v[2:3]
	s_delay_alu instid0(VALU_DEP_2) | instskip(NEXT) | instid1(VALU_DEP_2)
	v_cmp_eq_u64_e64 s0, v[11:12], v[6:7]
	v_dual_mov_b32 v7, v5 :: v_dual_mov_b32 v6, v4
	s_delay_alu instid0(VALU_DEP_2)
	s_and_saveexec_b32 s12, s0
; %bb.53:                               ;   in Loop: Header=BB88_49 Depth=1
	v_bfe_u32 v2, v4, 20, 1
	s_delay_alu instid0(VALU_DEP_1) | instskip(NEXT) | instid1(VALU_DEP_1)
	v_add_co_u32 v2, s0, v4, v2
	v_add_co_u32 v6, s0, v2, -1
; %bb.54:                               ;   in Loop: Header=BB88_49 Depth=1
	s_or_b32 exec_lo, exec_lo, s12
	v_add_nc_u32_e32 v2, 0xffffff81, v9
	v_lshrrev_b32_e32 v7, 23, v4
	s_mov_b32 s0, exec_lo
	s_delay_alu instid0(VALU_DEP_2) | instskip(NEXT) | instid1(VALU_DEP_1)
	v_cndmask_b32_e64 v2, v2, 0xffffff82, vcc_lo
	v_add3_u32 v7, v10, v2, v7
	v_and_b32_e32 v2, 0xfffff, v6
	s_delay_alu instid0(VALU_DEP_2) | instskip(NEXT) | instid1(VALU_DEP_2)
	v_add_nc_u32_e32 v6, 6, v7
	v_add_co_u32 v4, vcc_lo, v2, v4
	v_add_co_ci_u32_e32 v5, vcc_lo, 0, v5, vcc_lo
                                        ; implicit-def: $vgpr2
	s_delay_alu instid0(VALU_DEP_3)
	v_cmpx_ne_u32_e32 0, v6
	s_xor_b32 s0, exec_lo, s0
; %bb.55:                               ;   in Loop: Header=BB88_49 Depth=1
	s_delay_alu instid0(VALU_DEP_2) | instskip(SKIP_1) | instid1(VALU_DEP_1)
	v_cmp_lt_u64_e32 vcc_lo, 0xffffff, v[4:5]
	v_add_nc_u32_e32 v2, 7, v7
	v_cndmask_b32_e32 v2, v6, v2, vcc_lo
	v_cndmask_b32_e64 v6, 0, 1, vcc_lo
	s_delay_alu instid0(VALU_DEP_1)
	v_lshrrev_b64 v[4:5], v6, v[4:5]
; %bb.56:                               ;   in Loop: Header=BB88_49 Depth=1
	s_and_not1_saveexec_b32 s0, s0
; %bb.57:                               ;   in Loop: Header=BB88_49 Depth=1
	s_delay_alu instid0(VALU_DEP_1)
	v_bfe_u32 v2, v4, 23, 1
; %bb.58:                               ;   in Loop: Header=BB88_49 Depth=1
	s_or_b32 exec_lo, exec_lo, s0
	s_delay_alu instid0(VALU_DEP_2) | instskip(NEXT) | instid1(VALU_DEP_2)
	v_lshrrev_b64 v[4:5], 20, v[4:5]
	v_cmp_gt_i32_e32 vcc_lo, 16, v2
	v_cmp_ne_u32_e64 s0, 0, v2
	s_delay_alu instid0(VALU_DEP_3) | instskip(NEXT) | instid1(VALU_DEP_1)
	v_dual_cndmask_b32 v5, 0, v5 :: v_dual_cndmask_b32 v4, 7, v4
	v_cmp_ne_u64_e32 vcc_lo, 0, v[4:5]
                                        ; implicit-def: $vgpr5
	s_delay_alu instid0(VALU_DEP_3) | instskip(NEXT) | instid1(SALU_CYCLE_1)
	s_or_b32 s0, s0, vcc_lo
	s_and_saveexec_b32 s12, s0
	s_delay_alu instid0(SALU_CYCLE_1)
	s_xor_b32 s0, exec_lo, s12
; %bb.59:                               ;   in Loop: Header=BB88_49 Depth=1
	v_min_i32_e32 v2, 15, v2
	s_delay_alu instid0(VALU_DEP_1) | instskip(NEXT) | instid1(VALU_DEP_1)
	v_lshl_or_b32 v2, v2, 3, v8
                                        ; implicit-def: $vgpr8
	v_and_or_b32 v5, v4, 7, v2
; %bb.60:                               ;   in Loop: Header=BB88_49 Depth=1
	s_and_not1_saveexec_b32 s0, s0
; %bb.61:                               ;   in Loop: Header=BB88_49 Depth=1
	v_mov_b32_e32 v5, v8
; %bb.62:                               ;   in Loop: Header=BB88_49 Depth=1
	s_or_b32 exec_lo, exec_lo, s0
.LBB88_63:                              ;   in Loop: Header=BB88_49 Depth=1
	s_delay_alu instid0(SALU_CYCLE_1)
	s_or_b32 exec_lo, exec_lo, s11
.LBB88_64:                              ;   in Loop: Header=BB88_49 Depth=1
	s_and_not1_saveexec_b32 s0, s10
	s_delay_alu instid0(SALU_CYCLE_1)
	s_or_b32 exec_lo, exec_lo, s0
                                        ; implicit-def: $vgpr6
.LBB88_65:                              ;   in Loop: Header=BB88_49 Depth=1
	s_and_not1_saveexec_b32 s0, s9
	s_cbranch_execz .LBB88_48
; %bb.66:                               ;   in Loop: Header=BB88_49 Depth=1
	v_cmp_eq_u64_e32 vcc_lo, 0, v[2:3]
	v_or_b32_e32 v4, 0x7f, v6
	s_delay_alu instid0(VALU_DEP_1)
	v_cndmask_b32_e32 v5, v4, v5, vcc_lo
	s_branch .LBB88_48
.LBB88_67:
	s_nop 0
	s_sendmsg sendmsg(MSG_DEALLOC_VGPRS)
	s_endpgm
.LBB88_68:
                                        ; implicit-def: $sgpr22_sgpr23
	s_branch .LBB88_6
	.section	.rodata,"a",@progbits
	.p2align	6, 0x0
	.amdhsa_kernel _ZN4vllm38concat_and_cache_mla_rope_fused_kernelIN3c108BFloat16ES2_Lb1EthLNS_18Fp8KVCacheDataTypeE1EEEvPKlPT_S7_PKS6_PKT0_illlliPT3_S5_iiiiPKf
		.amdhsa_group_segment_fixed_size 0
		.amdhsa_private_segment_fixed_size 0
		.amdhsa_kernarg_size 384
		.amdhsa_user_sgpr_count 15
		.amdhsa_user_sgpr_dispatch_ptr 0
		.amdhsa_user_sgpr_queue_ptr 0
		.amdhsa_user_sgpr_kernarg_segment_ptr 1
		.amdhsa_user_sgpr_dispatch_id 0
		.amdhsa_user_sgpr_private_segment_size 0
		.amdhsa_wavefront_size32 1
		.amdhsa_uses_dynamic_stack 0
		.amdhsa_enable_private_segment 0
		.amdhsa_system_sgpr_workgroup_id_x 1
		.amdhsa_system_sgpr_workgroup_id_y 0
		.amdhsa_system_sgpr_workgroup_id_z 0
		.amdhsa_system_sgpr_workgroup_info 0
		.amdhsa_system_vgpr_workitem_id 0
		.amdhsa_next_free_vgpr 21
		.amdhsa_next_free_sgpr 47
		.amdhsa_reserve_vcc 1
		.amdhsa_float_round_mode_32 0
		.amdhsa_float_round_mode_16_64 0
		.amdhsa_float_denorm_mode_32 3
		.amdhsa_float_denorm_mode_16_64 3
		.amdhsa_dx10_clamp 1
		.amdhsa_ieee_mode 1
		.amdhsa_fp16_overflow 0
		.amdhsa_workgroup_processor_mode 1
		.amdhsa_memory_ordered 1
		.amdhsa_forward_progress 0
		.amdhsa_shared_vgpr_count 0
		.amdhsa_exception_fp_ieee_invalid_op 0
		.amdhsa_exception_fp_denorm_src 0
		.amdhsa_exception_fp_ieee_div_zero 0
		.amdhsa_exception_fp_ieee_overflow 0
		.amdhsa_exception_fp_ieee_underflow 0
		.amdhsa_exception_fp_ieee_inexact 0
		.amdhsa_exception_int_div_zero 0
	.end_amdhsa_kernel
	.section	.text._ZN4vllm38concat_and_cache_mla_rope_fused_kernelIN3c108BFloat16ES2_Lb1EthLNS_18Fp8KVCacheDataTypeE1EEEvPKlPT_S7_PKS6_PKT0_illlliPT3_S5_iiiiPKf,"axG",@progbits,_ZN4vllm38concat_and_cache_mla_rope_fused_kernelIN3c108BFloat16ES2_Lb1EthLNS_18Fp8KVCacheDataTypeE1EEEvPKlPT_S7_PKS6_PKT0_illlliPT3_S5_iiiiPKf,comdat
.Lfunc_end88:
	.size	_ZN4vllm38concat_and_cache_mla_rope_fused_kernelIN3c108BFloat16ES2_Lb1EthLNS_18Fp8KVCacheDataTypeE1EEEvPKlPT_S7_PKS6_PKT0_illlliPT3_S5_iiiiPKf, .Lfunc_end88-_ZN4vllm38concat_and_cache_mla_rope_fused_kernelIN3c108BFloat16ES2_Lb1EthLNS_18Fp8KVCacheDataTypeE1EEEvPKlPT_S7_PKS6_PKT0_illlliPT3_S5_iiiiPKf
                                        ; -- End function
	.section	.AMDGPU.csdata,"",@progbits
; Kernel info:
; codeLenInByte = 5060
; NumSgprs: 49
; NumVgprs: 21
; ScratchSize: 0
; MemoryBound: 0
; FloatMode: 240
; IeeeMode: 1
; LDSByteSize: 0 bytes/workgroup (compile time only)
; SGPRBlocks: 6
; VGPRBlocks: 2
; NumSGPRsForWavesPerEU: 49
; NumVGPRsForWavesPerEU: 21
; Occupancy: 16
; WaveLimiterHint : 1
; COMPUTE_PGM_RSRC2:SCRATCH_EN: 0
; COMPUTE_PGM_RSRC2:USER_SGPR: 15
; COMPUTE_PGM_RSRC2:TRAP_HANDLER: 0
; COMPUTE_PGM_RSRC2:TGID_X_EN: 1
; COMPUTE_PGM_RSRC2:TGID_Y_EN: 0
; COMPUTE_PGM_RSRC2:TGID_Z_EN: 0
; COMPUTE_PGM_RSRC2:TIDIG_COMP_CNT: 0
	.section	.text._ZN4vllm38concat_and_cache_mla_rope_fused_kernelIN3c108BFloat16ES2_Lb0EthLNS_18Fp8KVCacheDataTypeE1EEEvPKlPT_S7_PKS6_PKT0_illlliPT3_S5_iiiiPKf,"axG",@progbits,_ZN4vllm38concat_and_cache_mla_rope_fused_kernelIN3c108BFloat16ES2_Lb0EthLNS_18Fp8KVCacheDataTypeE1EEEvPKlPT_S7_PKS6_PKT0_illlliPT3_S5_iiiiPKf,comdat
	.protected	_ZN4vllm38concat_and_cache_mla_rope_fused_kernelIN3c108BFloat16ES2_Lb0EthLNS_18Fp8KVCacheDataTypeE1EEEvPKlPT_S7_PKS6_PKT0_illlliPT3_S5_iiiiPKf ; -- Begin function _ZN4vllm38concat_and_cache_mla_rope_fused_kernelIN3c108BFloat16ES2_Lb0EthLNS_18Fp8KVCacheDataTypeE1EEEvPKlPT_S7_PKS6_PKT0_illlliPT3_S5_iiiiPKf
	.globl	_ZN4vllm38concat_and_cache_mla_rope_fused_kernelIN3c108BFloat16ES2_Lb0EthLNS_18Fp8KVCacheDataTypeE1EEEvPKlPT_S7_PKS6_PKT0_illlliPT3_S5_iiiiPKf
	.p2align	8
	.type	_ZN4vllm38concat_and_cache_mla_rope_fused_kernelIN3c108BFloat16ES2_Lb0EthLNS_18Fp8KVCacheDataTypeE1EEEvPKlPT_S7_PKS6_PKT0_illlliPT3_S5_iiiiPKf,@function
_ZN4vllm38concat_and_cache_mla_rope_fused_kernelIN3c108BFloat16ES2_Lb0EthLNS_18Fp8KVCacheDataTypeE1EEEvPKlPT_S7_PKS6_PKT0_illlliPT3_S5_iiiiPKf: ; @_ZN4vllm38concat_and_cache_mla_rope_fused_kernelIN3c108BFloat16ES2_Lb0EthLNS_18Fp8KVCacheDataTypeE1EEEvPKlPT_S7_PKS6_PKT0_illlliPT3_S5_iiiiPKf
; %bb.0:
	s_load_b64 s[4:5], s[0:1], 0x60
	s_mov_b32 s16, s15
	s_mov_b32 s17, 0
	s_delay_alu instid0(SALU_CYCLE_1)
	s_lshl_b64 s[2:3], s[16:17], 3
	s_waitcnt lgkmcnt(0)
	s_add_u32 s4, s4, s2
	s_addc_u32 s5, s5, s3
	s_load_b64 s[28:29], s[4:5], 0x0
	s_waitcnt lgkmcnt(0)
	v_cmp_lt_i64_e64 s4, s[28:29], 0
	s_delay_alu instid0(VALU_DEP_1)
	s_and_b32 vcc_lo, exec_lo, s4
	s_cbranch_vccnz .LBB89_67
; %bb.1:
	s_clause 0x3
	s_load_b32 s21, s[0:1], 0x28
	s_load_b64 s[4:5], s[0:1], 0x0
	s_load_b128 s[12:15], s[0:1], 0x10
	s_load_b32 s17, s[0:1], 0x50
	v_lshlrev_b32_e32 v3, 1, v0
	s_mov_b32 s24, exec_lo
	s_waitcnt lgkmcnt(0)
	s_ashr_i32 s22, s21, 31
	s_add_u32 s2, s4, s2
	s_addc_u32 s3, s5, s3
	s_lshr_b32 s20, s21, 31
	s_load_b64 s[2:3], s[2:3], 0x0
	s_clause 0x2
	s_load_b64 s[26:27], s[0:1], 0x20
	s_load_b64 s[18:19], s[0:1], 0x58
	s_load_b256 s[4:11], s[0:1], 0x30
	s_add_i32 s20, s21, s20
	s_delay_alu instid0(SALU_CYCLE_1) | instskip(NEXT) | instid1(SALU_CYCLE_1)
	s_ashr_i32 s20, s20, 1
	s_mul_i32 s17, s20, s17
	s_waitcnt lgkmcnt(0)
	s_mul_i32 s22, s2, s22
	s_mul_hi_u32 s23, s2, s21
	s_mul_i32 s3, s3, s21
	s_add_i32 s22, s23, s22
	s_mul_i32 s30, s2, s21
	s_add_i32 s31, s22, s3
	v_cmpx_gt_i32_e64 s17, v0
	s_cbranch_execz .LBB89_4
; %bb.2:
	s_load_b64 s[2:3], s[0:1], 0x8
	s_lshl_b64 s[22:23], s[30:31], 1
	s_mul_i32 s21, s16, s5
	s_mul_hi_u32 s33, s16, s4
	s_add_u32 s5, s26, s22
	s_mul_i32 s34, s16, s4
	s_load_b32 s4, s[0:1], 0x8c
	s_addc_u32 s25, s27, s23
	s_add_i32 s35, s33, s21
	s_ashr_i32 s21, s20, 31
	s_lshl_b64 s[22:23], s[34:35], 1
	s_mov_b32 s36, 0
	s_waitcnt lgkmcnt(0)
	s_add_u32 s33, s2, s22
	s_addc_u32 s34, s3, s23
	s_abs_i32 s35, s20
	s_sub_i32 s38, 0, s20
	v_cvt_f32_u32_e32 v1, s35
	s_sub_i32 s2, 0, s35
	s_and_b32 s37, s4, 0xffff
	s_lshl_b64 s[22:23], s[20:21], 1
	s_lshl_b32 s40, s37, 1
	v_rcp_iflag_f32_e32 v1, v1
	s_waitcnt_depctr 0xfff
	v_mul_f32_e32 v1, 0x4f7ffffe, v1
	s_delay_alu instid0(VALU_DEP_1) | instskip(NEXT) | instid1(VALU_DEP_1)
	v_cvt_u32_f32_e32 v2, v1
	v_mul_lo_u32 v1, s2, v2
	s_lshl_b32 s2, s20, 1
	s_delay_alu instid0(SALU_CYCLE_1) | instskip(NEXT) | instid1(VALU_DEP_1)
	s_sub_i32 s39, 0, s2
	v_mul_hi_u32 v4, v2, v1
	s_delay_alu instid0(VALU_DEP_1)
	v_dual_mov_b32 v1, v3 :: v_dual_add_nc_u32 v4, v2, v4
	v_mov_b32_e32 v2, v0
.LBB89_3:                               ; =>This Inner Loop Header: Depth=1
	s_delay_alu instid0(VALU_DEP_1) | instskip(SKIP_1) | instid1(VALU_DEP_2)
	v_sub_nc_u32_e32 v5, 0, v2
	v_ashrrev_i32_e32 v6, 31, v2
	v_max_i32_e32 v5, v2, v5
	s_delay_alu instid0(VALU_DEP_2) | instskip(NEXT) | instid1(VALU_DEP_2)
	v_xor_b32_e32 v6, s21, v6
	v_mul_hi_u32 v7, v5, v4
	s_delay_alu instid0(VALU_DEP_1) | instskip(SKIP_1) | instid1(VALU_DEP_2)
	v_mul_lo_u32 v8, v7, s35
	v_add_nc_u32_e32 v9, 1, v7
	v_sub_nc_u32_e32 v5, v5, v8
	s_delay_alu instid0(VALU_DEP_1) | instskip(SKIP_1) | instid1(VALU_DEP_4)
	v_subrev_nc_u32_e32 v8, s35, v5
	v_cmp_le_u32_e32 vcc_lo, s35, v5
	v_cndmask_b32_e32 v7, v7, v9, vcc_lo
	s_delay_alu instid0(VALU_DEP_1) | instskip(NEXT) | instid1(VALU_DEP_1)
	v_dual_cndmask_b32 v5, v5, v8 :: v_dual_add_nc_u32 v8, 1, v7
	v_cmp_le_u32_e32 vcc_lo, s35, v5
	s_delay_alu instid0(VALU_DEP_2) | instskip(NEXT) | instid1(VALU_DEP_1)
	v_cndmask_b32_e32 v5, v7, v8, vcc_lo
	v_xor_b32_e32 v5, v5, v6
	s_delay_alu instid0(VALU_DEP_1) | instskip(NEXT) | instid1(VALU_DEP_1)
	v_sub_nc_u32_e32 v11, v5, v6
	v_mad_u64_u32 v[5:6], null, s38, v11, v[2:3]
	v_ashrrev_i32_e32 v6, 31, v11
	v_mul_lo_u32 v12, v11, s7
	v_mad_u64_u32 v[7:8], null, v11, s6, 0
	v_mad_u64_u32 v[9:10], null, s39, v11, v[1:2]
	s_delay_alu instid0(VALU_DEP_4) | instskip(SKIP_3) | instid1(VALU_DEP_3)
	v_mul_lo_u32 v11, v6, s6
	v_ashrrev_i32_e32 v6, 31, v5
	v_add_nc_u32_e32 v2, s37, v2
	v_add_nc_u32_e32 v1, s40, v1
	v_lshlrev_b64 v[5:6], 1, v[5:6]
	v_ashrrev_i32_e32 v10, 31, v9
	v_add3_u32 v8, v8, v12, v11
	s_delay_alu instid0(VALU_DEP_3) | instskip(NEXT) | instid1(VALU_DEP_2)
	v_add_co_u32 v5, vcc_lo, s5, v5
	v_lshlrev_b64 v[7:8], 1, v[7:8]
	v_add_co_ci_u32_e32 v6, vcc_lo, s25, v6, vcc_lo
	s_delay_alu instid0(VALU_DEP_3) | instskip(SKIP_1) | instid1(VALU_DEP_3)
	v_add_co_u32 v11, vcc_lo, v5, s22
	v_lshlrev_b64 v[9:10], 1, v[9:10]
	v_add_co_ci_u32_e32 v12, vcc_lo, s23, v6, vcc_lo
	v_add_co_u32 v7, vcc_lo, s33, v7
	v_add_co_ci_u32_e32 v8, vcc_lo, s34, v8, vcc_lo
	global_load_u16 v13, v[5:6], off
	v_add_co_u32 v5, vcc_lo, v7, v9
	v_add_co_ci_u32_e32 v6, vcc_lo, v8, v10, vcc_lo
	global_load_u16 v7, v[11:12], off
	global_load_b32 v8, v[5:6], off
	s_waitcnt vmcnt(2)
	v_lshlrev_b32_e32 v9, 16, v13
	s_waitcnt vmcnt(1)
	v_lshlrev_b32_e32 v7, 16, v7
	s_waitcnt vmcnt(0)
	v_and_b32_e32 v10, 0xffff0000, v8
	s_delay_alu instid0(VALU_DEP_1) | instskip(NEXT) | instid1(VALU_DEP_1)
	v_dual_mul_f32 v11, v7, v10 :: v_dual_lshlrev_b32 v8, 16, v8
	v_dual_mul_f32 v7, v8, v7 :: v_dual_mul_f32 v10, v9, v10
	s_delay_alu instid0(VALU_DEP_2) | instskip(NEXT) | instid1(VALU_DEP_2)
	v_cmp_o_f32_e32 vcc_lo, v11, v11
	v_bfe_u32 v14, v7, 16, 1
	s_delay_alu instid0(VALU_DEP_3) | instskip(SKIP_1) | instid1(VALU_DEP_3)
	v_bfe_u32 v12, v10, 16, 1
	v_cmp_o_f32_e64 s4, v10, v10
	v_add3_u32 v14, v7, v14, 0x7fff
	v_mul_f32_e32 v9, v9, v8
	v_bfe_u32 v8, v11, 16, 1
	v_add3_u32 v12, v10, v12, 0x7fff
	s_delay_alu instid0(VALU_DEP_4) | instskip(NEXT) | instid1(VALU_DEP_4)
	v_and_b32_e32 v14, 0xffff0000, v14
	v_bfe_u32 v13, v9, 16, 1
	s_delay_alu instid0(VALU_DEP_4) | instskip(SKIP_1) | instid1(VALU_DEP_3)
	v_add3_u32 v8, v11, v8, 0x7fff
	v_cmp_o_f32_e64 s3, v9, v9
	v_add3_u32 v13, v9, v13, 0x7fff
	s_delay_alu instid0(VALU_DEP_3) | instskip(SKIP_1) | instid1(VALU_DEP_3)
	v_and_b32_e32 v8, 0xffff0000, v8
	v_cmp_o_f32_e64 s2, v7, v7
	v_and_b32_e32 v13, 0xffff0000, v13
	s_delay_alu instid0(VALU_DEP_3) | instskip(NEXT) | instid1(VALU_DEP_3)
	v_cndmask_b32_e32 v8, 0x7fc00000, v8, vcc_lo
	v_cndmask_b32_e64 v10, 0x7fc00000, v14, s2
	v_and_b32_e32 v12, 0xffff0000, v12
	s_delay_alu instid0(VALU_DEP_4) | instskip(NEXT) | instid1(VALU_DEP_2)
	v_cndmask_b32_e64 v9, 0x7fc00000, v13, s3
	v_cndmask_b32_e64 v7, 0x7fc00000, v12, s4
	s_delay_alu instid0(VALU_DEP_1) | instskip(NEXT) | instid1(VALU_DEP_1)
	v_dual_sub_f32 v8, v9, v8 :: v_dual_add_f32 v7, v10, v7
	v_bfe_u32 v9, v8, 16, 1
	v_cmp_o_f32_e64 s2, v8, v8
	s_delay_alu instid0(VALU_DEP_3) | instskip(SKIP_1) | instid1(VALU_DEP_4)
	v_bfe_u32 v10, v7, 16, 1
	v_cmp_o_f32_e32 vcc_lo, v7, v7
	v_add3_u32 v9, v8, v9, 0x7fff
	s_delay_alu instid0(VALU_DEP_3) | instskip(NEXT) | instid1(VALU_DEP_2)
	v_add3_u32 v10, v7, v10, 0x7fff
	v_lshrrev_b32_e32 v9, 16, v9
	s_delay_alu instid0(VALU_DEP_2) | instskip(NEXT) | instid1(VALU_DEP_2)
	v_lshrrev_b32_e32 v10, 16, v10
	v_cndmask_b32_e64 v7, 0x7fc0, v9, s2
	s_delay_alu instid0(VALU_DEP_2) | instskip(SKIP_1) | instid1(VALU_DEP_2)
	v_cndmask_b32_e32 v8, 0x7fc0, v10, vcc_lo
	v_cmp_le_i32_e32 vcc_lo, s17, v2
	v_perm_b32 v7, v8, v7, 0x5040100
	s_or_b32 s36, vcc_lo, s36
	global_store_b32 v[5:6], v7, off
	s_and_not1_b32 exec_lo, exec_lo, s36
	s_cbranch_execnz .LBB89_3
.LBB89_4:
	s_or_b32 exec_lo, exec_lo, s24
	s_load_b128 s[4:7], s[0:1], 0x68
	s_waitcnt lgkmcnt(0)
	s_ashr_i32 s3, s7, 31
	s_mov_b32 s2, s7
	s_delay_alu instid0(SALU_CYCLE_1) | instskip(SKIP_1) | instid1(SALU_CYCLE_1)
	s_or_b64 s[24:25], s[28:29], s[2:3]
	s_mov_b32 s24, 0
	s_cmp_lg_u64 s[24:25], 0
	s_cbranch_scc0 .LBB89_68
; %bb.5:
	s_add_u32 s34, s2, s3
	s_mov_b32 s22, s3
	s_mov_b32 s23, s3
	s_addc_u32 s35, s3, s3
	s_delay_alu instid0(SALU_CYCLE_1) | instskip(NEXT) | instid1(SALU_CYCLE_1)
	s_xor_b64 s[34:35], s[34:35], s[22:23]
	v_cvt_f32_u32_e32 v1, s34
	v_cvt_f32_u32_e32 v2, s35
	s_sub_u32 s21, 0, s34
	s_subb_u32 s25, 0, s35
	s_delay_alu instid0(VALU_DEP_1) | instskip(NEXT) | instid1(VALU_DEP_1)
	v_fmamk_f32 v1, v2, 0x4f800000, v1
	v_rcp_f32_e32 v1, v1
	s_waitcnt_depctr 0xfff
	v_mul_f32_e32 v1, 0x5f7ffffc, v1
	s_delay_alu instid0(VALU_DEP_1) | instskip(NEXT) | instid1(VALU_DEP_1)
	v_mul_f32_e32 v2, 0x2f800000, v1
	v_trunc_f32_e32 v2, v2
	s_delay_alu instid0(VALU_DEP_1) | instskip(SKIP_1) | instid1(VALU_DEP_2)
	v_fmamk_f32 v1, v2, 0xcf800000, v1
	v_cvt_u32_f32_e32 v2, v2
	v_cvt_u32_f32_e32 v1, v1
	s_delay_alu instid0(VALU_DEP_2) | instskip(NEXT) | instid1(VALU_DEP_2)
	v_readfirstlane_b32 s7, v2
	v_readfirstlane_b32 s17, v1
	s_delay_alu instid0(VALU_DEP_2) | instskip(NEXT) | instid1(VALU_DEP_1)
	s_mul_i32 s33, s21, s7
	s_mul_hi_u32 s37, s21, s17
	s_mul_i32 s36, s25, s17
	s_add_i32 s33, s37, s33
	s_mul_i32 s38, s21, s17
	s_add_i32 s33, s33, s36
	s_mul_hi_u32 s37, s17, s38
	s_mul_hi_u32 s39, s7, s38
	s_mul_i32 s36, s7, s38
	s_mul_hi_u32 s38, s17, s33
	s_mul_i32 s17, s17, s33
	s_mul_hi_u32 s40, s7, s33
	s_add_u32 s17, s37, s17
	s_addc_u32 s37, 0, s38
	s_add_u32 s17, s17, s36
	s_mul_i32 s33, s7, s33
	s_addc_u32 s17, s37, s39
	s_addc_u32 s36, s40, 0
	s_add_u32 s17, s17, s33
	s_addc_u32 s33, 0, s36
	v_add_co_u32 v1, s17, v1, s17
	s_delay_alu instid0(VALU_DEP_1) | instskip(SKIP_1) | instid1(VALU_DEP_1)
	s_cmp_lg_u32 s17, 0
	s_addc_u32 s7, s7, s33
	v_readfirstlane_b32 s17, v1
	s_mul_i32 s33, s21, s7
	s_delay_alu instid0(VALU_DEP_1)
	s_mul_hi_u32 s36, s21, s17
	s_mul_i32 s25, s25, s17
	s_add_i32 s33, s36, s33
	s_mul_i32 s21, s21, s17
	s_add_i32 s33, s33, s25
	s_mul_hi_u32 s36, s7, s21
	s_mul_i32 s37, s7, s21
	s_mul_hi_u32 s21, s17, s21
	s_mul_hi_u32 s38, s17, s33
	s_mul_i32 s17, s17, s33
	s_mul_hi_u32 s25, s7, s33
	s_add_u32 s17, s21, s17
	s_addc_u32 s21, 0, s38
	s_add_u32 s17, s17, s37
	s_mul_i32 s33, s7, s33
	s_addc_u32 s17, s21, s36
	s_addc_u32 s21, s25, 0
	s_add_u32 s17, s17, s33
	s_addc_u32 s21, 0, s21
	v_add_co_u32 v1, s17, v1, s17
	s_delay_alu instid0(VALU_DEP_1) | instskip(SKIP_2) | instid1(VALU_DEP_1)
	s_cmp_lg_u32 s17, 0
	s_addc_u32 s7, s7, s21
	s_ashr_i32 s36, s29, 31
	v_readfirstlane_b32 s17, v1
	s_add_u32 s38, s28, s36
	s_mov_b32 s37, s36
	s_addc_u32 s39, s29, s36
	s_delay_alu instid0(SALU_CYCLE_1) | instskip(NEXT) | instid1(SALU_CYCLE_1)
	s_xor_b64 s[38:39], s[38:39], s[36:37]
	s_mul_i32 s25, s38, s7
	s_mul_hi_u32 s33, s38, s17
	s_mul_hi_u32 s21, s38, s7
	;; [unrolled: 1-line block ×3, first 2 shown]
	s_mul_i32 s17, s39, s17
	s_add_u32 s25, s33, s25
	s_addc_u32 s21, 0, s21
	s_mul_hi_u32 s40, s39, s7
	s_add_u32 s17, s25, s17
	s_mul_i32 s7, s39, s7
	s_addc_u32 s17, s21, s41
	s_addc_u32 s21, s40, 0
	s_add_u32 s7, s17, s7
	s_addc_u32 s17, 0, s21
	s_mul_hi_u32 s21, s34, s7
	s_mul_i32 s33, s34, s17
	s_mul_i32 s40, s34, s7
	s_add_i32 s21, s21, s33
	v_sub_co_u32 v1, s33, s38, s40
	s_mul_i32 s25, s35, s7
	s_delay_alu instid0(SALU_CYCLE_1) | instskip(NEXT) | instid1(VALU_DEP_1)
	s_add_i32 s21, s21, s25
	v_sub_co_u32 v2, s38, v1, s34
	s_sub_i32 s25, s39, s21
	s_cmp_lg_u32 s33, 0
	s_subb_u32 s25, s25, s35
	s_cmp_lg_u32 s38, 0
	v_readfirstlane_b32 s38, v2
	s_subb_u32 s25, s25, 0
	s_delay_alu instid0(SALU_CYCLE_1) | instskip(SKIP_1) | instid1(VALU_DEP_1)
	s_cmp_ge_u32 s25, s35
	s_cselect_b32 s40, -1, 0
	s_cmp_ge_u32 s38, s34
	s_cselect_b32 s38, -1, 0
	s_cmp_eq_u32 s25, s35
	s_cselect_b32 s25, s38, s40
	s_add_u32 s38, s7, 1
	s_addc_u32 s40, s17, 0
	s_add_u32 s41, s7, 2
	s_addc_u32 s42, s17, 0
	s_cmp_lg_u32 s25, 0
	s_cselect_b32 s25, s41, s38
	s_cselect_b32 s38, s42, s40
	s_cmp_lg_u32 s33, 0
	v_readfirstlane_b32 s33, v1
	s_subb_u32 s21, s39, s21
	s_delay_alu instid0(SALU_CYCLE_1) | instskip(SKIP_1) | instid1(VALU_DEP_1)
	s_cmp_ge_u32 s21, s35
	s_cselect_b32 s39, -1, 0
	s_cmp_ge_u32 s33, s34
	s_cselect_b32 s33, -1, 0
	s_cmp_eq_u32 s21, s35
	s_cselect_b32 s21, s33, s39
	s_delay_alu instid0(SALU_CYCLE_1) | instskip(SKIP_3) | instid1(SALU_CYCLE_1)
	s_cmp_lg_u32 s21, 0
	s_cselect_b32 s35, s38, s17
	s_cselect_b32 s34, s25, s7
	s_xor_b64 s[22:23], s[36:37], s[22:23]
	s_xor_b64 s[34:35], s[34:35], s[22:23]
	s_delay_alu instid0(SALU_CYCLE_1)
	s_sub_u32 s22, s34, s22
	s_subb_u32 s23, s35, s23
	s_and_not1_b32 vcc_lo, exec_lo, s24
	s_cbranch_vccnz .LBB89_7
.LBB89_6:
	v_cvt_f32_u32_e32 v1, s2
	s_sub_i32 s17, 0, s2
	s_mov_b32 s23, 0
	s_delay_alu instid0(VALU_DEP_1) | instskip(SKIP_2) | instid1(VALU_DEP_1)
	v_rcp_iflag_f32_e32 v1, v1
	s_waitcnt_depctr 0xfff
	v_mul_f32_e32 v1, 0x4f7ffffe, v1
	v_cvt_u32_f32_e32 v1, v1
	s_delay_alu instid0(VALU_DEP_1) | instskip(NEXT) | instid1(VALU_DEP_1)
	v_readfirstlane_b32 s7, v1
	s_mul_i32 s17, s17, s7
	s_delay_alu instid0(SALU_CYCLE_1) | instskip(NEXT) | instid1(SALU_CYCLE_1)
	s_mul_hi_u32 s17, s7, s17
	s_add_i32 s7, s7, s17
	s_delay_alu instid0(SALU_CYCLE_1) | instskip(NEXT) | instid1(SALU_CYCLE_1)
	s_mul_hi_u32 s7, s28, s7
	s_mul_i32 s17, s7, s2
	s_add_i32 s21, s7, 1
	s_sub_i32 s17, s28, s17
	s_delay_alu instid0(SALU_CYCLE_1)
	s_sub_i32 s22, s17, s2
	s_cmp_ge_u32 s17, s2
	s_cselect_b32 s7, s21, s7
	s_cselect_b32 s17, s22, s17
	s_add_i32 s21, s7, 1
	s_cmp_ge_u32 s17, s2
	s_cselect_b32 s22, s21, s7
.LBB89_7:
	s_load_b64 s[24:25], s[0:1], 0x78
	s_mul_i32 s3, s22, s3
	s_mul_hi_u32 s7, s22, s2
	s_mul_i32 s33, s22, s4
	s_add_i32 s3, s7, s3
	s_mul_i32 s7, s23, s2
	s_mul_i32 s2, s22, s2
	s_add_i32 s7, s3, s7
	s_sub_u32 s3, s28, s2
	s_subb_u32 s7, s29, s7
	s_mul_hi_u32 s28, s22, s4
	s_mul_i32 s29, s23, s4
	s_mul_hi_u32 s23, s3, s5
	s_mul_i32 s7, s7, s5
	s_mul_i32 s17, s3, s5
	s_mov_b32 s34, exec_lo
	v_cmpx_gt_i32_e64 s20, v0
	s_cbranch_execz .LBB89_46
; %bb.8:
	s_load_b32 s2, s[0:1], 0x8c
	s_ashr_i32 s38, s4, 31
	s_ashr_i32 s39, s5, 31
	s_lshl_b64 s[36:37], s[30:31], 1
	s_mul_i32 s30, s22, s38
	s_mul_i32 s38, s3, s39
	s_add_i32 s30, s28, s30
	s_add_i32 s38, s23, s38
	s_ashr_i32 s21, s20, 31
	s_ashr_i32 s40, s6, 31
	s_mul_i32 s9, s9, s16
	s_mul_hi_u32 s31, s8, s16
	s_add_i32 s39, s30, s29
	s_add_i32 s38, s38, s7
	s_mul_i32 s8, s8, s16
	v_dual_mov_b32 v13, v0 :: v_dual_lshlrev_b32 v4, 2, v0
	s_waitcnt lgkmcnt(0)
	s_load_b32 s35, s[24:25], 0x0
	v_mov_b32_e32 v8, 0
	s_and_b32 s30, s2, 0xffff
	s_add_u32 s2, s26, s36
	s_addc_u32 s27, s27, s37
	s_add_i32 s9, s31, s9
	v_add_co_u32 v1, s2, s2, v3
	s_lshl_b64 s[36:37], s[8:9], 1
	s_lshl_b32 s26, s30, 1
	s_lshl_b64 s[8:9], s[20:21], 1
	v_add_co_ci_u32_e64 v2, null, s27, 0, s2
	s_add_u32 s2, s12, s36
	s_addc_u32 s12, s13, s37
	v_add_co_u32 v4, s2, s2, v4
	s_delay_alu instid0(VALU_DEP_1)
	v_add_co_ci_u32_e64 v5, null, s12, 0, s2
	s_lshl_b32 s12, s30, 2
	s_add_u32 s2, s33, s17
	s_addc_u32 s13, s39, s38
	s_add_u32 s21, s18, s6
	s_addc_u32 s27, s19, s40
	;; [unrolled: 2-line block ×3, first 2 shown]
	v_add_co_u32 v6, s2, s2, v3
	s_delay_alu instid0(VALU_DEP_1) | instskip(SKIP_2) | instid1(VALU_DEP_4)
	v_add_co_ci_u32_e64 v7, null, s13, 0, s2
	v_add_co_u32 v3, vcc_lo, v4, 2
	v_add_co_ci_u32_e32 v4, vcc_lo, 0, v5, vcc_lo
	v_add_co_u32 v5, vcc_lo, v6, 1
	s_delay_alu instid0(VALU_DEP_4)
	v_add_co_ci_u32_e32 v6, vcc_lo, 0, v7, vcc_lo
	s_mov_b32 s13, 0
	s_branch .LBB89_10
.LBB89_9:                               ;   in Loop: Header=BB89_10 Depth=1
	s_or_b32 exec_lo, exec_lo, s2
	v_add_co_u32 v1, vcc_lo, v1, s26
	v_add_nc_u32_e32 v13, s30, v13
	v_add_co_ci_u32_e32 v2, vcc_lo, 0, v2, vcc_lo
	v_add_co_u32 v3, vcc_lo, v3, s12
	v_add_co_ci_u32_e32 v4, vcc_lo, 0, v4, vcc_lo
	global_store_b8 v[5:6], v11, off
	v_cmp_le_i32_e32 vcc_lo, s20, v13
	v_add_co_u32 v5, s2, v5, s26
	s_delay_alu instid0(VALU_DEP_1) | instskip(SKIP_1) | instid1(SALU_CYCLE_1)
	v_add_co_ci_u32_e64 v6, s2, 0, v6, s2
	s_or_b32 s13, vcc_lo, s13
	s_and_not1_b32 exec_lo, exec_lo, s13
	s_cbranch_execz .LBB89_46
.LBB89_10:                              ; =>This Inner Loop Header: Depth=1
	v_add_co_u32 v9, vcc_lo, v1, s8
	v_add_co_ci_u32_e32 v10, vcc_lo, s9, v2, vcc_lo
	global_load_u16 v7, v[1:2], off
	global_load_b32 v11, v[3:4], off offset:-2
	global_load_u16 v9, v[9:10], off
	s_waitcnt vmcnt(1)
	v_lshlrev_b32_e32 v10, 16, v11
	v_and_b32_e32 v11, 0xffff0000, v11
	s_waitcnt vmcnt(0)
	v_lshlrev_b32_e32 v9, 16, v9
	s_delay_alu instid0(VALU_DEP_1) | instskip(NEXT) | instid1(VALU_DEP_1)
	v_mul_f32_e32 v14, v9, v11
	v_bfe_u32 v16, v14, 16, 1
	s_delay_alu instid0(VALU_DEP_1) | instskip(NEXT) | instid1(VALU_DEP_1)
	v_add3_u32 v16, v14, v16, 0x7fff
	v_and_b32_e32 v16, 0xffff0000, v16
	v_lshlrev_b32_e32 v7, 16, v7
	s_delay_alu instid0(VALU_DEP_1) | instskip(NEXT) | instid1(VALU_DEP_1)
	v_mul_f32_e32 v12, v7, v10
	v_bfe_u32 v15, v12, 16, 1
	v_cmp_o_f32_e32 vcc_lo, v12, v12
	s_delay_alu instid0(VALU_DEP_2) | instskip(NEXT) | instid1(VALU_DEP_1)
	v_add3_u32 v15, v12, v15, 0x7fff
	v_and_b32_e32 v15, 0xffff0000, v15
	s_delay_alu instid0(VALU_DEP_1) | instskip(SKIP_2) | instid1(VALU_DEP_1)
	v_cndmask_b32_e32 v12, 0x7fc00000, v15, vcc_lo
	v_cmp_o_f32_e32 vcc_lo, v14, v14
	v_dual_cndmask_b32 v14, 0x7fc00000, v16 :: v_dual_mul_f32 v7, v7, v11
	v_sub_f32_e32 v12, v12, v14
	s_delay_alu instid0(VALU_DEP_2) | instskip(NEXT) | instid1(VALU_DEP_2)
	v_cmp_o_f32_e64 s2, v7, v7
	v_bfe_u32 v14, v12, 16, 1
	v_cmp_o_f32_e32 vcc_lo, v12, v12
	s_delay_alu instid0(VALU_DEP_2) | instskip(NEXT) | instid1(VALU_DEP_1)
	v_add3_u32 v14, v12, v14, 0x7fff
	v_lshrrev_b32_e32 v14, 16, v14
	s_delay_alu instid0(VALU_DEP_1) | instskip(NEXT) | instid1(VALU_DEP_1)
	v_cndmask_b32_e32 v12, 0x7fc0, v14, vcc_lo
	v_cvt_f32_f16_e32 v14, v12
	s_waitcnt lgkmcnt(0)
	s_delay_alu instid0(VALU_DEP_1) | instskip(SKIP_1) | instid1(VALU_DEP_2)
	v_div_scale_f32 v15, null, s35, s35, v14
	v_div_scale_f32 v11, vcc_lo, v14, s35, v14
	v_rcp_f32_e32 v16, v15
	s_waitcnt_depctr 0xfff
	v_fma_f32 v17, -v15, v16, 1.0
	s_delay_alu instid0(VALU_DEP_1) | instskip(NEXT) | instid1(VALU_DEP_1)
	v_fmac_f32_e32 v16, v17, v16
	v_mul_f32_e32 v17, v11, v16
	v_mul_f32_e32 v9, v10, v9
	v_bfe_u32 v10, v7, 16, 1
	s_delay_alu instid0(VALU_DEP_3) | instskip(NEXT) | instid1(VALU_DEP_3)
	v_fma_f32 v19, -v15, v17, v11
	v_bfe_u32 v18, v9, 16, 1
	s_delay_alu instid0(VALU_DEP_3) | instskip(NEXT) | instid1(VALU_DEP_3)
	v_add3_u32 v10, v7, v10, 0x7fff
	v_fmac_f32_e32 v17, v19, v16
	s_delay_alu instid0(VALU_DEP_3) | instskip(NEXT) | instid1(VALU_DEP_3)
	v_add3_u32 v18, v9, v18, 0x7fff
	v_and_b32_e32 v10, 0xffff0000, v10
	s_delay_alu instid0(VALU_DEP_2) | instskip(NEXT) | instid1(VALU_DEP_2)
	v_and_b32_e32 v18, 0xffff0000, v18
	v_cndmask_b32_e64 v7, 0x7fc00000, v10, s2
	v_fma_f32 v10, -v15, v17, v11
	v_cmp_o_f32_e64 s2, v9, v9
	s_delay_alu instid0(VALU_DEP_2) | instskip(SKIP_1) | instid1(VALU_DEP_3)
	v_div_fmas_f32 v10, v10, v16, v17
	v_mov_b32_e32 v17, v8
	v_cndmask_b32_e64 v9, 0x7fc00000, v18, s2
	s_mov_b32 s2, exec_lo
	s_delay_alu instid0(VALU_DEP_1) | instskip(SKIP_1) | instid1(VALU_DEP_2)
	v_add_f32_e32 v7, v9, v7
	v_div_fixup_f32 v9, v10, s35, v14
	v_bfe_u32 v10, v7, 16, 1
	s_delay_alu instid0(VALU_DEP_2) | instskip(SKIP_1) | instid1(VALU_DEP_3)
	v_cvt_f16_f32_e32 v9, v9
	v_cmp_o_f32_e32 vcc_lo, v7, v7
	v_add3_u32 v10, v7, v10, 0x7fff
	s_delay_alu instid0(VALU_DEP_3) | instskip(NEXT) | instid1(VALU_DEP_2)
	v_cvt_f32_f16_e32 v9, v9
	v_lshrrev_b32_e32 v10, 16, v10
	s_delay_alu instid0(VALU_DEP_2) | instskip(SKIP_1) | instid1(VALU_DEP_3)
	v_lshrrev_b32_e32 v11, 24, v9
	v_and_b32_e32 v16, 0x7f800000, v9
	v_cndmask_b32_e32 v7, 0x7fc0, v10, vcc_lo
	s_delay_alu instid0(VALU_DEP_3) | instskip(NEXT) | instid1(VALU_DEP_2)
	v_and_b32_e32 v15, 0x80, v11
	v_perm_b32 v14, v7, v12, 0x5040100
	v_and_b32_e32 v7, 0x7fffff, v9
	s_delay_alu instid0(VALU_DEP_3)
	v_or_b32_e32 v10, 0x7e, v15
	global_store_b32 v[3:4], v14, off offset:-2
	v_cmpx_ne_u64_e32 0x7f800000, v[16:17]
	s_xor_b32 s21, exec_lo, s2
	s_cbranch_execz .LBB89_26
; %bb.11:                               ;   in Loop: Header=BB89_10 Depth=1
	v_dual_mov_b32 v12, v8 :: v_dual_and_b32 v11, 0x7fffffff, v9
	s_mov_b32 s2, exec_lo
	s_delay_alu instid0(VALU_DEP_1)
	v_cmpx_gt_u64_e32 0x43e00001, v[11:12]
	s_xor_b32 s27, exec_lo, s2
	s_cbranch_execz .LBB89_25
; %bb.12:                               ;   in Loop: Header=BB89_10 Depth=1
	v_mov_b32_e32 v10, 0
	s_mov_b32 s31, exec_lo
	v_cmpx_ne_u32_e32 0, v9
	s_cbranch_execz .LBB89_24
; %bb.13:                               ;   in Loop: Header=BB89_10 Depth=1
	v_bfe_u32 v16, v9, 23, 8
	v_or_b32_e32 v11, 0x800000, v7
	s_delay_alu instid0(VALU_DEP_2) | instskip(SKIP_1) | instid1(VALU_DEP_2)
	v_sub_nc_u32_e32 v9, 0x79, v16
	v_cmp_gt_u32_e32 vcc_lo, 0x7a, v16
	v_cndmask_b32_e32 v9, 0, v9, vcc_lo
	v_cmp_eq_u32_e32 vcc_lo, 0, v16
	s_delay_alu instid0(VALU_DEP_2) | instskip(SKIP_1) | instid1(VALU_DEP_2)
	v_cndmask_b32_e64 v17, v9, 0x78, vcc_lo
	v_cndmask_b32_e32 v7, v11, v7, vcc_lo
	v_add_nc_u32_e32 v9, 20, v17
	v_add_nc_u32_e32 v11, 19, v17
	s_delay_alu instid0(VALU_DEP_2) | instskip(NEXT) | instid1(VALU_DEP_2)
	v_lshlrev_b64 v[9:10], v9, -1
	v_lshlrev_b64 v[11:12], v11, 1
	s_delay_alu instid0(VALU_DEP_2) | instskip(NEXT) | instid1(VALU_DEP_3)
	v_not_b32_e32 v10, v10
	v_not_b32_e32 v9, v9
	s_delay_alu instid0(VALU_DEP_2) | instskip(NEXT) | instid1(VALU_DEP_2)
	v_and_b32_e32 v19, 0, v10
	v_and_b32_e32 v18, v7, v9
	v_lshrrev_b64 v[9:10], v17, v[7:8]
	s_delay_alu instid0(VALU_DEP_2) | instskip(NEXT) | instid1(VALU_DEP_2)
	v_cmp_eq_u64_e64 s2, v[18:19], v[11:12]
	v_dual_mov_b32 v12, v10 :: v_dual_mov_b32 v11, v9
	s_delay_alu instid0(VALU_DEP_2)
	s_and_saveexec_b32 s36, s2
; %bb.14:                               ;   in Loop: Header=BB89_10 Depth=1
	v_bfe_u32 v7, v9, 20, 1
	s_delay_alu instid0(VALU_DEP_1) | instskip(NEXT) | instid1(VALU_DEP_1)
	v_add_co_u32 v7, s2, v9, v7
	v_add_co_u32 v11, s2, v7, -1
; %bb.15:                               ;   in Loop: Header=BB89_10 Depth=1
	s_or_b32 exec_lo, exec_lo, s36
	v_add_nc_u32_e32 v7, 0xffffff81, v16
	v_lshrrev_b32_e32 v12, 23, v9
	s_mov_b32 s2, exec_lo
	s_delay_alu instid0(VALU_DEP_2) | instskip(NEXT) | instid1(VALU_DEP_1)
	v_cndmask_b32_e64 v7, v7, 0xffffff82, vcc_lo
	v_add3_u32 v12, v17, v7, v12
	v_and_b32_e32 v7, 0xfffff, v11
	s_delay_alu instid0(VALU_DEP_2) | instskip(NEXT) | instid1(VALU_DEP_2)
	v_add_nc_u32_e32 v11, 6, v12
	v_add_co_u32 v9, vcc_lo, v7, v9
	v_add_co_ci_u32_e32 v10, vcc_lo, 0, v10, vcc_lo
                                        ; implicit-def: $vgpr7
	s_delay_alu instid0(VALU_DEP_3)
	v_cmpx_ne_u32_e32 0, v11
	s_xor_b32 s2, exec_lo, s2
; %bb.16:                               ;   in Loop: Header=BB89_10 Depth=1
	s_delay_alu instid0(VALU_DEP_2) | instskip(SKIP_1) | instid1(VALU_DEP_1)
	v_cmp_lt_u64_e32 vcc_lo, 0xffffff, v[9:10]
	v_add_nc_u32_e32 v7, 7, v12
	v_cndmask_b32_e32 v7, v11, v7, vcc_lo
	v_cndmask_b32_e64 v11, 0, 1, vcc_lo
	s_delay_alu instid0(VALU_DEP_1)
	v_lshrrev_b64 v[9:10], v11, v[9:10]
; %bb.17:                               ;   in Loop: Header=BB89_10 Depth=1
	s_and_not1_saveexec_b32 s2, s2
; %bb.18:                               ;   in Loop: Header=BB89_10 Depth=1
	s_delay_alu instid0(VALU_DEP_1)
	v_bfe_u32 v7, v9, 23, 1
; %bb.19:                               ;   in Loop: Header=BB89_10 Depth=1
	s_or_b32 exec_lo, exec_lo, s2
	s_delay_alu instid0(VALU_DEP_2) | instskip(NEXT) | instid1(VALU_DEP_2)
	v_lshrrev_b64 v[9:10], 20, v[9:10]
	v_cmp_gt_i32_e32 vcc_lo, 16, v7
	v_cmp_ne_u32_e64 s2, 0, v7
	s_delay_alu instid0(VALU_DEP_3) | instskip(NEXT) | instid1(VALU_DEP_1)
	v_dual_cndmask_b32 v10, 0, v10 :: v_dual_cndmask_b32 v9, 7, v9
	v_cmp_ne_u64_e32 vcc_lo, 0, v[9:10]
                                        ; implicit-def: $vgpr10
	s_delay_alu instid0(VALU_DEP_3) | instskip(NEXT) | instid1(SALU_CYCLE_1)
	s_or_b32 s2, s2, vcc_lo
	s_and_saveexec_b32 s36, s2
	s_delay_alu instid0(SALU_CYCLE_1)
	s_xor_b32 s2, exec_lo, s36
; %bb.20:                               ;   in Loop: Header=BB89_10 Depth=1
	v_min_i32_e32 v7, 15, v7
	s_delay_alu instid0(VALU_DEP_1) | instskip(NEXT) | instid1(VALU_DEP_1)
	v_lshl_or_b32 v7, v7, 3, v15
                                        ; implicit-def: $vgpr15
	v_and_or_b32 v10, v9, 7, v7
; %bb.21:                               ;   in Loop: Header=BB89_10 Depth=1
	s_and_not1_saveexec_b32 s2, s2
; %bb.22:                               ;   in Loop: Header=BB89_10 Depth=1
	v_mov_b32_e32 v10, v15
; %bb.23:                               ;   in Loop: Header=BB89_10 Depth=1
	s_or_b32 exec_lo, exec_lo, s2
.LBB89_24:                              ;   in Loop: Header=BB89_10 Depth=1
	s_delay_alu instid0(SALU_CYCLE_1)
	s_or_b32 exec_lo, exec_lo, s31
.LBB89_25:                              ;   in Loop: Header=BB89_10 Depth=1
	s_and_not1_saveexec_b32 s2, s27
	s_delay_alu instid0(SALU_CYCLE_1)
	s_or_b32 exec_lo, exec_lo, s2
                                        ; implicit-def: $vgpr11
.LBB89_26:                              ;   in Loop: Header=BB89_10 Depth=1
	s_and_not1_saveexec_b32 s2, s21
; %bb.27:                               ;   in Loop: Header=BB89_10 Depth=1
	v_cmp_eq_u64_e32 vcc_lo, 0, v[7:8]
	v_or_b32_e32 v9, 0x7f, v11
	s_delay_alu instid0(VALU_DEP_1)
	v_cndmask_b32_e32 v10, v9, v10, vcc_lo
; %bb.28:                               ;   in Loop: Header=BB89_10 Depth=1
	s_or_b32 exec_lo, exec_lo, s2
	v_lshrrev_b32_e32 v7, 16, v14
	v_mov_b32_e32 v16, v8
	global_store_b8 v[5:6], v10, off offset:-1
	s_mov_b32 s2, exec_lo
	v_cvt_f32_f16_e32 v7, v7
	s_delay_alu instid0(VALU_DEP_1) | instskip(NEXT) | instid1(VALU_DEP_1)
	v_div_scale_f32 v9, null, s35, s35, v7
	v_rcp_f32_e32 v11, v9
	s_waitcnt_depctr 0xfff
	v_fma_f32 v12, -v9, v11, 1.0
	s_delay_alu instid0(VALU_DEP_1) | instskip(SKIP_1) | instid1(VALU_DEP_1)
	v_fmac_f32_e32 v11, v12, v11
	v_div_scale_f32 v12, vcc_lo, v7, s35, v7
	v_mul_f32_e32 v14, v12, v11
	s_delay_alu instid0(VALU_DEP_1) | instskip(NEXT) | instid1(VALU_DEP_1)
	v_fma_f32 v15, -v9, v14, v12
	v_fmac_f32_e32 v14, v15, v11
	s_delay_alu instid0(VALU_DEP_1) | instskip(NEXT) | instid1(VALU_DEP_1)
	v_fma_f32 v9, -v9, v14, v12
	v_div_fmas_f32 v9, v9, v11, v14
	s_delay_alu instid0(VALU_DEP_1) | instskip(NEXT) | instid1(VALU_DEP_1)
	v_div_fixup_f32 v7, v9, s35, v7
	v_cvt_f16_f32_e32 v7, v7
	s_delay_alu instid0(VALU_DEP_1) | instskip(NEXT) | instid1(VALU_DEP_1)
	v_cvt_f32_f16_e32 v9, v7
	v_and_b32_e32 v7, 0x7fffff, v9
	v_lshrrev_b32_e32 v12, 24, v9
	v_and_b32_e32 v15, 0x7f800000, v9
	s_delay_alu instid0(VALU_DEP_2) | instskip(NEXT) | instid1(VALU_DEP_1)
	v_and_b32_e32 v14, 0x80, v12
	v_or_b32_e32 v11, 0x7e, v14
	s_delay_alu instid0(VALU_DEP_3)
	v_cmpx_ne_u64_e32 0x7f800000, v[15:16]
	s_xor_b32 s21, exec_lo, s2
	s_cbranch_execz .LBB89_44
; %bb.29:                               ;   in Loop: Header=BB89_10 Depth=1
	v_dual_mov_b32 v16, v8 :: v_dual_and_b32 v15, 0x7fffffff, v9
	s_mov_b32 s2, exec_lo
	s_delay_alu instid0(VALU_DEP_1)
	v_cmpx_gt_u64_e32 0x43e00001, v[15:16]
	s_xor_b32 s27, exec_lo, s2
	s_cbranch_execz .LBB89_43
; %bb.30:                               ;   in Loop: Header=BB89_10 Depth=1
	v_mov_b32_e32 v11, 0
	s_mov_b32 s31, exec_lo
	v_cmpx_ne_u32_e32 0, v9
	s_cbranch_execz .LBB89_42
; %bb.31:                               ;   in Loop: Header=BB89_10 Depth=1
	v_bfe_u32 v15, v9, 23, 8
	v_or_b32_e32 v11, 0x800000, v7
	s_delay_alu instid0(VALU_DEP_2) | instskip(SKIP_1) | instid1(VALU_DEP_2)
	v_sub_nc_u32_e32 v9, 0x79, v15
	v_cmp_gt_u32_e32 vcc_lo, 0x7a, v15
	v_cndmask_b32_e32 v9, 0, v9, vcc_lo
	v_cmp_eq_u32_e32 vcc_lo, 0, v15
	s_delay_alu instid0(VALU_DEP_2) | instskip(SKIP_1) | instid1(VALU_DEP_2)
	v_cndmask_b32_e64 v16, v9, 0x78, vcc_lo
	v_cndmask_b32_e32 v7, v11, v7, vcc_lo
	v_add_nc_u32_e32 v9, 20, v16
	v_add_nc_u32_e32 v11, 19, v16
	s_delay_alu instid0(VALU_DEP_2) | instskip(NEXT) | instid1(VALU_DEP_2)
	v_lshlrev_b64 v[9:10], v9, -1
	v_lshlrev_b64 v[11:12], v11, 1
	s_delay_alu instid0(VALU_DEP_2) | instskip(NEXT) | instid1(VALU_DEP_3)
	v_not_b32_e32 v10, v10
	v_not_b32_e32 v9, v9
	s_delay_alu instid0(VALU_DEP_2) | instskip(NEXT) | instid1(VALU_DEP_2)
	v_and_b32_e32 v18, 0, v10
	v_and_b32_e32 v17, v7, v9
	v_lshrrev_b64 v[9:10], v16, v[7:8]
	s_delay_alu instid0(VALU_DEP_2) | instskip(NEXT) | instid1(VALU_DEP_2)
	v_cmp_eq_u64_e64 s2, v[17:18], v[11:12]
	v_dual_mov_b32 v12, v10 :: v_dual_mov_b32 v11, v9
	s_delay_alu instid0(VALU_DEP_2)
	s_and_saveexec_b32 s36, s2
; %bb.32:                               ;   in Loop: Header=BB89_10 Depth=1
	v_bfe_u32 v7, v9, 20, 1
	s_delay_alu instid0(VALU_DEP_1) | instskip(NEXT) | instid1(VALU_DEP_1)
	v_add_co_u32 v7, s2, v9, v7
	v_add_co_u32 v11, s2, v7, -1
; %bb.33:                               ;   in Loop: Header=BB89_10 Depth=1
	s_or_b32 exec_lo, exec_lo, s36
	v_add_nc_u32_e32 v7, 0xffffff81, v15
	v_lshrrev_b32_e32 v12, 23, v9
	s_mov_b32 s2, exec_lo
	s_delay_alu instid0(VALU_DEP_2) | instskip(NEXT) | instid1(VALU_DEP_1)
	v_cndmask_b32_e64 v7, v7, 0xffffff82, vcc_lo
	v_add3_u32 v12, v16, v7, v12
	v_and_b32_e32 v7, 0xfffff, v11
	s_delay_alu instid0(VALU_DEP_2) | instskip(NEXT) | instid1(VALU_DEP_2)
	v_add_nc_u32_e32 v11, 6, v12
	v_add_co_u32 v9, vcc_lo, v7, v9
	v_add_co_ci_u32_e32 v10, vcc_lo, 0, v10, vcc_lo
                                        ; implicit-def: $vgpr7
	s_delay_alu instid0(VALU_DEP_3)
	v_cmpx_ne_u32_e32 0, v11
	s_xor_b32 s2, exec_lo, s2
; %bb.34:                               ;   in Loop: Header=BB89_10 Depth=1
	s_delay_alu instid0(VALU_DEP_2) | instskip(SKIP_1) | instid1(VALU_DEP_1)
	v_cmp_lt_u64_e32 vcc_lo, 0xffffff, v[9:10]
	v_add_nc_u32_e32 v7, 7, v12
	v_cndmask_b32_e32 v7, v11, v7, vcc_lo
	v_cndmask_b32_e64 v11, 0, 1, vcc_lo
	s_delay_alu instid0(VALU_DEP_1)
	v_lshrrev_b64 v[9:10], v11, v[9:10]
; %bb.35:                               ;   in Loop: Header=BB89_10 Depth=1
	s_and_not1_saveexec_b32 s2, s2
; %bb.36:                               ;   in Loop: Header=BB89_10 Depth=1
	s_delay_alu instid0(VALU_DEP_1)
	v_bfe_u32 v7, v9, 23, 1
; %bb.37:                               ;   in Loop: Header=BB89_10 Depth=1
	s_or_b32 exec_lo, exec_lo, s2
	s_delay_alu instid0(VALU_DEP_2) | instskip(NEXT) | instid1(VALU_DEP_2)
	v_lshrrev_b64 v[9:10], 20, v[9:10]
	v_cmp_gt_i32_e32 vcc_lo, 16, v7
	v_cmp_ne_u32_e64 s2, 0, v7
                                        ; implicit-def: $vgpr11
	s_delay_alu instid0(VALU_DEP_3) | instskip(NEXT) | instid1(VALU_DEP_1)
	v_dual_cndmask_b32 v10, 0, v10 :: v_dual_cndmask_b32 v9, 7, v9
	v_cmp_ne_u64_e32 vcc_lo, 0, v[9:10]
	s_delay_alu instid0(VALU_DEP_3) | instskip(NEXT) | instid1(SALU_CYCLE_1)
	s_or_b32 s2, s2, vcc_lo
	s_and_saveexec_b32 s36, s2
	s_delay_alu instid0(SALU_CYCLE_1)
	s_xor_b32 s2, exec_lo, s36
; %bb.38:                               ;   in Loop: Header=BB89_10 Depth=1
	v_min_i32_e32 v7, 15, v7
	s_delay_alu instid0(VALU_DEP_1) | instskip(NEXT) | instid1(VALU_DEP_1)
	v_lshl_or_b32 v7, v7, 3, v14
                                        ; implicit-def: $vgpr14
	v_and_or_b32 v11, v9, 7, v7
; %bb.39:                               ;   in Loop: Header=BB89_10 Depth=1
	s_and_not1_saveexec_b32 s2, s2
; %bb.40:                               ;   in Loop: Header=BB89_10 Depth=1
	v_mov_b32_e32 v11, v14
; %bb.41:                               ;   in Loop: Header=BB89_10 Depth=1
	s_or_b32 exec_lo, exec_lo, s2
.LBB89_42:                              ;   in Loop: Header=BB89_10 Depth=1
	s_delay_alu instid0(SALU_CYCLE_1)
	s_or_b32 exec_lo, exec_lo, s31
.LBB89_43:                              ;   in Loop: Header=BB89_10 Depth=1
	s_and_not1_saveexec_b32 s2, s27
	s_delay_alu instid0(SALU_CYCLE_1)
	s_or_b32 exec_lo, exec_lo, s2
                                        ; implicit-def: $vgpr12
.LBB89_44:                              ;   in Loop: Header=BB89_10 Depth=1
	s_and_not1_saveexec_b32 s2, s21
	s_cbranch_execz .LBB89_9
; %bb.45:                               ;   in Loop: Header=BB89_10 Depth=1
	v_cmp_eq_u64_e32 vcc_lo, 0, v[7:8]
	v_or_b32_e32 v9, 0x7f, v12
	s_delay_alu instid0(VALU_DEP_1)
	v_cndmask_b32_e32 v11, v9, v11, vcc_lo
	s_branch .LBB89_9
.LBB89_46:
	s_or_b32 exec_lo, exec_lo, s34
	s_delay_alu instid0(SALU_CYCLE_1)
	s_mov_b32 s2, exec_lo
	v_cmpx_gt_i32_e64 s6, v0
	s_cbranch_execz .LBB89_67
; %bb.47:
	s_mul_i32 s2, s16, s11
	s_mul_hi_u32 s9, s16, s10
	s_mul_i32 s8, s16, s10
	s_add_i32 s9, s9, s2
	s_load_b32 s0, s[0:1], 0x8c
	s_lshl_b64 s[8:9], s[8:9], 1
	v_mov_b32_e32 v3, 0
	s_add_u32 s1, s14, s8
	s_addc_u32 s2, s15, s9
	s_ashr_i32 s8, s4, 31
	s_waitcnt lgkmcnt(0)
	s_load_b32 s4, s[24:25], 0x0
	s_mul_i32 s8, s22, s8
	s_delay_alu instid0(SALU_CYCLE_1) | instskip(NEXT) | instid1(SALU_CYCLE_1)
	s_add_i32 s8, s28, s8
	s_add_i32 s8, s8, s29
	s_add_u32 s9, s18, s33
	s_addc_u32 s8, s19, s8
	s_ashr_i32 s5, s5, 31
	s_delay_alu instid0(SALU_CYCLE_1) | instskip(NEXT) | instid1(SALU_CYCLE_1)
	s_mul_i32 s3, s3, s5
	s_add_i32 s3, s23, s3
	s_delay_alu instid0(SALU_CYCLE_1)
	s_add_i32 s5, s3, s7
	s_add_u32 s3, s9, s17
	s_addc_u32 s5, s8, s5
	s_and_b32 s7, s0, 0xffff
	s_mov_b32 s8, 0
	s_branch .LBB89_49
.LBB89_48:                              ;   in Loop: Header=BB89_49 Depth=1
	s_or_b32 exec_lo, exec_lo, s0
	v_add_co_u32 v6, vcc_lo, s3, v0
	v_add_nc_u32_e32 v0, s7, v0
	v_add_co_ci_u32_e32 v7, vcc_lo, s5, v1, vcc_lo
	s_delay_alu instid0(VALU_DEP_2) | instskip(SKIP_2) | instid1(SALU_CYCLE_1)
	v_cmp_le_i32_e32 vcc_lo, s6, v0
	global_store_b8 v[6:7], v5, off
	s_or_b32 s8, vcc_lo, s8
	s_and_not1_b32 exec_lo, exec_lo, s8
	s_cbranch_execz .LBB89_67
.LBB89_49:                              ; =>This Inner Loop Header: Depth=1
	v_ashrrev_i32_e32 v1, 31, v0
	s_mov_b32 s0, exec_lo
	v_mov_b32_e32 v10, v3
	s_delay_alu instid0(VALU_DEP_2) | instskip(NEXT) | instid1(VALU_DEP_1)
	v_lshlrev_b64 v[4:5], 1, v[0:1]
	v_add_co_u32 v4, vcc_lo, s1, v4
	s_delay_alu instid0(VALU_DEP_2) | instskip(SKIP_4) | instid1(VALU_DEP_1)
	v_add_co_ci_u32_e32 v5, vcc_lo, s2, v5, vcc_lo
	global_load_u16 v2, v[4:5], off
	s_waitcnt vmcnt(0)
	v_cvt_f32_f16_e32 v2, v2
	s_waitcnt lgkmcnt(0)
	v_div_scale_f32 v4, null, s4, s4, v2
	s_delay_alu instid0(VALU_DEP_1) | instskip(SKIP_2) | instid1(VALU_DEP_1)
	v_rcp_f32_e32 v5, v4
	s_waitcnt_depctr 0xfff
	v_fma_f32 v6, -v4, v5, 1.0
	v_fmac_f32_e32 v5, v6, v5
	v_div_scale_f32 v6, vcc_lo, v2, s4, v2
	s_delay_alu instid0(VALU_DEP_1) | instskip(NEXT) | instid1(VALU_DEP_1)
	v_mul_f32_e32 v7, v6, v5
	v_fma_f32 v8, -v4, v7, v6
	s_delay_alu instid0(VALU_DEP_1) | instskip(NEXT) | instid1(VALU_DEP_1)
	v_fmac_f32_e32 v7, v8, v5
	v_fma_f32 v4, -v4, v7, v6
	s_delay_alu instid0(VALU_DEP_1) | instskip(NEXT) | instid1(VALU_DEP_1)
	v_div_fmas_f32 v4, v4, v5, v7
	v_div_fixup_f32 v2, v4, s4, v2
	s_delay_alu instid0(VALU_DEP_1) | instskip(NEXT) | instid1(VALU_DEP_1)
	v_cvt_f16_f32_e32 v2, v2
	v_cvt_f32_f16_e32 v4, v2
	s_delay_alu instid0(VALU_DEP_1) | instskip(SKIP_2) | instid1(VALU_DEP_2)
	v_and_b32_e32 v2, 0x7fffff, v4
	v_lshrrev_b32_e32 v6, 24, v4
	v_and_b32_e32 v9, 0x7f800000, v4
	v_and_b32_e32 v8, 0x80, v6
	s_delay_alu instid0(VALU_DEP_1) | instskip(NEXT) | instid1(VALU_DEP_3)
	v_or_b32_e32 v5, 0x7e, v8
	v_cmpx_ne_u64_e32 0x7f800000, v[9:10]
	s_xor_b32 s9, exec_lo, s0
	s_cbranch_execz .LBB89_65
; %bb.50:                               ;   in Loop: Header=BB89_49 Depth=1
	v_dual_mov_b32 v7, v3 :: v_dual_and_b32 v6, 0x7fffffff, v4
	s_mov_b32 s0, exec_lo
	s_delay_alu instid0(VALU_DEP_1)
	v_cmpx_gt_u64_e32 0x43e00001, v[6:7]
	s_xor_b32 s10, exec_lo, s0
	s_cbranch_execz .LBB89_64
; %bb.51:                               ;   in Loop: Header=BB89_49 Depth=1
	v_mov_b32_e32 v5, 0
	s_mov_b32 s11, exec_lo
	v_cmpx_ne_u32_e32 0, v4
	s_cbranch_execz .LBB89_63
; %bb.52:                               ;   in Loop: Header=BB89_49 Depth=1
	v_bfe_u32 v9, v4, 23, 8
	v_or_b32_e32 v6, 0x800000, v2
	s_delay_alu instid0(VALU_DEP_2) | instskip(SKIP_1) | instid1(VALU_DEP_2)
	v_sub_nc_u32_e32 v4, 0x79, v9
	v_cmp_gt_u32_e32 vcc_lo, 0x7a, v9
	v_cndmask_b32_e32 v4, 0, v4, vcc_lo
	v_cmp_eq_u32_e32 vcc_lo, 0, v9
	s_delay_alu instid0(VALU_DEP_2) | instskip(SKIP_1) | instid1(VALU_DEP_2)
	v_cndmask_b32_e64 v10, v4, 0x78, vcc_lo
	v_cndmask_b32_e32 v2, v6, v2, vcc_lo
	v_add_nc_u32_e32 v4, 20, v10
	v_add_nc_u32_e32 v6, 19, v10
	s_delay_alu instid0(VALU_DEP_2) | instskip(NEXT) | instid1(VALU_DEP_2)
	v_lshlrev_b64 v[4:5], v4, -1
	v_lshlrev_b64 v[6:7], v6, 1
	s_delay_alu instid0(VALU_DEP_2) | instskip(NEXT) | instid1(VALU_DEP_3)
	v_not_b32_e32 v5, v5
	v_not_b32_e32 v4, v4
	s_delay_alu instid0(VALU_DEP_2) | instskip(NEXT) | instid1(VALU_DEP_2)
	v_and_b32_e32 v12, 0, v5
	v_and_b32_e32 v11, v2, v4
	v_lshrrev_b64 v[4:5], v10, v[2:3]
	s_delay_alu instid0(VALU_DEP_2) | instskip(NEXT) | instid1(VALU_DEP_2)
	v_cmp_eq_u64_e64 s0, v[11:12], v[6:7]
	v_dual_mov_b32 v7, v5 :: v_dual_mov_b32 v6, v4
	s_delay_alu instid0(VALU_DEP_2)
	s_and_saveexec_b32 s12, s0
; %bb.53:                               ;   in Loop: Header=BB89_49 Depth=1
	v_bfe_u32 v2, v4, 20, 1
	s_delay_alu instid0(VALU_DEP_1) | instskip(NEXT) | instid1(VALU_DEP_1)
	v_add_co_u32 v2, s0, v4, v2
	v_add_co_u32 v6, s0, v2, -1
; %bb.54:                               ;   in Loop: Header=BB89_49 Depth=1
	s_or_b32 exec_lo, exec_lo, s12
	v_add_nc_u32_e32 v2, 0xffffff81, v9
	v_lshrrev_b32_e32 v7, 23, v4
	s_mov_b32 s0, exec_lo
	s_delay_alu instid0(VALU_DEP_2) | instskip(NEXT) | instid1(VALU_DEP_1)
	v_cndmask_b32_e64 v2, v2, 0xffffff82, vcc_lo
	v_add3_u32 v7, v10, v2, v7
	v_and_b32_e32 v2, 0xfffff, v6
	s_delay_alu instid0(VALU_DEP_2) | instskip(NEXT) | instid1(VALU_DEP_2)
	v_add_nc_u32_e32 v6, 6, v7
	v_add_co_u32 v4, vcc_lo, v2, v4
	v_add_co_ci_u32_e32 v5, vcc_lo, 0, v5, vcc_lo
                                        ; implicit-def: $vgpr2
	s_delay_alu instid0(VALU_DEP_3)
	v_cmpx_ne_u32_e32 0, v6
	s_xor_b32 s0, exec_lo, s0
; %bb.55:                               ;   in Loop: Header=BB89_49 Depth=1
	s_delay_alu instid0(VALU_DEP_2) | instskip(SKIP_1) | instid1(VALU_DEP_1)
	v_cmp_lt_u64_e32 vcc_lo, 0xffffff, v[4:5]
	v_add_nc_u32_e32 v2, 7, v7
	v_cndmask_b32_e32 v2, v6, v2, vcc_lo
	v_cndmask_b32_e64 v6, 0, 1, vcc_lo
	s_delay_alu instid0(VALU_DEP_1)
	v_lshrrev_b64 v[4:5], v6, v[4:5]
; %bb.56:                               ;   in Loop: Header=BB89_49 Depth=1
	s_and_not1_saveexec_b32 s0, s0
; %bb.57:                               ;   in Loop: Header=BB89_49 Depth=1
	s_delay_alu instid0(VALU_DEP_1)
	v_bfe_u32 v2, v4, 23, 1
; %bb.58:                               ;   in Loop: Header=BB89_49 Depth=1
	s_or_b32 exec_lo, exec_lo, s0
	s_delay_alu instid0(VALU_DEP_2) | instskip(NEXT) | instid1(VALU_DEP_2)
	v_lshrrev_b64 v[4:5], 20, v[4:5]
	v_cmp_gt_i32_e32 vcc_lo, 16, v2
	v_cmp_ne_u32_e64 s0, 0, v2
	s_delay_alu instid0(VALU_DEP_3) | instskip(NEXT) | instid1(VALU_DEP_1)
	v_dual_cndmask_b32 v5, 0, v5 :: v_dual_cndmask_b32 v4, 7, v4
	v_cmp_ne_u64_e32 vcc_lo, 0, v[4:5]
                                        ; implicit-def: $vgpr5
	s_delay_alu instid0(VALU_DEP_3) | instskip(NEXT) | instid1(SALU_CYCLE_1)
	s_or_b32 s0, s0, vcc_lo
	s_and_saveexec_b32 s12, s0
	s_delay_alu instid0(SALU_CYCLE_1)
	s_xor_b32 s0, exec_lo, s12
; %bb.59:                               ;   in Loop: Header=BB89_49 Depth=1
	v_min_i32_e32 v2, 15, v2
	s_delay_alu instid0(VALU_DEP_1) | instskip(NEXT) | instid1(VALU_DEP_1)
	v_lshl_or_b32 v2, v2, 3, v8
                                        ; implicit-def: $vgpr8
	v_and_or_b32 v5, v4, 7, v2
; %bb.60:                               ;   in Loop: Header=BB89_49 Depth=1
	s_and_not1_saveexec_b32 s0, s0
; %bb.61:                               ;   in Loop: Header=BB89_49 Depth=1
	v_mov_b32_e32 v5, v8
; %bb.62:                               ;   in Loop: Header=BB89_49 Depth=1
	s_or_b32 exec_lo, exec_lo, s0
.LBB89_63:                              ;   in Loop: Header=BB89_49 Depth=1
	s_delay_alu instid0(SALU_CYCLE_1)
	s_or_b32 exec_lo, exec_lo, s11
.LBB89_64:                              ;   in Loop: Header=BB89_49 Depth=1
	s_and_not1_saveexec_b32 s0, s10
	s_delay_alu instid0(SALU_CYCLE_1)
	s_or_b32 exec_lo, exec_lo, s0
                                        ; implicit-def: $vgpr6
.LBB89_65:                              ;   in Loop: Header=BB89_49 Depth=1
	s_and_not1_saveexec_b32 s0, s9
	s_cbranch_execz .LBB89_48
; %bb.66:                               ;   in Loop: Header=BB89_49 Depth=1
	v_cmp_eq_u64_e32 vcc_lo, 0, v[2:3]
	v_or_b32_e32 v4, 0x7f, v6
	s_delay_alu instid0(VALU_DEP_1)
	v_cndmask_b32_e32 v5, v4, v5, vcc_lo
	s_branch .LBB89_48
.LBB89_67:
	s_nop 0
	s_sendmsg sendmsg(MSG_DEALLOC_VGPRS)
	s_endpgm
.LBB89_68:
                                        ; implicit-def: $sgpr22_sgpr23
	s_branch .LBB89_6
	.section	.rodata,"a",@progbits
	.p2align	6, 0x0
	.amdhsa_kernel _ZN4vllm38concat_and_cache_mla_rope_fused_kernelIN3c108BFloat16ES2_Lb0EthLNS_18Fp8KVCacheDataTypeE1EEEvPKlPT_S7_PKS6_PKT0_illlliPT3_S5_iiiiPKf
		.amdhsa_group_segment_fixed_size 0
		.amdhsa_private_segment_fixed_size 0
		.amdhsa_kernarg_size 384
		.amdhsa_user_sgpr_count 15
		.amdhsa_user_sgpr_dispatch_ptr 0
		.amdhsa_user_sgpr_queue_ptr 0
		.amdhsa_user_sgpr_kernarg_segment_ptr 1
		.amdhsa_user_sgpr_dispatch_id 0
		.amdhsa_user_sgpr_private_segment_size 0
		.amdhsa_wavefront_size32 1
		.amdhsa_uses_dynamic_stack 0
		.amdhsa_enable_private_segment 0
		.amdhsa_system_sgpr_workgroup_id_x 1
		.amdhsa_system_sgpr_workgroup_id_y 0
		.amdhsa_system_sgpr_workgroup_id_z 0
		.amdhsa_system_sgpr_workgroup_info 0
		.amdhsa_system_vgpr_workitem_id 0
		.amdhsa_next_free_vgpr 20
		.amdhsa_next_free_sgpr 43
		.amdhsa_reserve_vcc 1
		.amdhsa_float_round_mode_32 0
		.amdhsa_float_round_mode_16_64 0
		.amdhsa_float_denorm_mode_32 3
		.amdhsa_float_denorm_mode_16_64 3
		.amdhsa_dx10_clamp 1
		.amdhsa_ieee_mode 1
		.amdhsa_fp16_overflow 0
		.amdhsa_workgroup_processor_mode 1
		.amdhsa_memory_ordered 1
		.amdhsa_forward_progress 0
		.amdhsa_shared_vgpr_count 0
		.amdhsa_exception_fp_ieee_invalid_op 0
		.amdhsa_exception_fp_denorm_src 0
		.amdhsa_exception_fp_ieee_div_zero 0
		.amdhsa_exception_fp_ieee_overflow 0
		.amdhsa_exception_fp_ieee_underflow 0
		.amdhsa_exception_fp_ieee_inexact 0
		.amdhsa_exception_int_div_zero 0
	.end_amdhsa_kernel
	.section	.text._ZN4vllm38concat_and_cache_mla_rope_fused_kernelIN3c108BFloat16ES2_Lb0EthLNS_18Fp8KVCacheDataTypeE1EEEvPKlPT_S7_PKS6_PKT0_illlliPT3_S5_iiiiPKf,"axG",@progbits,_ZN4vllm38concat_and_cache_mla_rope_fused_kernelIN3c108BFloat16ES2_Lb0EthLNS_18Fp8KVCacheDataTypeE1EEEvPKlPT_S7_PKS6_PKT0_illlliPT3_S5_iiiiPKf,comdat
.Lfunc_end89:
	.size	_ZN4vllm38concat_and_cache_mla_rope_fused_kernelIN3c108BFloat16ES2_Lb0EthLNS_18Fp8KVCacheDataTypeE1EEEvPKlPT_S7_PKS6_PKT0_illlliPT3_S5_iiiiPKf, .Lfunc_end89-_ZN4vllm38concat_and_cache_mla_rope_fused_kernelIN3c108BFloat16ES2_Lb0EthLNS_18Fp8KVCacheDataTypeE1EEEvPKlPT_S7_PKS6_PKT0_illlliPT3_S5_iiiiPKf
                                        ; -- End function
	.section	.AMDGPU.csdata,"",@progbits
; Kernel info:
; codeLenInByte = 5052
; NumSgprs: 45
; NumVgprs: 20
; ScratchSize: 0
; MemoryBound: 0
; FloatMode: 240
; IeeeMode: 1
; LDSByteSize: 0 bytes/workgroup (compile time only)
; SGPRBlocks: 5
; VGPRBlocks: 2
; NumSGPRsForWavesPerEU: 45
; NumVGPRsForWavesPerEU: 20
; Occupancy: 16
; WaveLimiterHint : 1
; COMPUTE_PGM_RSRC2:SCRATCH_EN: 0
; COMPUTE_PGM_RSRC2:USER_SGPR: 15
; COMPUTE_PGM_RSRC2:TRAP_HANDLER: 0
; COMPUTE_PGM_RSRC2:TGID_X_EN: 1
; COMPUTE_PGM_RSRC2:TGID_Y_EN: 0
; COMPUTE_PGM_RSRC2:TGID_Z_EN: 0
; COMPUTE_PGM_RSRC2:TIDIG_COMP_CNT: 0
	.section	.text._ZN4vllm38concat_and_cache_mla_rope_fused_kernelIffLb1E14__hip_bfloat16hLNS_18Fp8KVCacheDataTypeE1EEEvPKlPT_S6_PKS5_PKT0_illlliPT3_S4_iiiiPKf,"axG",@progbits,_ZN4vllm38concat_and_cache_mla_rope_fused_kernelIffLb1E14__hip_bfloat16hLNS_18Fp8KVCacheDataTypeE1EEEvPKlPT_S6_PKS5_PKT0_illlliPT3_S4_iiiiPKf,comdat
	.protected	_ZN4vllm38concat_and_cache_mla_rope_fused_kernelIffLb1E14__hip_bfloat16hLNS_18Fp8KVCacheDataTypeE1EEEvPKlPT_S6_PKS5_PKT0_illlliPT3_S4_iiiiPKf ; -- Begin function _ZN4vllm38concat_and_cache_mla_rope_fused_kernelIffLb1E14__hip_bfloat16hLNS_18Fp8KVCacheDataTypeE1EEEvPKlPT_S6_PKS5_PKT0_illlliPT3_S4_iiiiPKf
	.globl	_ZN4vllm38concat_and_cache_mla_rope_fused_kernelIffLb1E14__hip_bfloat16hLNS_18Fp8KVCacheDataTypeE1EEEvPKlPT_S6_PKS5_PKT0_illlliPT3_S4_iiiiPKf
	.p2align	8
	.type	_ZN4vllm38concat_and_cache_mla_rope_fused_kernelIffLb1E14__hip_bfloat16hLNS_18Fp8KVCacheDataTypeE1EEEvPKlPT_S6_PKS5_PKT0_illlliPT3_S4_iiiiPKf,@function
_ZN4vllm38concat_and_cache_mla_rope_fused_kernelIffLb1E14__hip_bfloat16hLNS_18Fp8KVCacheDataTypeE1EEEvPKlPT_S6_PKS5_PKT0_illlliPT3_S4_iiiiPKf: ; @_ZN4vllm38concat_and_cache_mla_rope_fused_kernelIffLb1E14__hip_bfloat16hLNS_18Fp8KVCacheDataTypeE1EEEvPKlPT_S6_PKS5_PKT0_illlliPT3_S4_iiiiPKf
; %bb.0:
	s_load_b64 s[4:5], s[0:1], 0x60
	s_mov_b32 s16, s15
	s_mov_b32 s17, 0
	s_delay_alu instid0(SALU_CYCLE_1)
	s_lshl_b64 s[2:3], s[16:17], 3
	s_waitcnt lgkmcnt(0)
	s_add_u32 s4, s4, s2
	s_addc_u32 s5, s5, s3
	s_load_b64 s[28:29], s[4:5], 0x0
	s_waitcnt lgkmcnt(0)
	v_cmp_lt_i64_e64 s4, s[28:29], 0
	s_delay_alu instid0(VALU_DEP_1)
	s_and_b32 vcc_lo, exec_lo, s4
	s_cbranch_vccnz .LBB90_67
; %bb.1:
	s_clause 0x2
	s_load_b32 s22, s[0:1], 0x28
	s_load_b64 s[4:5], s[0:1], 0x0
	s_load_b128 s[12:15], s[0:1], 0x10
	s_waitcnt lgkmcnt(0)
	s_ashr_i32 s17, s22, 31
	s_add_u32 s2, s4, s2
	s_addc_u32 s3, s5, s3
	s_load_b64 s[20:21], s[2:3], 0x0
	s_clause 0x3
	s_load_b64 s[2:3], s[0:1], 0x20
	s_load_b32 s23, s[0:1], 0x50
	s_load_b64 s[18:19], s[0:1], 0x58
	s_load_b256 s[4:11], s[0:1], 0x30
	s_waitcnt lgkmcnt(0)
	s_mul_i32 s17, s20, s17
	s_mul_hi_u32 s24, s20, s22
	s_mul_i32 s21, s21, s22
	s_add_i32 s17, s24, s17
	s_mul_i32 s20, s20, s22
	s_add_i32 s21, s17, s21
	s_delay_alu instid0(SALU_CYCLE_1) | instskip(NEXT) | instid1(SALU_CYCLE_1)
	s_lshl_b64 s[26:27], s[20:21], 2
	s_add_u32 s17, s2, s26
	s_addc_u32 s33, s3, s27
	s_lshr_b32 s20, s22, 31
	s_delay_alu instid0(SALU_CYCLE_1) | instskip(NEXT) | instid1(SALU_CYCLE_1)
	s_add_i32 s22, s22, s20
	s_ashr_i32 s20, s22, 1
	s_delay_alu instid0(SALU_CYCLE_1)
	s_mul_i32 s22, s20, s23
	s_mov_b32 s23, exec_lo
	v_cmpx_gt_i32_e64 s22, v0
	s_cbranch_execz .LBB90_4
; %bb.2:
	s_clause 0x1
	s_load_b64 s[24:25], s[0:1], 0x8
	s_load_b32 s31, s[0:1], 0x8c
	s_mul_i32 s5, s16, s5
	s_mul_hi_u32 s21, s16, s4
	s_mul_i32 s4, s16, s4
	s_add_i32 s5, s21, s5
	s_ashr_i32 s21, s20, 31
	s_lshl_b64 s[4:5], s[4:5], 2
	s_mov_b32 s34, 0
	s_waitcnt lgkmcnt(0)
	s_add_u32 s24, s24, s4
	s_addc_u32 s25, s25, s5
	s_abs_i32 s30, s20
	s_and_b32 s31, s31, 0xffff
	v_cvt_f32_u32_e32 v1, s30
	s_sub_i32 s4, 0, s30
	s_sub_i32 s35, 0, s20
	s_delay_alu instid0(VALU_DEP_1) | instskip(SKIP_2) | instid1(VALU_DEP_1)
	v_rcp_iflag_f32_e32 v1, v1
	s_waitcnt_depctr 0xfff
	v_mul_f32_e32 v1, 0x4f7ffffe, v1
	v_cvt_u32_f32_e32 v1, v1
	s_delay_alu instid0(VALU_DEP_1) | instskip(SKIP_1) | instid1(VALU_DEP_1)
	v_mul_lo_u32 v2, s4, v1
	s_lshl_b64 s[4:5], s[20:21], 2
	v_mul_hi_u32 v2, v1, v2
	s_delay_alu instid0(VALU_DEP_1)
	v_dual_mov_b32 v1, v0 :: v_dual_add_nc_u32 v2, v1, v2
.LBB90_3:                               ; =>This Inner Loop Header: Depth=1
	s_delay_alu instid0(VALU_DEP_1) | instskip(SKIP_1) | instid1(VALU_DEP_2)
	v_sub_nc_u32_e32 v3, 0, v1
	v_ashrrev_i32_e32 v4, 31, v1
	v_max_i32_e32 v3, v1, v3
	s_delay_alu instid0(VALU_DEP_2) | instskip(NEXT) | instid1(VALU_DEP_2)
	v_xor_b32_e32 v4, s21, v4
	v_mul_hi_u32 v5, v3, v2
	s_delay_alu instid0(VALU_DEP_1) | instskip(SKIP_1) | instid1(VALU_DEP_2)
	v_mul_lo_u32 v6, v5, s30
	v_add_nc_u32_e32 v7, 1, v5
	v_sub_nc_u32_e32 v3, v3, v6
	s_delay_alu instid0(VALU_DEP_1) | instskip(SKIP_1) | instid1(VALU_DEP_4)
	v_subrev_nc_u32_e32 v6, s30, v3
	v_cmp_le_u32_e32 vcc_lo, s30, v3
	v_cndmask_b32_e32 v5, v5, v7, vcc_lo
	s_delay_alu instid0(VALU_DEP_1) | instskip(NEXT) | instid1(VALU_DEP_1)
	v_dual_cndmask_b32 v3, v3, v6 :: v_dual_add_nc_u32 v6, 1, v5
	v_cmp_le_u32_e32 vcc_lo, s30, v3
	s_delay_alu instid0(VALU_DEP_2) | instskip(NEXT) | instid1(VALU_DEP_1)
	v_cndmask_b32_e32 v3, v5, v6, vcc_lo
	v_xor_b32_e32 v3, v3, v4
	s_delay_alu instid0(VALU_DEP_1) | instskip(NEXT) | instid1(VALU_DEP_1)
	v_sub_nc_u32_e32 v7, v3, v4
	v_ashrrev_i32_e32 v8, 31, v7
	v_mad_u64_u32 v[3:4], null, s35, v7, v[1:2]
	v_mul_lo_u32 v9, v7, s7
	v_mad_u64_u32 v[5:6], null, v7, s6, 0
	s_delay_alu instid0(VALU_DEP_4) | instskip(SKIP_2) | instid1(VALU_DEP_3)
	v_mul_lo_u32 v7, v8, s6
	v_add_nc_u32_e32 v1, s31, v1
	v_ashrrev_i32_e32 v4, 31, v3
	v_add3_u32 v6, v6, v9, v7
	s_delay_alu instid0(VALU_DEP_2) | instskip(NEXT) | instid1(VALU_DEP_2)
	v_lshlrev_b64 v[3:4], 2, v[3:4]
	v_lshlrev_b64 v[5:6], 2, v[5:6]
	s_delay_alu instid0(VALU_DEP_2) | instskip(NEXT) | instid1(VALU_DEP_3)
	v_add_co_u32 v7, vcc_lo, s17, v3
	v_add_co_ci_u32_e32 v8, vcc_lo, s33, v4, vcc_lo
	s_delay_alu instid0(VALU_DEP_3) | instskip(NEXT) | instid1(VALU_DEP_4)
	v_add_co_u32 v9, vcc_lo, s24, v5
	v_add_co_ci_u32_e32 v10, vcc_lo, s25, v6, vcc_lo
	s_delay_alu instid0(VALU_DEP_4) | instskip(NEXT) | instid1(VALU_DEP_4)
	v_add_co_u32 v5, vcc_lo, v7, s4
	v_add_co_ci_u32_e32 v6, vcc_lo, s5, v8, vcc_lo
	s_delay_alu instid0(VALU_DEP_4) | instskip(NEXT) | instid1(VALU_DEP_4)
	v_add_co_u32 v3, vcc_lo, v9, v3
	v_add_co_ci_u32_e32 v4, vcc_lo, v10, v4, vcc_lo
	s_delay_alu instid0(VALU_DEP_2) | instskip(NEXT) | instid1(VALU_DEP_2)
	v_add_co_u32 v9, vcc_lo, v3, s4
	v_add_co_ci_u32_e32 v10, vcc_lo, s5, v4, vcc_lo
	s_clause 0x1
	global_load_b32 v7, v[7:8], off
	global_load_b32 v5, v[5:6], off
	s_clause 0x1
	global_load_b32 v6, v[3:4], off
	global_load_b32 v8, v[9:10], off
	v_cmp_le_i32_e32 vcc_lo, s22, v1
	s_or_b32 s34, vcc_lo, s34
	s_waitcnt vmcnt(0)
	v_mul_f32_e32 v11, v5, v8
	v_mul_f32_e32 v8, v7, v8
	s_delay_alu instid0(VALU_DEP_2) | instskip(NEXT) | instid1(VALU_DEP_2)
	v_fma_f32 v7, v7, v6, -v11
	v_fmac_f32_e32 v8, v5, v6
	s_clause 0x1
	global_store_b32 v[3:4], v7, off
	global_store_b32 v[9:10], v8, off
	s_and_not1_b32 exec_lo, exec_lo, s34
	s_cbranch_execnz .LBB90_3
.LBB90_4:
	s_or_b32 exec_lo, exec_lo, s23
	s_load_b128 s[4:7], s[0:1], 0x68
	s_waitcnt lgkmcnt(0)
	s_ashr_i32 s31, s7, 31
	s_mov_b32 s30, s7
	s_delay_alu instid0(SALU_CYCLE_1) | instskip(SKIP_1) | instid1(SALU_CYCLE_1)
	s_or_b64 s[24:25], s[28:29], s[30:31]
	s_mov_b32 s24, 0
	s_cmp_lg_u64 s[24:25], 0
	s_cbranch_scc0 .LBB90_68
; %bb.5:
	s_add_u32 s34, s30, s31
	s_mov_b32 s22, s31
	s_mov_b32 s23, s31
	s_addc_u32 s35, s31, s31
	s_delay_alu instid0(SALU_CYCLE_1) | instskip(NEXT) | instid1(SALU_CYCLE_1)
	s_xor_b64 s[34:35], s[34:35], s[22:23]
	v_cvt_f32_u32_e32 v1, s34
	v_cvt_f32_u32_e32 v2, s35
	s_sub_u32 s25, 0, s34
	s_subb_u32 s36, 0, s35
	s_delay_alu instid0(VALU_DEP_1) | instskip(NEXT) | instid1(VALU_DEP_1)
	v_fmamk_f32 v1, v2, 0x4f800000, v1
	v_rcp_f32_e32 v1, v1
	s_waitcnt_depctr 0xfff
	v_mul_f32_e32 v1, 0x5f7ffffc, v1
	s_delay_alu instid0(VALU_DEP_1) | instskip(NEXT) | instid1(VALU_DEP_1)
	v_mul_f32_e32 v2, 0x2f800000, v1
	v_trunc_f32_e32 v2, v2
	s_delay_alu instid0(VALU_DEP_1) | instskip(SKIP_1) | instid1(VALU_DEP_2)
	v_fmamk_f32 v1, v2, 0xcf800000, v1
	v_cvt_u32_f32_e32 v2, v2
	v_cvt_u32_f32_e32 v1, v1
	s_delay_alu instid0(VALU_DEP_2) | instskip(NEXT) | instid1(VALU_DEP_2)
	v_readfirstlane_b32 s7, v2
	v_readfirstlane_b32 s21, v1
	s_delay_alu instid0(VALU_DEP_2) | instskip(NEXT) | instid1(VALU_DEP_1)
	s_mul_i32 s37, s25, s7
	s_mul_hi_u32 s39, s25, s21
	s_mul_i32 s38, s36, s21
	s_add_i32 s37, s39, s37
	s_mul_i32 s40, s25, s21
	s_add_i32 s37, s37, s38
	s_mul_hi_u32 s39, s21, s40
	s_mul_hi_u32 s41, s7, s40
	s_mul_i32 s38, s7, s40
	s_mul_hi_u32 s40, s21, s37
	s_mul_i32 s21, s21, s37
	s_mul_hi_u32 s42, s7, s37
	s_add_u32 s21, s39, s21
	s_addc_u32 s39, 0, s40
	s_add_u32 s21, s21, s38
	s_mul_i32 s37, s7, s37
	s_addc_u32 s21, s39, s41
	s_addc_u32 s38, s42, 0
	s_add_u32 s21, s21, s37
	s_addc_u32 s37, 0, s38
	v_add_co_u32 v1, s21, v1, s21
	s_delay_alu instid0(VALU_DEP_1) | instskip(SKIP_1) | instid1(VALU_DEP_1)
	s_cmp_lg_u32 s21, 0
	s_addc_u32 s7, s7, s37
	v_readfirstlane_b32 s21, v1
	s_mul_i32 s37, s25, s7
	s_delay_alu instid0(VALU_DEP_1)
	s_mul_hi_u32 s38, s25, s21
	s_mul_i32 s36, s36, s21
	s_add_i32 s37, s38, s37
	s_mul_i32 s25, s25, s21
	s_add_i32 s37, s37, s36
	s_mul_hi_u32 s38, s7, s25
	s_mul_i32 s39, s7, s25
	s_mul_hi_u32 s25, s21, s25
	s_mul_hi_u32 s40, s21, s37
	s_mul_i32 s21, s21, s37
	s_mul_hi_u32 s36, s7, s37
	s_add_u32 s21, s25, s21
	s_addc_u32 s25, 0, s40
	s_add_u32 s21, s21, s39
	s_mul_i32 s37, s7, s37
	s_addc_u32 s21, s25, s38
	s_addc_u32 s25, s36, 0
	s_add_u32 s21, s21, s37
	s_addc_u32 s25, 0, s25
	v_add_co_u32 v1, s21, v1, s21
	s_delay_alu instid0(VALU_DEP_1) | instskip(SKIP_2) | instid1(VALU_DEP_1)
	s_cmp_lg_u32 s21, 0
	s_addc_u32 s7, s7, s25
	s_ashr_i32 s36, s29, 31
	v_readfirstlane_b32 s21, v1
	s_add_u32 s38, s28, s36
	s_mov_b32 s37, s36
	s_addc_u32 s39, s29, s36
	s_delay_alu instid0(SALU_CYCLE_1) | instskip(NEXT) | instid1(SALU_CYCLE_1)
	s_xor_b64 s[38:39], s[38:39], s[36:37]
	s_mul_i32 s40, s38, s7
	s_mul_hi_u32 s41, s38, s21
	s_mul_hi_u32 s25, s38, s7
	;; [unrolled: 1-line block ×3, first 2 shown]
	s_mul_i32 s21, s39, s21
	s_add_u32 s40, s41, s40
	s_addc_u32 s25, 0, s25
	s_mul_hi_u32 s42, s39, s7
	s_add_u32 s21, s40, s21
	s_mul_i32 s7, s39, s7
	s_addc_u32 s21, s25, s43
	s_addc_u32 s25, s42, 0
	s_add_u32 s7, s21, s7
	s_addc_u32 s21, 0, s25
	s_mul_i32 s42, s34, s7
	s_mul_hi_u32 s25, s34, s7
	s_mul_i32 s41, s34, s21
	v_sub_co_u32 v1, s38, s38, s42
	s_mul_i32 s40, s35, s7
	s_add_i32 s25, s25, s41
	s_delay_alu instid0(SALU_CYCLE_1) | instskip(NEXT) | instid1(VALU_DEP_1)
	s_add_i32 s25, s25, s40
	v_sub_co_u32 v2, s41, v1, s34
	s_sub_i32 s40, s39, s25
	s_cmp_lg_u32 s38, 0
	s_subb_u32 s40, s40, s35
	s_cmp_lg_u32 s41, 0
	v_readfirstlane_b32 s41, v2
	s_subb_u32 s40, s40, 0
	s_delay_alu instid0(SALU_CYCLE_1) | instskip(SKIP_1) | instid1(VALU_DEP_1)
	s_cmp_ge_u32 s40, s35
	s_cselect_b32 s42, -1, 0
	s_cmp_ge_u32 s41, s34
	s_cselect_b32 s41, -1, 0
	s_cmp_eq_u32 s40, s35
	s_cselect_b32 s40, s41, s42
	s_add_u32 s41, s7, 1
	s_addc_u32 s42, s21, 0
	s_add_u32 s43, s7, 2
	s_addc_u32 s44, s21, 0
	s_cmp_lg_u32 s40, 0
	s_cselect_b32 s40, s43, s41
	s_cselect_b32 s41, s44, s42
	s_cmp_lg_u32 s38, 0
	v_readfirstlane_b32 s38, v1
	s_subb_u32 s25, s39, s25
	s_delay_alu instid0(SALU_CYCLE_1) | instskip(SKIP_1) | instid1(VALU_DEP_1)
	s_cmp_ge_u32 s25, s35
	s_cselect_b32 s39, -1, 0
	s_cmp_ge_u32 s38, s34
	s_cselect_b32 s34, -1, 0
	s_cmp_eq_u32 s25, s35
	s_cselect_b32 s25, s34, s39
	s_delay_alu instid0(SALU_CYCLE_1) | instskip(SKIP_3) | instid1(SALU_CYCLE_1)
	s_cmp_lg_u32 s25, 0
	s_cselect_b32 s35, s41, s21
	s_cselect_b32 s34, s40, s7
	s_xor_b64 s[22:23], s[36:37], s[22:23]
	s_xor_b64 s[34:35], s[34:35], s[22:23]
	s_delay_alu instid0(SALU_CYCLE_1)
	s_sub_u32 s22, s34, s22
	s_subb_u32 s23, s35, s23
	s_and_not1_b32 vcc_lo, exec_lo, s24
	s_cbranch_vccnz .LBB90_7
.LBB90_6:
	v_cvt_f32_u32_e32 v1, s30
	s_sub_i32 s21, 0, s30
	s_delay_alu instid0(VALU_DEP_1) | instskip(SKIP_2) | instid1(VALU_DEP_1)
	v_rcp_iflag_f32_e32 v1, v1
	s_waitcnt_depctr 0xfff
	v_mul_f32_e32 v1, 0x4f7ffffe, v1
	v_cvt_u32_f32_e32 v1, v1
	s_delay_alu instid0(VALU_DEP_1) | instskip(NEXT) | instid1(VALU_DEP_1)
	v_readfirstlane_b32 s7, v1
	s_mul_i32 s21, s21, s7
	s_delay_alu instid0(SALU_CYCLE_1) | instskip(NEXT) | instid1(SALU_CYCLE_1)
	s_mul_hi_u32 s21, s7, s21
	s_add_i32 s7, s7, s21
	s_delay_alu instid0(SALU_CYCLE_1) | instskip(NEXT) | instid1(SALU_CYCLE_1)
	s_mul_hi_u32 s7, s28, s7
	s_mul_i32 s21, s7, s30
	s_add_i32 s22, s7, 1
	s_sub_i32 s21, s28, s21
	s_delay_alu instid0(SALU_CYCLE_1)
	s_sub_i32 s23, s21, s30
	s_cmp_ge_u32 s21, s30
	s_cselect_b32 s7, s22, s7
	s_cselect_b32 s21, s23, s21
	s_add_i32 s22, s7, 1
	s_cmp_ge_u32 s21, s30
	s_mov_b32 s23, 0
	s_cselect_b32 s22, s22, s7
.LBB90_7:
	s_load_b64 s[24:25], s[0:1], 0x78
	s_mul_i32 s7, s22, s31
	s_mul_hi_u32 s21, s22, s30
	s_mul_i32 s31, s23, s4
	s_add_i32 s7, s21, s7
	s_mul_i32 s21, s23, s30
	s_mul_i32 s30, s22, s30
	s_add_i32 s21, s7, s21
	s_sub_u32 s7, s28, s30
	s_subb_u32 s21, s29, s21
	s_mul_hi_u32 s30, s22, s4
	s_mul_i32 s34, s22, s4
	s_mul_hi_u32 s29, s7, s5
	s_mul_i32 s23, s21, s5
	s_mul_i32 s28, s7, s5
	s_mov_b32 s35, exec_lo
	v_cmpx_gt_i32_e64 s20, v0
	s_cbranch_execz .LBB90_46
; %bb.8:
	s_load_b32 s38, s[0:1], 0x8c
	s_mul_i32 s9, s16, s9
	s_mul_hi_u32 s37, s16, s8
	s_mul_i32 s36, s16, s8
	s_add_i32 s37, s37, s9
	s_ashr_i32 s21, s20, 31
	s_lshl_b64 s[40:41], s[36:37], 2
	s_waitcnt lgkmcnt(0)
	s_load_b32 s8, s[24:25], 0x0
	s_add_u32 s9, s12, s40
	s_addc_u32 s36, s13, s41
	s_ashr_i32 s37, s4, 31
	s_ashr_i32 s39, s5, 31
	s_mul_i32 s37, s22, s37
	s_mul_i32 s39, s7, s39
	s_add_i32 s37, s30, s37
	s_add_i32 s39, s29, s39
	;; [unrolled: 1-line block ×3, first 2 shown]
	s_lshl_b64 s[42:43], s[20:21], 2
	s_ashr_i32 s44, s6, 31
	s_add_i32 s39, s39, s23
	s_and_b32 s37, s38, 0xffff
	v_dual_mov_b32 v2, 0 :: v_dual_lshlrev_b32 v9, 2, v0
	s_lshl_b32 s38, s37, 2
	s_add_u32 s26, s26, s42
	s_addc_u32 s27, s27, s43
	s_add_u32 s26, s2, s26
	s_addc_u32 s3, s3, s27
	;; [unrolled: 2-line block ×7, first 2 shown]
	v_add_co_u32 v3, s2, s2, v0
	s_delay_alu instid0(VALU_DEP_1)
	v_add_co_ci_u32_e64 v4, null, s27, 0, s2
	v_mov_b32_e32 v10, v0
	s_mov_b32 s27, 0
	s_branch .LBB90_10
.LBB90_9:                               ;   in Loop: Header=BB90_10 Depth=1
	s_or_b32 exec_lo, exec_lo, s2
	v_add_nc_u32_e32 v10, s37, v10
	v_add_co_u32 v7, vcc_lo, v3, s20
	s_add_u32 s17, s17, s38
	s_addc_u32 s33, s33, 0
	v_add_co_ci_u32_e32 v8, vcc_lo, s21, v4, vcc_lo
	s_add_u32 s26, s26, s38
	s_addc_u32 s3, s3, 0
	v_cmp_le_i32_e32 vcc_lo, s20, v10
	v_add_co_u32 v3, s2, v3, s37
	s_add_u32 s12, s12, s38
	s_addc_u32 s13, s13, 0
	v_add_co_ci_u32_e64 v4, s2, 0, v4, s2
	s_add_u32 s9, s9, s38
	s_addc_u32 s36, s36, 0
	s_or_b32 s27, vcc_lo, s27
	global_store_b8 v[7:8], v6, off
	s_and_not1_b32 exec_lo, exec_lo, s27
	s_cbranch_execz .LBB90_46
.LBB90_10:                              ; =>This Inner Loop Header: Depth=1
	v_add_co_u32 v5, s2, s26, v9
	s_delay_alu instid0(VALU_DEP_1) | instskip(SKIP_1) | instid1(VALU_DEP_1)
	v_add_co_ci_u32_e64 v6, null, s3, 0, s2
	v_add_co_u32 v7, s2, s17, v9
	v_add_co_ci_u32_e64 v8, null, s33, 0, s2
	v_add_co_u32 v13, s2, s12, v9
	s_delay_alu instid0(VALU_DEP_1) | instskip(SKIP_1) | instid1(VALU_DEP_1)
	v_add_co_ci_u32_e64 v14, null, s13, 0, s2
	v_add_co_u32 v15, s2, s9, v9
	v_add_co_ci_u32_e64 v16, null, s36, 0, s2
	global_load_b32 v1, v[5:6], off
	global_load_b32 v11, v[13:14], off
	;; [unrolled: 1-line block ×4, first 2 shown]
	s_waitcnt vmcnt(2)
	v_mul_f32_e32 v5, v1, v11
	s_waitcnt vmcnt(1)
	v_mul_f32_e32 v11, v7, v11
	s_waitcnt vmcnt(0)
	s_delay_alu instid0(VALU_DEP_2) | instskip(NEXT) | instid1(VALU_DEP_2)
	v_fma_f32 v18, v7, v17, -v5
	v_fmac_f32_e32 v11, v1, v17
	global_store_b32 v[15:16], v18, off
	global_store_b32 v[13:14], v11, off
	v_lshlrev_b32_e32 v5, 16, v18
	s_waitcnt lgkmcnt(0)
	s_delay_alu instid0(VALU_DEP_1) | instskip(NEXT) | instid1(VALU_DEP_1)
	v_div_scale_f32 v6, null, s8, s8, v5
	v_rcp_f32_e32 v8, v6
	s_waitcnt_depctr 0xfff
	v_fma_f32 v12, -v6, v8, 1.0
	s_delay_alu instid0(VALU_DEP_1) | instskip(SKIP_1) | instid1(VALU_DEP_1)
	v_fmac_f32_e32 v8, v12, v8
	v_div_scale_f32 v12, vcc_lo, v5, s8, v5
	v_mul_f32_e32 v19, v12, v8
	s_delay_alu instid0(VALU_DEP_1) | instskip(NEXT) | instid1(VALU_DEP_1)
	v_fma_f32 v20, -v6, v19, v12
	v_fmac_f32_e32 v19, v20, v8
	s_delay_alu instid0(VALU_DEP_1) | instskip(NEXT) | instid1(VALU_DEP_1)
	v_fma_f32 v6, -v6, v19, v12
	v_div_fmas_f32 v6, v6, v8, v19
	v_mov_b32_e32 v8, v2
	s_delay_alu instid0(VALU_DEP_2) | instskip(NEXT) | instid1(VALU_DEP_1)
	v_div_fixup_f32 v5, v6, s8, v5
	v_lshrrev_b32_e32 v6, 24, v5
	v_and_b32_e32 v7, 0x7f800000, v5
	v_and_b32_e32 v1, 0x7fffff, v5
	s_delay_alu instid0(VALU_DEP_3) | instskip(NEXT) | instid1(VALU_DEP_3)
	v_and_b32_e32 v12, 0x80, v6
	v_cmp_ne_u64_e32 vcc_lo, 0x7f800000, v[7:8]
	s_delay_alu instid0(VALU_DEP_2) | instskip(SKIP_1) | instid1(SALU_CYCLE_1)
	v_or_b32_e32 v7, 0x7e, v12
	s_and_saveexec_b32 s2, vcc_lo
	s_xor_b32 s39, exec_lo, s2
	s_cbranch_execz .LBB90_26
; %bb.11:                               ;   in Loop: Header=BB90_10 Depth=1
	v_dual_mov_b32 v14, v2 :: v_dual_and_b32 v13, 0x7fffffff, v5
	s_mov_b32 s2, exec_lo
	s_delay_alu instid0(VALU_DEP_1)
	v_cmpx_gt_u64_e32 0x43e00001, v[13:14]
	s_xor_b32 s40, exec_lo, s2
	s_cbranch_execz .LBB90_25
; %bb.12:                               ;   in Loop: Header=BB90_10 Depth=1
	v_mov_b32_e32 v7, 0
	s_mov_b32 s41, exec_lo
	v_cmpx_ne_u32_e32 0, v5
	s_cbranch_execz .LBB90_24
; %bb.13:                               ;   in Loop: Header=BB90_10 Depth=1
	v_bfe_u32 v13, v5, 23, 8
	v_or_b32_e32 v7, 0x800000, v1
	s_delay_alu instid0(VALU_DEP_2) | instskip(SKIP_1) | instid1(VALU_DEP_2)
	v_sub_nc_u32_e32 v5, 0x79, v13
	v_cmp_gt_u32_e32 vcc_lo, 0x7a, v13
	v_cndmask_b32_e32 v5, 0, v5, vcc_lo
	v_cmp_eq_u32_e32 vcc_lo, 0, v13
	s_delay_alu instid0(VALU_DEP_2) | instskip(SKIP_1) | instid1(VALU_DEP_2)
	v_cndmask_b32_e64 v14, v5, 0x78, vcc_lo
	v_cndmask_b32_e32 v1, v7, v1, vcc_lo
	v_add_nc_u32_e32 v5, 20, v14
	v_add_nc_u32_e32 v7, 19, v14
	s_delay_alu instid0(VALU_DEP_2) | instskip(NEXT) | instid1(VALU_DEP_2)
	v_lshlrev_b64 v[5:6], v5, -1
	v_lshlrev_b64 v[7:8], v7, 1
	s_delay_alu instid0(VALU_DEP_2) | instskip(NEXT) | instid1(VALU_DEP_3)
	v_not_b32_e32 v6, v6
	v_not_b32_e32 v5, v5
	s_delay_alu instid0(VALU_DEP_2) | instskip(NEXT) | instid1(VALU_DEP_2)
	v_and_b32_e32 v16, 0, v6
	v_and_b32_e32 v15, v1, v5
	v_lshrrev_b64 v[5:6], v14, v[1:2]
	s_delay_alu instid0(VALU_DEP_2) | instskip(NEXT) | instid1(VALU_DEP_2)
	v_cmp_eq_u64_e64 s2, v[15:16], v[7:8]
	v_dual_mov_b32 v8, v6 :: v_dual_mov_b32 v7, v5
	s_delay_alu instid0(VALU_DEP_2)
	s_and_saveexec_b32 s42, s2
; %bb.14:                               ;   in Loop: Header=BB90_10 Depth=1
	v_bfe_u32 v1, v5, 20, 1
	s_delay_alu instid0(VALU_DEP_1) | instskip(NEXT) | instid1(VALU_DEP_1)
	v_add_co_u32 v1, s2, v5, v1
	v_add_co_u32 v7, s2, v1, -1
; %bb.15:                               ;   in Loop: Header=BB90_10 Depth=1
	s_or_b32 exec_lo, exec_lo, s42
	v_add_nc_u32_e32 v1, 0xffffff81, v13
	v_lshrrev_b32_e32 v8, 23, v5
	s_mov_b32 s2, exec_lo
	s_delay_alu instid0(VALU_DEP_2) | instskip(NEXT) | instid1(VALU_DEP_1)
	v_cndmask_b32_e64 v1, v1, 0xffffff82, vcc_lo
	v_add3_u32 v8, v14, v1, v8
	v_and_b32_e32 v1, 0xfffff, v7
	s_delay_alu instid0(VALU_DEP_2) | instskip(NEXT) | instid1(VALU_DEP_2)
	v_add_nc_u32_e32 v7, 6, v8
	v_add_co_u32 v5, vcc_lo, v1, v5
	v_add_co_ci_u32_e32 v6, vcc_lo, 0, v6, vcc_lo
                                        ; implicit-def: $vgpr1
	s_delay_alu instid0(VALU_DEP_3)
	v_cmpx_ne_u32_e32 0, v7
	s_xor_b32 s2, exec_lo, s2
; %bb.16:                               ;   in Loop: Header=BB90_10 Depth=1
	s_delay_alu instid0(VALU_DEP_2) | instskip(SKIP_1) | instid1(VALU_DEP_1)
	v_cmp_lt_u64_e32 vcc_lo, 0xffffff, v[5:6]
	v_add_nc_u32_e32 v1, 7, v8
	v_cndmask_b32_e32 v1, v7, v1, vcc_lo
	v_cndmask_b32_e64 v7, 0, 1, vcc_lo
	s_delay_alu instid0(VALU_DEP_1)
	v_lshrrev_b64 v[5:6], v7, v[5:6]
; %bb.17:                               ;   in Loop: Header=BB90_10 Depth=1
	s_and_not1_saveexec_b32 s2, s2
; %bb.18:                               ;   in Loop: Header=BB90_10 Depth=1
	s_delay_alu instid0(VALU_DEP_1)
	v_bfe_u32 v1, v5, 23, 1
; %bb.19:                               ;   in Loop: Header=BB90_10 Depth=1
	s_or_b32 exec_lo, exec_lo, s2
	s_delay_alu instid0(VALU_DEP_2) | instskip(NEXT) | instid1(VALU_DEP_2)
	v_lshrrev_b64 v[5:6], 20, v[5:6]
	v_cmp_gt_i32_e32 vcc_lo, 16, v1
	v_cmp_ne_u32_e64 s2, 0, v1
                                        ; implicit-def: $vgpr7
	s_delay_alu instid0(VALU_DEP_3) | instskip(NEXT) | instid1(VALU_DEP_1)
	v_dual_cndmask_b32 v6, 0, v6 :: v_dual_cndmask_b32 v5, 7, v5
	v_cmp_ne_u64_e32 vcc_lo, 0, v[5:6]
	s_delay_alu instid0(VALU_DEP_3) | instskip(NEXT) | instid1(SALU_CYCLE_1)
	s_or_b32 s2, s2, vcc_lo
	s_and_saveexec_b32 s42, s2
	s_delay_alu instid0(SALU_CYCLE_1)
	s_xor_b32 s2, exec_lo, s42
; %bb.20:                               ;   in Loop: Header=BB90_10 Depth=1
	v_min_i32_e32 v1, 15, v1
	s_delay_alu instid0(VALU_DEP_1) | instskip(NEXT) | instid1(VALU_DEP_1)
	v_lshl_or_b32 v1, v1, 3, v12
                                        ; implicit-def: $vgpr12
	v_and_or_b32 v7, v5, 7, v1
; %bb.21:                               ;   in Loop: Header=BB90_10 Depth=1
	s_and_not1_saveexec_b32 s2, s2
; %bb.22:                               ;   in Loop: Header=BB90_10 Depth=1
	v_mov_b32_e32 v7, v12
; %bb.23:                               ;   in Loop: Header=BB90_10 Depth=1
	s_or_b32 exec_lo, exec_lo, s2
.LBB90_24:                              ;   in Loop: Header=BB90_10 Depth=1
	s_delay_alu instid0(SALU_CYCLE_1)
	s_or_b32 exec_lo, exec_lo, s41
.LBB90_25:                              ;   in Loop: Header=BB90_10 Depth=1
	s_and_not1_saveexec_b32 s2, s40
	s_delay_alu instid0(SALU_CYCLE_1)
	s_or_b32 exec_lo, exec_lo, s2
                                        ; implicit-def: $vgpr6
.LBB90_26:                              ;   in Loop: Header=BB90_10 Depth=1
	s_and_not1_saveexec_b32 s2, s39
; %bb.27:                               ;   in Loop: Header=BB90_10 Depth=1
	v_cmp_eq_u64_e32 vcc_lo, 0, v[1:2]
	v_or_b32_e32 v5, 0x7f, v6
	s_delay_alu instid0(VALU_DEP_1)
	v_cndmask_b32_e32 v7, v5, v7, vcc_lo
; %bb.28:                               ;   in Loop: Header=BB90_10 Depth=1
	s_or_b32 exec_lo, exec_lo, s2
	v_lshlrev_b32_e32 v1, 16, v11
	v_mov_b32_e32 v13, v2
	global_store_b8 v[3:4], v7, off
	s_mov_b32 s2, exec_lo
	v_div_scale_f32 v5, null, s8, s8, v1
	s_delay_alu instid0(VALU_DEP_1) | instskip(SKIP_2) | instid1(VALU_DEP_1)
	v_rcp_f32_e32 v6, v5
	s_waitcnt_depctr 0xfff
	v_fma_f32 v8, -v5, v6, 1.0
	v_fmac_f32_e32 v6, v8, v6
	v_div_scale_f32 v8, vcc_lo, v1, s8, v1
	s_delay_alu instid0(VALU_DEP_1) | instskip(NEXT) | instid1(VALU_DEP_1)
	v_mul_f32_e32 v11, v8, v6
	v_fma_f32 v12, -v5, v11, v8
	s_delay_alu instid0(VALU_DEP_1) | instskip(NEXT) | instid1(VALU_DEP_1)
	v_fmac_f32_e32 v11, v12, v6
	v_fma_f32 v5, -v5, v11, v8
	s_delay_alu instid0(VALU_DEP_1) | instskip(NEXT) | instid1(VALU_DEP_1)
	v_div_fmas_f32 v5, v5, v6, v11
	v_div_fixup_f32 v5, v5, s8, v1
	s_delay_alu instid0(VALU_DEP_1) | instskip(SKIP_2) | instid1(VALU_DEP_2)
	v_and_b32_e32 v12, 0x7f800000, v5
	v_lshrrev_b32_e32 v8, 24, v5
	v_and_b32_e32 v1, 0x7fffff, v5
	v_and_b32_e32 v11, 0x80, v8
	s_delay_alu instid0(VALU_DEP_1)
	v_or_b32_e32 v6, 0x7e, v11
	v_cmpx_ne_u64_e32 0x7f800000, v[12:13]
	s_xor_b32 s39, exec_lo, s2
	s_cbranch_execz .LBB90_44
; %bb.29:                               ;   in Loop: Header=BB90_10 Depth=1
	v_dual_mov_b32 v8, v2 :: v_dual_and_b32 v7, 0x7fffffff, v5
	s_mov_b32 s2, exec_lo
	s_delay_alu instid0(VALU_DEP_1)
	v_cmpx_gt_u64_e32 0x43e00001, v[7:8]
	s_xor_b32 s40, exec_lo, s2
	s_cbranch_execz .LBB90_43
; %bb.30:                               ;   in Loop: Header=BB90_10 Depth=1
	v_mov_b32_e32 v6, 0
	s_mov_b32 s41, exec_lo
	v_cmpx_ne_u32_e32 0, v5
	s_cbranch_execz .LBB90_42
; %bb.31:                               ;   in Loop: Header=BB90_10 Depth=1
	v_bfe_u32 v12, v5, 23, 8
	v_or_b32_e32 v7, 0x800000, v1
	s_delay_alu instid0(VALU_DEP_2) | instskip(SKIP_1) | instid1(VALU_DEP_2)
	v_sub_nc_u32_e32 v5, 0x79, v12
	v_cmp_gt_u32_e32 vcc_lo, 0x7a, v12
	v_cndmask_b32_e32 v5, 0, v5, vcc_lo
	v_cmp_eq_u32_e32 vcc_lo, 0, v12
	s_delay_alu instid0(VALU_DEP_2) | instskip(SKIP_1) | instid1(VALU_DEP_2)
	v_cndmask_b32_e64 v13, v5, 0x78, vcc_lo
	v_cndmask_b32_e32 v1, v7, v1, vcc_lo
	v_add_nc_u32_e32 v5, 20, v13
	v_add_nc_u32_e32 v7, 19, v13
	s_delay_alu instid0(VALU_DEP_2) | instskip(NEXT) | instid1(VALU_DEP_2)
	v_lshlrev_b64 v[5:6], v5, -1
	v_lshlrev_b64 v[7:8], v7, 1
	s_delay_alu instid0(VALU_DEP_2) | instskip(NEXT) | instid1(VALU_DEP_3)
	v_not_b32_e32 v6, v6
	v_not_b32_e32 v5, v5
	s_delay_alu instid0(VALU_DEP_2) | instskip(NEXT) | instid1(VALU_DEP_2)
	v_and_b32_e32 v15, 0, v6
	v_and_b32_e32 v14, v1, v5
	v_lshrrev_b64 v[5:6], v13, v[1:2]
	s_delay_alu instid0(VALU_DEP_2) | instskip(NEXT) | instid1(VALU_DEP_2)
	v_cmp_eq_u64_e64 s2, v[14:15], v[7:8]
	v_dual_mov_b32 v8, v6 :: v_dual_mov_b32 v7, v5
	s_delay_alu instid0(VALU_DEP_2)
	s_and_saveexec_b32 s42, s2
; %bb.32:                               ;   in Loop: Header=BB90_10 Depth=1
	v_bfe_u32 v1, v5, 20, 1
	s_delay_alu instid0(VALU_DEP_1) | instskip(NEXT) | instid1(VALU_DEP_1)
	v_add_co_u32 v1, s2, v5, v1
	v_add_co_u32 v7, s2, v1, -1
; %bb.33:                               ;   in Loop: Header=BB90_10 Depth=1
	s_or_b32 exec_lo, exec_lo, s42
	v_add_nc_u32_e32 v1, 0xffffff81, v12
	v_lshrrev_b32_e32 v8, 23, v5
	s_mov_b32 s2, exec_lo
	s_delay_alu instid0(VALU_DEP_2) | instskip(NEXT) | instid1(VALU_DEP_1)
	v_cndmask_b32_e64 v1, v1, 0xffffff82, vcc_lo
	v_add3_u32 v8, v13, v1, v8
	v_and_b32_e32 v1, 0xfffff, v7
	s_delay_alu instid0(VALU_DEP_2) | instskip(NEXT) | instid1(VALU_DEP_2)
	v_add_nc_u32_e32 v7, 6, v8
	v_add_co_u32 v5, vcc_lo, v1, v5
	v_add_co_ci_u32_e32 v6, vcc_lo, 0, v6, vcc_lo
                                        ; implicit-def: $vgpr1
	s_delay_alu instid0(VALU_DEP_3)
	v_cmpx_ne_u32_e32 0, v7
	s_xor_b32 s2, exec_lo, s2
; %bb.34:                               ;   in Loop: Header=BB90_10 Depth=1
	s_delay_alu instid0(VALU_DEP_2) | instskip(SKIP_1) | instid1(VALU_DEP_1)
	v_cmp_lt_u64_e32 vcc_lo, 0xffffff, v[5:6]
	v_add_nc_u32_e32 v1, 7, v8
	v_cndmask_b32_e32 v1, v7, v1, vcc_lo
	v_cndmask_b32_e64 v7, 0, 1, vcc_lo
	s_delay_alu instid0(VALU_DEP_1)
	v_lshrrev_b64 v[5:6], v7, v[5:6]
; %bb.35:                               ;   in Loop: Header=BB90_10 Depth=1
	s_and_not1_saveexec_b32 s2, s2
; %bb.36:                               ;   in Loop: Header=BB90_10 Depth=1
	s_delay_alu instid0(VALU_DEP_1)
	v_bfe_u32 v1, v5, 23, 1
; %bb.37:                               ;   in Loop: Header=BB90_10 Depth=1
	s_or_b32 exec_lo, exec_lo, s2
	s_delay_alu instid0(VALU_DEP_2) | instskip(NEXT) | instid1(VALU_DEP_2)
	v_lshrrev_b64 v[5:6], 20, v[5:6]
	v_cmp_gt_i32_e32 vcc_lo, 16, v1
	v_cmp_ne_u32_e64 s2, 0, v1
	s_delay_alu instid0(VALU_DEP_3) | instskip(NEXT) | instid1(VALU_DEP_1)
	v_dual_cndmask_b32 v6, 0, v6 :: v_dual_cndmask_b32 v5, 7, v5
	v_cmp_ne_u64_e32 vcc_lo, 0, v[5:6]
                                        ; implicit-def: $vgpr6
	s_delay_alu instid0(VALU_DEP_3) | instskip(NEXT) | instid1(SALU_CYCLE_1)
	s_or_b32 s2, s2, vcc_lo
	s_and_saveexec_b32 s42, s2
	s_delay_alu instid0(SALU_CYCLE_1)
	s_xor_b32 s2, exec_lo, s42
; %bb.38:                               ;   in Loop: Header=BB90_10 Depth=1
	v_min_i32_e32 v1, 15, v1
	s_delay_alu instid0(VALU_DEP_1) | instskip(NEXT) | instid1(VALU_DEP_1)
	v_lshl_or_b32 v1, v1, 3, v11
                                        ; implicit-def: $vgpr11
	v_and_or_b32 v6, v5, 7, v1
; %bb.39:                               ;   in Loop: Header=BB90_10 Depth=1
	s_and_not1_saveexec_b32 s2, s2
; %bb.40:                               ;   in Loop: Header=BB90_10 Depth=1
	v_mov_b32_e32 v6, v11
; %bb.41:                               ;   in Loop: Header=BB90_10 Depth=1
	s_or_b32 exec_lo, exec_lo, s2
.LBB90_42:                              ;   in Loop: Header=BB90_10 Depth=1
	s_delay_alu instid0(SALU_CYCLE_1)
	s_or_b32 exec_lo, exec_lo, s41
.LBB90_43:                              ;   in Loop: Header=BB90_10 Depth=1
	s_and_not1_saveexec_b32 s2, s40
	s_delay_alu instid0(SALU_CYCLE_1)
	s_or_b32 exec_lo, exec_lo, s2
                                        ; implicit-def: $vgpr8
.LBB90_44:                              ;   in Loop: Header=BB90_10 Depth=1
	s_and_not1_saveexec_b32 s2, s39
	s_cbranch_execz .LBB90_9
; %bb.45:                               ;   in Loop: Header=BB90_10 Depth=1
	v_cmp_eq_u64_e32 vcc_lo, 0, v[1:2]
	v_or_b32_e32 v5, 0x7f, v8
	s_delay_alu instid0(VALU_DEP_1)
	v_cndmask_b32_e32 v6, v5, v6, vcc_lo
	s_branch .LBB90_9
.LBB90_46:
	s_or_b32 exec_lo, exec_lo, s35
	s_delay_alu instid0(SALU_CYCLE_1)
	s_mov_b32 s2, exec_lo
	v_cmpx_gt_i32_e64 s6, v0
	s_cbranch_execz .LBB90_67
; %bb.47:
	s_mul_i32 s3, s16, s11
	s_mul_hi_u32 s8, s16, s10
	s_mul_i32 s2, s16, s10
	s_add_i32 s3, s8, s3
	s_load_b32 s0, s[0:1], 0x8c
	s_lshl_b64 s[2:3], s[2:3], 2
	v_mov_b32_e32 v3, 0
	s_add_u32 s1, s14, s2
	s_addc_u32 s2, s15, s3
	s_waitcnt lgkmcnt(0)
	s_load_b32 s3, s[24:25], 0x0
	s_ashr_i32 s4, s4, 31
	s_delay_alu instid0(SALU_CYCLE_1) | instskip(NEXT) | instid1(SALU_CYCLE_1)
	s_mul_i32 s4, s22, s4
	s_add_i32 s4, s30, s4
	s_delay_alu instid0(SALU_CYCLE_1) | instskip(SKIP_3) | instid1(SALU_CYCLE_1)
	s_add_i32 s4, s4, s31
	s_add_u32 s8, s18, s34
	s_addc_u32 s9, s19, s4
	s_ashr_i32 s4, s5, 31
	s_mul_i32 s7, s7, s4
	s_delay_alu instid0(SALU_CYCLE_1) | instskip(NEXT) | instid1(SALU_CYCLE_1)
	s_add_i32 s4, s29, s7
	s_add_i32 s5, s4, s23
	s_add_u32 s4, s8, s28
	s_addc_u32 s5, s9, s5
	s_and_b32 s7, s0, 0xffff
	s_mov_b32 s8, 0
	s_branch .LBB90_49
.LBB90_48:                              ;   in Loop: Header=BB90_49 Depth=1
	s_or_b32 exec_lo, exec_lo, s0
	v_add_co_u32 v6, vcc_lo, s4, v0
	v_add_nc_u32_e32 v0, s7, v0
	v_add_co_ci_u32_e32 v7, vcc_lo, s5, v1, vcc_lo
	s_delay_alu instid0(VALU_DEP_2) | instskip(SKIP_2) | instid1(SALU_CYCLE_1)
	v_cmp_le_i32_e32 vcc_lo, s6, v0
	global_store_b8 v[6:7], v5, off
	s_or_b32 s8, vcc_lo, s8
	s_and_not1_b32 exec_lo, exec_lo, s8
	s_cbranch_execz .LBB90_67
.LBB90_49:                              ; =>This Inner Loop Header: Depth=1
	v_ashrrev_i32_e32 v1, 31, v0
	s_mov_b32 s0, exec_lo
	v_mov_b32_e32 v10, v3
	s_delay_alu instid0(VALU_DEP_2) | instskip(NEXT) | instid1(VALU_DEP_1)
	v_lshlrev_b64 v[4:5], 2, v[0:1]
	v_add_co_u32 v4, vcc_lo, s1, v4
	s_delay_alu instid0(VALU_DEP_2) | instskip(SKIP_4) | instid1(VALU_DEP_1)
	v_add_co_ci_u32_e32 v5, vcc_lo, s2, v5, vcc_lo
	global_load_u16 v2, v[4:5], off
	s_waitcnt vmcnt(0)
	v_lshlrev_b32_e32 v2, 16, v2
	s_waitcnt lgkmcnt(0)
	v_div_scale_f32 v4, null, s3, s3, v2
	s_delay_alu instid0(VALU_DEP_1) | instskip(SKIP_2) | instid1(VALU_DEP_1)
	v_rcp_f32_e32 v5, v4
	s_waitcnt_depctr 0xfff
	v_fma_f32 v6, -v4, v5, 1.0
	v_fmac_f32_e32 v5, v6, v5
	v_div_scale_f32 v6, vcc_lo, v2, s3, v2
	s_delay_alu instid0(VALU_DEP_1) | instskip(NEXT) | instid1(VALU_DEP_1)
	v_mul_f32_e32 v7, v6, v5
	v_fma_f32 v8, -v4, v7, v6
	s_delay_alu instid0(VALU_DEP_1) | instskip(NEXT) | instid1(VALU_DEP_1)
	v_fmac_f32_e32 v7, v8, v5
	v_fma_f32 v4, -v4, v7, v6
	s_delay_alu instid0(VALU_DEP_1) | instskip(NEXT) | instid1(VALU_DEP_1)
	v_div_fmas_f32 v4, v4, v5, v7
	v_div_fixup_f32 v4, v4, s3, v2
	s_delay_alu instid0(VALU_DEP_1) | instskip(SKIP_2) | instid1(VALU_DEP_3)
	v_lshrrev_b32_e32 v6, 24, v4
	v_and_b32_e32 v9, 0x7f800000, v4
	v_and_b32_e32 v2, 0x7fffff, v4
	;; [unrolled: 1-line block ×3, first 2 shown]
	s_delay_alu instid0(VALU_DEP_1) | instskip(NEXT) | instid1(VALU_DEP_4)
	v_or_b32_e32 v5, 0x7e, v8
	v_cmpx_ne_u64_e32 0x7f800000, v[9:10]
	s_xor_b32 s9, exec_lo, s0
	s_cbranch_execz .LBB90_65
; %bb.50:                               ;   in Loop: Header=BB90_49 Depth=1
	v_dual_mov_b32 v7, v3 :: v_dual_and_b32 v6, 0x7fffffff, v4
	s_mov_b32 s0, exec_lo
	s_delay_alu instid0(VALU_DEP_1)
	v_cmpx_gt_u64_e32 0x43e00001, v[6:7]
	s_xor_b32 s10, exec_lo, s0
	s_cbranch_execz .LBB90_64
; %bb.51:                               ;   in Loop: Header=BB90_49 Depth=1
	v_mov_b32_e32 v5, 0
	s_mov_b32 s11, exec_lo
	v_cmpx_ne_u32_e32 0, v4
	s_cbranch_execz .LBB90_63
; %bb.52:                               ;   in Loop: Header=BB90_49 Depth=1
	v_bfe_u32 v9, v4, 23, 8
	v_or_b32_e32 v6, 0x800000, v2
	s_delay_alu instid0(VALU_DEP_2) | instskip(SKIP_1) | instid1(VALU_DEP_2)
	v_sub_nc_u32_e32 v4, 0x79, v9
	v_cmp_gt_u32_e32 vcc_lo, 0x7a, v9
	v_cndmask_b32_e32 v4, 0, v4, vcc_lo
	v_cmp_eq_u32_e32 vcc_lo, 0, v9
	s_delay_alu instid0(VALU_DEP_2) | instskip(SKIP_1) | instid1(VALU_DEP_2)
	v_cndmask_b32_e64 v10, v4, 0x78, vcc_lo
	v_cndmask_b32_e32 v2, v6, v2, vcc_lo
	v_add_nc_u32_e32 v4, 20, v10
	v_add_nc_u32_e32 v6, 19, v10
	s_delay_alu instid0(VALU_DEP_2) | instskip(NEXT) | instid1(VALU_DEP_2)
	v_lshlrev_b64 v[4:5], v4, -1
	v_lshlrev_b64 v[6:7], v6, 1
	s_delay_alu instid0(VALU_DEP_2) | instskip(NEXT) | instid1(VALU_DEP_3)
	v_not_b32_e32 v5, v5
	v_not_b32_e32 v4, v4
	s_delay_alu instid0(VALU_DEP_2) | instskip(NEXT) | instid1(VALU_DEP_2)
	v_and_b32_e32 v12, 0, v5
	v_and_b32_e32 v11, v2, v4
	v_lshrrev_b64 v[4:5], v10, v[2:3]
	s_delay_alu instid0(VALU_DEP_2) | instskip(NEXT) | instid1(VALU_DEP_2)
	v_cmp_eq_u64_e64 s0, v[11:12], v[6:7]
	v_dual_mov_b32 v7, v5 :: v_dual_mov_b32 v6, v4
	s_delay_alu instid0(VALU_DEP_2)
	s_and_saveexec_b32 s12, s0
; %bb.53:                               ;   in Loop: Header=BB90_49 Depth=1
	v_bfe_u32 v2, v4, 20, 1
	s_delay_alu instid0(VALU_DEP_1) | instskip(NEXT) | instid1(VALU_DEP_1)
	v_add_co_u32 v2, s0, v4, v2
	v_add_co_u32 v6, s0, v2, -1
; %bb.54:                               ;   in Loop: Header=BB90_49 Depth=1
	s_or_b32 exec_lo, exec_lo, s12
	v_add_nc_u32_e32 v2, 0xffffff81, v9
	v_lshrrev_b32_e32 v7, 23, v4
	s_mov_b32 s0, exec_lo
	s_delay_alu instid0(VALU_DEP_2) | instskip(NEXT) | instid1(VALU_DEP_1)
	v_cndmask_b32_e64 v2, v2, 0xffffff82, vcc_lo
	v_add3_u32 v7, v10, v2, v7
	v_and_b32_e32 v2, 0xfffff, v6
	s_delay_alu instid0(VALU_DEP_2) | instskip(NEXT) | instid1(VALU_DEP_2)
	v_add_nc_u32_e32 v6, 6, v7
	v_add_co_u32 v4, vcc_lo, v2, v4
	v_add_co_ci_u32_e32 v5, vcc_lo, 0, v5, vcc_lo
                                        ; implicit-def: $vgpr2
	s_delay_alu instid0(VALU_DEP_3)
	v_cmpx_ne_u32_e32 0, v6
	s_xor_b32 s0, exec_lo, s0
; %bb.55:                               ;   in Loop: Header=BB90_49 Depth=1
	s_delay_alu instid0(VALU_DEP_2) | instskip(SKIP_1) | instid1(VALU_DEP_1)
	v_cmp_lt_u64_e32 vcc_lo, 0xffffff, v[4:5]
	v_add_nc_u32_e32 v2, 7, v7
	v_cndmask_b32_e32 v2, v6, v2, vcc_lo
	v_cndmask_b32_e64 v6, 0, 1, vcc_lo
	s_delay_alu instid0(VALU_DEP_1)
	v_lshrrev_b64 v[4:5], v6, v[4:5]
; %bb.56:                               ;   in Loop: Header=BB90_49 Depth=1
	s_and_not1_saveexec_b32 s0, s0
; %bb.57:                               ;   in Loop: Header=BB90_49 Depth=1
	s_delay_alu instid0(VALU_DEP_1)
	v_bfe_u32 v2, v4, 23, 1
; %bb.58:                               ;   in Loop: Header=BB90_49 Depth=1
	s_or_b32 exec_lo, exec_lo, s0
	s_delay_alu instid0(VALU_DEP_2) | instskip(NEXT) | instid1(VALU_DEP_2)
	v_lshrrev_b64 v[4:5], 20, v[4:5]
	v_cmp_gt_i32_e32 vcc_lo, 16, v2
	v_cmp_ne_u32_e64 s0, 0, v2
	s_delay_alu instid0(VALU_DEP_3) | instskip(NEXT) | instid1(VALU_DEP_1)
	v_dual_cndmask_b32 v5, 0, v5 :: v_dual_cndmask_b32 v4, 7, v4
	v_cmp_ne_u64_e32 vcc_lo, 0, v[4:5]
                                        ; implicit-def: $vgpr5
	s_delay_alu instid0(VALU_DEP_3) | instskip(NEXT) | instid1(SALU_CYCLE_1)
	s_or_b32 s0, s0, vcc_lo
	s_and_saveexec_b32 s12, s0
	s_delay_alu instid0(SALU_CYCLE_1)
	s_xor_b32 s0, exec_lo, s12
; %bb.59:                               ;   in Loop: Header=BB90_49 Depth=1
	v_min_i32_e32 v2, 15, v2
	s_delay_alu instid0(VALU_DEP_1) | instskip(NEXT) | instid1(VALU_DEP_1)
	v_lshl_or_b32 v2, v2, 3, v8
                                        ; implicit-def: $vgpr8
	v_and_or_b32 v5, v4, 7, v2
; %bb.60:                               ;   in Loop: Header=BB90_49 Depth=1
	s_and_not1_saveexec_b32 s0, s0
; %bb.61:                               ;   in Loop: Header=BB90_49 Depth=1
	v_mov_b32_e32 v5, v8
; %bb.62:                               ;   in Loop: Header=BB90_49 Depth=1
	s_or_b32 exec_lo, exec_lo, s0
.LBB90_63:                              ;   in Loop: Header=BB90_49 Depth=1
	s_delay_alu instid0(SALU_CYCLE_1)
	s_or_b32 exec_lo, exec_lo, s11
.LBB90_64:                              ;   in Loop: Header=BB90_49 Depth=1
	s_and_not1_saveexec_b32 s0, s10
	s_delay_alu instid0(SALU_CYCLE_1)
	s_or_b32 exec_lo, exec_lo, s0
                                        ; implicit-def: $vgpr6
.LBB90_65:                              ;   in Loop: Header=BB90_49 Depth=1
	s_and_not1_saveexec_b32 s0, s9
	s_cbranch_execz .LBB90_48
; %bb.66:                               ;   in Loop: Header=BB90_49 Depth=1
	v_cmp_eq_u64_e32 vcc_lo, 0, v[2:3]
	v_or_b32_e32 v4, 0x7f, v6
	s_delay_alu instid0(VALU_DEP_1)
	v_cndmask_b32_e32 v5, v4, v5, vcc_lo
	s_branch .LBB90_48
.LBB90_67:
	s_nop 0
	s_sendmsg sendmsg(MSG_DEALLOC_VGPRS)
	s_endpgm
.LBB90_68:
                                        ; implicit-def: $sgpr22_sgpr23
	s_branch .LBB90_6
	.section	.rodata,"a",@progbits
	.p2align	6, 0x0
	.amdhsa_kernel _ZN4vllm38concat_and_cache_mla_rope_fused_kernelIffLb1E14__hip_bfloat16hLNS_18Fp8KVCacheDataTypeE1EEEvPKlPT_S6_PKS5_PKT0_illlliPT3_S4_iiiiPKf
		.amdhsa_group_segment_fixed_size 0
		.amdhsa_private_segment_fixed_size 0
		.amdhsa_kernarg_size 384
		.amdhsa_user_sgpr_count 15
		.amdhsa_user_sgpr_dispatch_ptr 0
		.amdhsa_user_sgpr_queue_ptr 0
		.amdhsa_user_sgpr_kernarg_segment_ptr 1
		.amdhsa_user_sgpr_dispatch_id 0
		.amdhsa_user_sgpr_private_segment_size 0
		.amdhsa_wavefront_size32 1
		.amdhsa_uses_dynamic_stack 0
		.amdhsa_enable_private_segment 0
		.amdhsa_system_sgpr_workgroup_id_x 1
		.amdhsa_system_sgpr_workgroup_id_y 0
		.amdhsa_system_sgpr_workgroup_id_z 0
		.amdhsa_system_sgpr_workgroup_info 0
		.amdhsa_system_vgpr_workitem_id 0
		.amdhsa_next_free_vgpr 21
		.amdhsa_next_free_sgpr 46
		.amdhsa_reserve_vcc 1
		.amdhsa_float_round_mode_32 0
		.amdhsa_float_round_mode_16_64 0
		.amdhsa_float_denorm_mode_32 3
		.amdhsa_float_denorm_mode_16_64 3
		.amdhsa_dx10_clamp 1
		.amdhsa_ieee_mode 1
		.amdhsa_fp16_overflow 0
		.amdhsa_workgroup_processor_mode 1
		.amdhsa_memory_ordered 1
		.amdhsa_forward_progress 0
		.amdhsa_shared_vgpr_count 0
		.amdhsa_exception_fp_ieee_invalid_op 0
		.amdhsa_exception_fp_denorm_src 0
		.amdhsa_exception_fp_ieee_div_zero 0
		.amdhsa_exception_fp_ieee_overflow 0
		.amdhsa_exception_fp_ieee_underflow 0
		.amdhsa_exception_fp_ieee_inexact 0
		.amdhsa_exception_int_div_zero 0
	.end_amdhsa_kernel
	.section	.text._ZN4vllm38concat_and_cache_mla_rope_fused_kernelIffLb1E14__hip_bfloat16hLNS_18Fp8KVCacheDataTypeE1EEEvPKlPT_S6_PKS5_PKT0_illlliPT3_S4_iiiiPKf,"axG",@progbits,_ZN4vllm38concat_and_cache_mla_rope_fused_kernelIffLb1E14__hip_bfloat16hLNS_18Fp8KVCacheDataTypeE1EEEvPKlPT_S6_PKS5_PKT0_illlliPT3_S4_iiiiPKf,comdat
.Lfunc_end90:
	.size	_ZN4vllm38concat_and_cache_mla_rope_fused_kernelIffLb1E14__hip_bfloat16hLNS_18Fp8KVCacheDataTypeE1EEEvPKlPT_S6_PKS5_PKT0_illlliPT3_S4_iiiiPKf, .Lfunc_end90-_ZN4vllm38concat_and_cache_mla_rope_fused_kernelIffLb1E14__hip_bfloat16hLNS_18Fp8KVCacheDataTypeE1EEEvPKlPT_S6_PKS5_PKT0_illlliPT3_S4_iiiiPKf
                                        ; -- End function
	.section	.AMDGPU.csdata,"",@progbits
; Kernel info:
; codeLenInByte = 4392
; NumSgprs: 48
; NumVgprs: 21
; ScratchSize: 0
; MemoryBound: 0
; FloatMode: 240
; IeeeMode: 1
; LDSByteSize: 0 bytes/workgroup (compile time only)
; SGPRBlocks: 5
; VGPRBlocks: 2
; NumSGPRsForWavesPerEU: 48
; NumVGPRsForWavesPerEU: 21
; Occupancy: 16
; WaveLimiterHint : 1
; COMPUTE_PGM_RSRC2:SCRATCH_EN: 0
; COMPUTE_PGM_RSRC2:USER_SGPR: 15
; COMPUTE_PGM_RSRC2:TRAP_HANDLER: 0
; COMPUTE_PGM_RSRC2:TGID_X_EN: 1
; COMPUTE_PGM_RSRC2:TGID_Y_EN: 0
; COMPUTE_PGM_RSRC2:TGID_Z_EN: 0
; COMPUTE_PGM_RSRC2:TIDIG_COMP_CNT: 0
	.section	.text._ZN4vllm38concat_and_cache_mla_rope_fused_kernelIffLb0E14__hip_bfloat16hLNS_18Fp8KVCacheDataTypeE1EEEvPKlPT_S6_PKS5_PKT0_illlliPT3_S4_iiiiPKf,"axG",@progbits,_ZN4vllm38concat_and_cache_mla_rope_fused_kernelIffLb0E14__hip_bfloat16hLNS_18Fp8KVCacheDataTypeE1EEEvPKlPT_S6_PKS5_PKT0_illlliPT3_S4_iiiiPKf,comdat
	.protected	_ZN4vllm38concat_and_cache_mla_rope_fused_kernelIffLb0E14__hip_bfloat16hLNS_18Fp8KVCacheDataTypeE1EEEvPKlPT_S6_PKS5_PKT0_illlliPT3_S4_iiiiPKf ; -- Begin function _ZN4vllm38concat_and_cache_mla_rope_fused_kernelIffLb0E14__hip_bfloat16hLNS_18Fp8KVCacheDataTypeE1EEEvPKlPT_S6_PKS5_PKT0_illlliPT3_S4_iiiiPKf
	.globl	_ZN4vllm38concat_and_cache_mla_rope_fused_kernelIffLb0E14__hip_bfloat16hLNS_18Fp8KVCacheDataTypeE1EEEvPKlPT_S6_PKS5_PKT0_illlliPT3_S4_iiiiPKf
	.p2align	8
	.type	_ZN4vllm38concat_and_cache_mla_rope_fused_kernelIffLb0E14__hip_bfloat16hLNS_18Fp8KVCacheDataTypeE1EEEvPKlPT_S6_PKS5_PKT0_illlliPT3_S4_iiiiPKf,@function
_ZN4vllm38concat_and_cache_mla_rope_fused_kernelIffLb0E14__hip_bfloat16hLNS_18Fp8KVCacheDataTypeE1EEEvPKlPT_S6_PKS5_PKT0_illlliPT3_S4_iiiiPKf: ; @_ZN4vllm38concat_and_cache_mla_rope_fused_kernelIffLb0E14__hip_bfloat16hLNS_18Fp8KVCacheDataTypeE1EEEvPKlPT_S6_PKS5_PKT0_illlliPT3_S4_iiiiPKf
; %bb.0:
	s_load_b64 s[4:5], s[0:1], 0x60
	s_mov_b32 s16, s15
	s_mov_b32 s17, 0
	s_delay_alu instid0(SALU_CYCLE_1)
	s_lshl_b64 s[2:3], s[16:17], 3
	s_waitcnt lgkmcnt(0)
	s_add_u32 s4, s4, s2
	s_addc_u32 s5, s5, s3
	s_load_b64 s[26:27], s[4:5], 0x0
	s_waitcnt lgkmcnt(0)
	v_cmp_lt_i64_e64 s4, s[26:27], 0
	s_delay_alu instid0(VALU_DEP_1)
	s_and_b32 vcc_lo, exec_lo, s4
	s_cbranch_vccnz .LBB91_67
; %bb.1:
	s_clause 0x3
	s_load_b32 s21, s[0:1], 0x28
	s_load_b64 s[4:5], s[0:1], 0x0
	s_load_b128 s[12:15], s[0:1], 0x10
	s_load_b32 s17, s[0:1], 0x50
	v_lshlrev_b32_e32 v3, 1, v0
	s_waitcnt lgkmcnt(0)
	s_ashr_i32 s24, s21, 31
	s_add_u32 s2, s4, s2
	s_addc_u32 s3, s5, s3
	s_lshr_b32 s20, s21, 31
	s_load_b64 s[22:23], s[2:3], 0x0
	s_clause 0x2
	s_load_b64 s[2:3], s[0:1], 0x20
	s_load_b64 s[18:19], s[0:1], 0x58
	s_load_b256 s[4:11], s[0:1], 0x30
	s_add_i32 s20, s21, s20
	s_delay_alu instid0(SALU_CYCLE_1) | instskip(NEXT) | instid1(SALU_CYCLE_1)
	s_ashr_i32 s20, s20, 1
	s_mul_i32 s17, s20, s17
	s_waitcnt lgkmcnt(0)
	s_mul_i32 s24, s22, s24
	s_mul_hi_u32 s25, s22, s21
	s_mul_i32 s23, s23, s21
	s_add_i32 s24, s25, s24
	s_mul_i32 s28, s22, s21
	s_add_i32 s29, s24, s23
	s_mov_b32 s22, exec_lo
	v_cmpx_gt_i32_e64 s17, v0
	s_cbranch_execz .LBB91_4
; %bb.2:
	s_clause 0x1
	s_load_b64 s[30:31], s[0:1], 0x8
	s_load_b32 s34, s[0:1], 0x8c
	s_lshl_b64 s[24:25], s[28:29], 2
	s_mul_i32 s5, s16, s5
	s_mul_hi_u32 s21, s16, s4
	s_add_u32 s23, s2, s24
	s_mul_i32 s4, s16, s4
	s_addc_u32 s24, s3, s25
	s_add_i32 s5, s21, s5
	s_ashr_i32 s21, s20, 31
	s_lshl_b64 s[4:5], s[4:5], 2
	s_mov_b32 s33, 0
	s_waitcnt lgkmcnt(0)
	s_add_u32 s25, s30, s4
	s_addc_u32 s30, s31, s5
	s_abs_i32 s31, s20
	s_and_b32 s34, s34, 0xffff
	v_cvt_f32_u32_e32 v1, s31
	s_sub_i32 s4, 0, s31
	s_sub_i32 s35, 0, s20
	s_lshl_b32 s37, s34, 1
	s_delay_alu instid0(VALU_DEP_1) | instskip(SKIP_2) | instid1(VALU_DEP_1)
	v_rcp_iflag_f32_e32 v1, v1
	s_waitcnt_depctr 0xfff
	v_mul_f32_e32 v1, 0x4f7ffffe, v1
	v_cvt_u32_f32_e32 v2, v1
	s_delay_alu instid0(VALU_DEP_1) | instskip(SKIP_1) | instid1(SALU_CYCLE_1)
	v_mul_lo_u32 v1, s4, v2
	s_lshl_b32 s4, s20, 1
	s_sub_i32 s36, 0, s4
	s_lshl_b64 s[4:5], s[20:21], 2
	s_delay_alu instid0(VALU_DEP_1) | instskip(NEXT) | instid1(VALU_DEP_1)
	v_mul_hi_u32 v4, v2, v1
	v_dual_mov_b32 v1, v3 :: v_dual_add_nc_u32 v4, v2, v4
	v_mov_b32_e32 v2, v0
.LBB91_3:                               ; =>This Inner Loop Header: Depth=1
	s_delay_alu instid0(VALU_DEP_1) | instskip(SKIP_1) | instid1(VALU_DEP_2)
	v_sub_nc_u32_e32 v5, 0, v2
	v_ashrrev_i32_e32 v6, 31, v2
	v_max_i32_e32 v5, v2, v5
	s_delay_alu instid0(VALU_DEP_2) | instskip(NEXT) | instid1(VALU_DEP_2)
	v_xor_b32_e32 v6, s21, v6
	v_mul_hi_u32 v7, v5, v4
	s_delay_alu instid0(VALU_DEP_1) | instskip(SKIP_1) | instid1(VALU_DEP_2)
	v_mul_lo_u32 v8, v7, s31
	v_add_nc_u32_e32 v9, 1, v7
	v_sub_nc_u32_e32 v5, v5, v8
	s_delay_alu instid0(VALU_DEP_1) | instskip(SKIP_1) | instid1(VALU_DEP_4)
	v_subrev_nc_u32_e32 v8, s31, v5
	v_cmp_le_u32_e32 vcc_lo, s31, v5
	v_cndmask_b32_e32 v7, v7, v9, vcc_lo
	s_delay_alu instid0(VALU_DEP_1) | instskip(NEXT) | instid1(VALU_DEP_1)
	v_dual_cndmask_b32 v5, v5, v8 :: v_dual_add_nc_u32 v8, 1, v7
	v_cmp_le_u32_e32 vcc_lo, s31, v5
	s_delay_alu instid0(VALU_DEP_2) | instskip(NEXT) | instid1(VALU_DEP_1)
	v_cndmask_b32_e32 v5, v7, v8, vcc_lo
	v_xor_b32_e32 v5, v5, v6
	s_delay_alu instid0(VALU_DEP_1) | instskip(NEXT) | instid1(VALU_DEP_1)
	v_sub_nc_u32_e32 v11, v5, v6
	v_mad_u64_u32 v[5:6], null, s35, v11, v[2:3]
	v_ashrrev_i32_e32 v6, 31, v11
	v_mul_lo_u32 v12, v11, s7
	v_mad_u64_u32 v[7:8], null, v11, s6, 0
	v_mad_u64_u32 v[9:10], null, s36, v11, v[1:2]
	s_delay_alu instid0(VALU_DEP_4) | instskip(SKIP_3) | instid1(VALU_DEP_3)
	v_mul_lo_u32 v11, v6, s6
	v_ashrrev_i32_e32 v6, 31, v5
	v_add_nc_u32_e32 v2, s34, v2
	v_add_nc_u32_e32 v1, s37, v1
	v_lshlrev_b64 v[5:6], 2, v[5:6]
	v_ashrrev_i32_e32 v10, 31, v9
	v_add3_u32 v8, v8, v12, v11
	s_delay_alu instid0(VALU_DEP_3) | instskip(NEXT) | instid1(VALU_DEP_2)
	v_add_co_u32 v5, vcc_lo, s23, v5
	v_lshlrev_b64 v[7:8], 2, v[7:8]
	v_add_co_ci_u32_e32 v6, vcc_lo, s24, v6, vcc_lo
	v_lshlrev_b64 v[9:10], 2, v[9:10]
	s_delay_alu instid0(VALU_DEP_3) | instskip(NEXT) | instid1(VALU_DEP_4)
	v_add_co_u32 v11, vcc_lo, s25, v7
	v_add_co_ci_u32_e32 v12, vcc_lo, s30, v8, vcc_lo
	v_add_co_u32 v7, vcc_lo, v5, s4
	v_add_co_ci_u32_e32 v8, vcc_lo, s5, v6, vcc_lo
	s_delay_alu instid0(VALU_DEP_4) | instskip(NEXT) | instid1(VALU_DEP_4)
	v_add_co_u32 v9, vcc_lo, v11, v9
	v_add_co_ci_u32_e32 v10, vcc_lo, v12, v10, vcc_lo
	s_clause 0x1
	global_load_b32 v11, v[5:6], off
	global_load_b32 v8, v[7:8], off
	global_load_b64 v[5:6], v[9:10], off
	v_cmp_le_i32_e32 vcc_lo, s17, v2
	s_or_b32 s33, vcc_lo, s33
	s_waitcnt vmcnt(0)
	v_mul_f32_e32 v12, v8, v6
	v_mul_f32_e32 v7, v11, v6
	s_delay_alu instid0(VALU_DEP_2) | instskip(NEXT) | instid1(VALU_DEP_2)
	v_fma_f32 v6, v11, v5, -v12
	v_fmac_f32_e32 v7, v8, v5
	global_store_b64 v[9:10], v[6:7], off
	s_and_not1_b32 exec_lo, exec_lo, s33
	s_cbranch_execnz .LBB91_3
.LBB91_4:
	s_or_b32 exec_lo, exec_lo, s22
	s_load_b128 s[4:7], s[0:1], 0x68
	s_waitcnt lgkmcnt(0)
	s_ashr_i32 s31, s7, 31
	s_mov_b32 s30, s7
	s_delay_alu instid0(SALU_CYCLE_1) | instskip(SKIP_1) | instid1(SALU_CYCLE_1)
	s_or_b64 s[24:25], s[26:27], s[30:31]
	s_mov_b32 s24, 0
	s_cmp_lg_u64 s[24:25], 0
	s_cbranch_scc0 .LBB91_68
; %bb.5:
	s_add_u32 s34, s30, s31
	s_mov_b32 s22, s31
	s_mov_b32 s23, s31
	s_addc_u32 s35, s31, s31
	s_delay_alu instid0(SALU_CYCLE_1) | instskip(NEXT) | instid1(SALU_CYCLE_1)
	s_xor_b64 s[34:35], s[34:35], s[22:23]
	v_cvt_f32_u32_e32 v1, s34
	v_cvt_f32_u32_e32 v2, s35
	s_sub_u32 s21, 0, s34
	s_subb_u32 s25, 0, s35
	s_delay_alu instid0(VALU_DEP_1) | instskip(NEXT) | instid1(VALU_DEP_1)
	v_fmamk_f32 v1, v2, 0x4f800000, v1
	v_rcp_f32_e32 v1, v1
	s_waitcnt_depctr 0xfff
	v_mul_f32_e32 v1, 0x5f7ffffc, v1
	s_delay_alu instid0(VALU_DEP_1) | instskip(NEXT) | instid1(VALU_DEP_1)
	v_mul_f32_e32 v2, 0x2f800000, v1
	v_trunc_f32_e32 v2, v2
	s_delay_alu instid0(VALU_DEP_1) | instskip(SKIP_1) | instid1(VALU_DEP_2)
	v_fmamk_f32 v1, v2, 0xcf800000, v1
	v_cvt_u32_f32_e32 v2, v2
	v_cvt_u32_f32_e32 v1, v1
	s_delay_alu instid0(VALU_DEP_2) | instskip(NEXT) | instid1(VALU_DEP_2)
	v_readfirstlane_b32 s7, v2
	v_readfirstlane_b32 s17, v1
	s_delay_alu instid0(VALU_DEP_2) | instskip(NEXT) | instid1(VALU_DEP_1)
	s_mul_i32 s33, s21, s7
	s_mul_hi_u32 s37, s21, s17
	s_mul_i32 s36, s25, s17
	s_add_i32 s33, s37, s33
	s_mul_i32 s38, s21, s17
	s_add_i32 s33, s33, s36
	s_mul_hi_u32 s37, s17, s38
	s_mul_hi_u32 s39, s7, s38
	s_mul_i32 s36, s7, s38
	s_mul_hi_u32 s38, s17, s33
	s_mul_i32 s17, s17, s33
	s_mul_hi_u32 s40, s7, s33
	s_add_u32 s17, s37, s17
	s_addc_u32 s37, 0, s38
	s_add_u32 s17, s17, s36
	s_mul_i32 s33, s7, s33
	s_addc_u32 s17, s37, s39
	s_addc_u32 s36, s40, 0
	s_add_u32 s17, s17, s33
	s_addc_u32 s33, 0, s36
	v_add_co_u32 v1, s17, v1, s17
	s_delay_alu instid0(VALU_DEP_1) | instskip(SKIP_1) | instid1(VALU_DEP_1)
	s_cmp_lg_u32 s17, 0
	s_addc_u32 s7, s7, s33
	v_readfirstlane_b32 s17, v1
	s_mul_i32 s33, s21, s7
	s_delay_alu instid0(VALU_DEP_1)
	s_mul_hi_u32 s36, s21, s17
	s_mul_i32 s25, s25, s17
	s_add_i32 s33, s36, s33
	s_mul_i32 s21, s21, s17
	s_add_i32 s33, s33, s25
	s_mul_hi_u32 s36, s7, s21
	s_mul_i32 s37, s7, s21
	s_mul_hi_u32 s21, s17, s21
	s_mul_hi_u32 s38, s17, s33
	s_mul_i32 s17, s17, s33
	s_mul_hi_u32 s25, s7, s33
	s_add_u32 s17, s21, s17
	s_addc_u32 s21, 0, s38
	s_add_u32 s17, s17, s37
	s_mul_i32 s33, s7, s33
	s_addc_u32 s17, s21, s36
	s_addc_u32 s21, s25, 0
	s_add_u32 s17, s17, s33
	s_addc_u32 s21, 0, s21
	v_add_co_u32 v1, s17, v1, s17
	s_delay_alu instid0(VALU_DEP_1) | instskip(SKIP_2) | instid1(VALU_DEP_1)
	s_cmp_lg_u32 s17, 0
	s_addc_u32 s7, s7, s21
	s_ashr_i32 s36, s27, 31
	v_readfirstlane_b32 s17, v1
	s_add_u32 s38, s26, s36
	s_mov_b32 s37, s36
	s_addc_u32 s39, s27, s36
	s_delay_alu instid0(SALU_CYCLE_1) | instskip(NEXT) | instid1(SALU_CYCLE_1)
	s_xor_b64 s[38:39], s[38:39], s[36:37]
	s_mul_i32 s25, s38, s7
	s_mul_hi_u32 s33, s38, s17
	s_mul_hi_u32 s21, s38, s7
	;; [unrolled: 1-line block ×3, first 2 shown]
	s_mul_i32 s17, s39, s17
	s_add_u32 s25, s33, s25
	s_addc_u32 s21, 0, s21
	s_mul_hi_u32 s40, s39, s7
	s_add_u32 s17, s25, s17
	s_mul_i32 s7, s39, s7
	s_addc_u32 s17, s21, s41
	s_addc_u32 s21, s40, 0
	s_add_u32 s7, s17, s7
	s_addc_u32 s17, 0, s21
	s_mul_hi_u32 s21, s34, s7
	s_mul_i32 s33, s34, s17
	s_mul_i32 s40, s34, s7
	s_add_i32 s21, s21, s33
	v_sub_co_u32 v1, s33, s38, s40
	s_mul_i32 s25, s35, s7
	s_delay_alu instid0(SALU_CYCLE_1) | instskip(NEXT) | instid1(VALU_DEP_1)
	s_add_i32 s21, s21, s25
	v_sub_co_u32 v2, s38, v1, s34
	s_sub_i32 s25, s39, s21
	s_cmp_lg_u32 s33, 0
	s_subb_u32 s25, s25, s35
	s_cmp_lg_u32 s38, 0
	v_readfirstlane_b32 s38, v2
	s_subb_u32 s25, s25, 0
	s_delay_alu instid0(SALU_CYCLE_1) | instskip(SKIP_1) | instid1(VALU_DEP_1)
	s_cmp_ge_u32 s25, s35
	s_cselect_b32 s40, -1, 0
	s_cmp_ge_u32 s38, s34
	s_cselect_b32 s38, -1, 0
	s_cmp_eq_u32 s25, s35
	s_cselect_b32 s25, s38, s40
	s_add_u32 s38, s7, 1
	s_addc_u32 s40, s17, 0
	s_add_u32 s41, s7, 2
	s_addc_u32 s42, s17, 0
	s_cmp_lg_u32 s25, 0
	s_cselect_b32 s25, s41, s38
	s_cselect_b32 s38, s42, s40
	s_cmp_lg_u32 s33, 0
	v_readfirstlane_b32 s33, v1
	s_subb_u32 s21, s39, s21
	s_delay_alu instid0(SALU_CYCLE_1) | instskip(SKIP_1) | instid1(VALU_DEP_1)
	s_cmp_ge_u32 s21, s35
	s_cselect_b32 s39, -1, 0
	s_cmp_ge_u32 s33, s34
	s_cselect_b32 s33, -1, 0
	s_cmp_eq_u32 s21, s35
	s_cselect_b32 s21, s33, s39
	s_delay_alu instid0(SALU_CYCLE_1) | instskip(SKIP_3) | instid1(SALU_CYCLE_1)
	s_cmp_lg_u32 s21, 0
	s_cselect_b32 s35, s38, s17
	s_cselect_b32 s34, s25, s7
	s_xor_b64 s[22:23], s[36:37], s[22:23]
	s_xor_b64 s[34:35], s[34:35], s[22:23]
	s_delay_alu instid0(SALU_CYCLE_1)
	s_sub_u32 s22, s34, s22
	s_subb_u32 s23, s35, s23
	s_and_not1_b32 vcc_lo, exec_lo, s24
	s_cbranch_vccnz .LBB91_7
.LBB91_6:
	v_cvt_f32_u32_e32 v1, s30
	s_sub_i32 s17, 0, s30
	s_mov_b32 s23, 0
	s_delay_alu instid0(VALU_DEP_1) | instskip(SKIP_2) | instid1(VALU_DEP_1)
	v_rcp_iflag_f32_e32 v1, v1
	s_waitcnt_depctr 0xfff
	v_mul_f32_e32 v1, 0x4f7ffffe, v1
	v_cvt_u32_f32_e32 v1, v1
	s_delay_alu instid0(VALU_DEP_1) | instskip(NEXT) | instid1(VALU_DEP_1)
	v_readfirstlane_b32 s7, v1
	s_mul_i32 s17, s17, s7
	s_delay_alu instid0(SALU_CYCLE_1) | instskip(NEXT) | instid1(SALU_CYCLE_1)
	s_mul_hi_u32 s17, s7, s17
	s_add_i32 s7, s7, s17
	s_delay_alu instid0(SALU_CYCLE_1) | instskip(NEXT) | instid1(SALU_CYCLE_1)
	s_mul_hi_u32 s7, s26, s7
	s_mul_i32 s17, s7, s30
	s_add_i32 s21, s7, 1
	s_sub_i32 s17, s26, s17
	s_delay_alu instid0(SALU_CYCLE_1)
	s_sub_i32 s22, s17, s30
	s_cmp_ge_u32 s17, s30
	s_cselect_b32 s7, s21, s7
	s_cselect_b32 s17, s22, s17
	s_add_i32 s21, s7, 1
	s_cmp_ge_u32 s17, s30
	s_cselect_b32 s22, s21, s7
.LBB91_7:
	s_load_b64 s[24:25], s[0:1], 0x78
	s_mul_i32 s7, s22, s31
	s_mul_hi_u32 s17, s22, s30
	s_mul_i32 s21, s22, s30
	s_add_i32 s7, s17, s7
	s_mul_i32 s17, s23, s30
	s_mul_hi_u32 s31, s22, s4
	s_add_i32 s17, s7, s17
	s_sub_u32 s7, s26, s21
	s_subb_u32 s17, s27, s17
	s_mul_i32 s33, s23, s4
	s_mul_i32 s34, s22, s4
	s_mul_hi_u32 s30, s7, s5
	s_mul_i32 s17, s17, s5
	s_mul_i32 s23, s7, s5
	s_mov_b32 s35, exec_lo
	v_cmpx_gt_i32_e64 s20, v0
	s_cbranch_execz .LBB91_46
; %bb.8:
	s_load_b32 s37, s[0:1], 0x8c
	s_ashr_i32 s38, s4, 31
	s_ashr_i32 s39, s5, 31
	s_lshl_b64 s[26:27], s[28:29], 2
	s_mul_i32 s28, s22, s38
	s_mul_i32 s29, s7, s39
	v_dual_mov_b32 v8, 0 :: v_dual_lshlrev_b32 v1, 2, v0
	s_add_i32 s28, s31, s28
	s_add_i32 s29, s30, s29
	s_ashr_i32 s21, s20, 31
	s_ashr_i32 s40, s6, 31
	s_add_i32 s38, s28, s33
	s_add_i32 s29, s29, s17
	s_waitcnt lgkmcnt(0)
	s_load_b32 s36, s[24:25], 0x0
	s_mul_i32 s9, s9, s16
	v_lshlrev_b32_e32 v5, 3, v0
	v_mov_b32_e32 v15, v0
	s_and_b32 s28, s37, 0xffff
	s_add_u32 s2, s2, s26
	s_addc_u32 s37, s3, s27
	s_lshl_b32 s3, s28, 2
	s_lshl_b64 s[26:27], s[20:21], 2
	v_add_co_u32 v1, s2, s2, v1
	s_add_u32 s21, s34, s23
	v_add_co_ci_u32_e64 v2, null, s37, 0, s2
	s_addc_u32 s2, s38, s29
	s_add_u32 s29, s18, s6
	s_addc_u32 s37, s19, s40
	s_add_u32 s21, s29, s21
	s_mul_hi_u32 s29, s8, s16
	s_addc_u32 s2, s37, s2
	s_add_i32 s9, s29, s9
	s_mul_i32 s8, s8, s16
	v_add_co_u32 v3, s21, s21, v3
	s_lshl_b64 s[38:39], s[8:9], 2
	s_lshl_b32 s8, s28, 1
	v_add_co_ci_u32_e64 v4, null, s2, 0, s21
	s_add_u32 s2, s12, s38
	s_addc_u32 s9, s13, s39
	v_add_co_u32 v5, s2, s2, v5
	s_delay_alu instid0(VALU_DEP_1) | instskip(SKIP_2) | instid1(VALU_DEP_4)
	v_add_co_ci_u32_e64 v6, null, s9, 0, s2
	v_add_co_u32 v3, vcc_lo, v3, 1
	v_add_co_ci_u32_e32 v4, vcc_lo, 0, v4, vcc_lo
	v_add_co_u32 v5, vcc_lo, v5, 4
	s_delay_alu instid0(VALU_DEP_4)
	v_add_co_ci_u32_e32 v6, vcc_lo, 0, v6, vcc_lo
	s_mov_b32 s9, 0
	s_lshl_b32 s12, s28, 3
	s_branch .LBB91_10
.LBB91_9:                               ;   in Loop: Header=BB91_10 Depth=1
	s_or_b32 exec_lo, exec_lo, s2
	v_add_co_u32 v1, vcc_lo, v1, s3
	v_add_nc_u32_e32 v15, s28, v15
	v_add_co_ci_u32_e32 v2, vcc_lo, 0, v2, vcc_lo
	global_store_b8 v[3:4], v10, off
	v_add_co_u32 v3, vcc_lo, v3, s8
	v_add_co_ci_u32_e32 v4, vcc_lo, 0, v4, vcc_lo
	v_cmp_le_i32_e32 vcc_lo, s20, v15
	v_add_co_u32 v5, s2, v5, s12
	s_delay_alu instid0(VALU_DEP_1) | instskip(SKIP_1) | instid1(SALU_CYCLE_1)
	v_add_co_ci_u32_e64 v6, s2, 0, v6, s2
	s_or_b32 s9, vcc_lo, s9
	s_and_not1_b32 exec_lo, exec_lo, s9
	s_cbranch_execz .LBB91_46
.LBB91_10:                              ; =>This Inner Loop Header: Depth=1
	v_add_co_u32 v9, vcc_lo, v1, s26
	v_add_co_ci_u32_e32 v10, vcc_lo, s27, v2, vcc_lo
	s_mov_b32 s2, exec_lo
	global_load_b64 v[17:18], v[5:6], off offset:-4
	s_clause 0x1
	global_load_b32 v7, v[9:10], off
	global_load_b32 v10, v[1:2], off
	s_waitcnt vmcnt(1)
	v_mul_f32_e32 v9, v7, v18
	s_waitcnt vmcnt(0)
	s_delay_alu instid0(VALU_DEP_1) | instskip(NEXT) | instid1(VALU_DEP_1)
	v_fma_f32 v9, v10, v17, -v9
	v_dual_mul_f32 v10, v10, v18 :: v_dual_lshlrev_b32 v11, 16, v9
	s_waitcnt lgkmcnt(0)
	s_delay_alu instid0(VALU_DEP_1) | instskip(NEXT) | instid1(VALU_DEP_1)
	v_div_scale_f32 v12, null, s36, s36, v11
	v_rcp_f32_e32 v13, v12
	s_waitcnt_depctr 0xfff
	v_fma_f32 v14, -v12, v13, 1.0
	s_delay_alu instid0(VALU_DEP_1) | instskip(SKIP_1) | instid1(VALU_DEP_1)
	v_fmac_f32_e32 v13, v14, v13
	v_div_scale_f32 v14, vcc_lo, v11, s36, v11
	v_mul_f32_e32 v16, v14, v13
	s_delay_alu instid0(VALU_DEP_1) | instskip(NEXT) | instid1(VALU_DEP_1)
	v_fma_f32 v19, -v12, v16, v14
	v_dual_fmac_f32 v16, v19, v13 :: v_dual_mov_b32 v19, v8
	s_delay_alu instid0(VALU_DEP_1) | instskip(NEXT) | instid1(VALU_DEP_1)
	v_fma_f32 v12, -v12, v16, v14
	v_div_fmas_f32 v12, v12, v13, v16
	s_delay_alu instid0(VALU_DEP_1) | instskip(NEXT) | instid1(VALU_DEP_1)
	v_div_fixup_f32 v11, v12, s36, v11
	v_dual_fmac_f32 v10, v7, v17 :: v_dual_and_b32 v7, 0x7fffff, v11
	v_lshrrev_b32_e32 v13, 24, v11
	v_and_b32_e32 v18, 0x7f800000, v11
	global_store_b64 v[5:6], v[9:10], off offset:-4
	v_and_b32_e32 v16, 0x80, v13
	s_delay_alu instid0(VALU_DEP_1)
	v_or_b32_e32 v12, 0x7e, v16
	v_cmpx_ne_u64_e32 0x7f800000, v[18:19]
	s_xor_b32 s13, exec_lo, s2
	s_cbranch_execz .LBB91_26
; %bb.11:                               ;   in Loop: Header=BB91_10 Depth=1
	v_dual_mov_b32 v14, v8 :: v_dual_and_b32 v13, 0x7fffffff, v11
	s_mov_b32 s2, exec_lo
	s_delay_alu instid0(VALU_DEP_1)
	v_cmpx_gt_u64_e32 0x43e00001, v[13:14]
	s_xor_b32 s21, exec_lo, s2
	s_cbranch_execz .LBB91_25
; %bb.12:                               ;   in Loop: Header=BB91_10 Depth=1
	v_mov_b32_e32 v12, 0
	s_mov_b32 s29, exec_lo
	v_cmpx_ne_u32_e32 0, v11
	s_cbranch_execz .LBB91_24
; %bb.13:                               ;   in Loop: Header=BB91_10 Depth=1
	v_bfe_u32 v9, v11, 23, 8
	v_or_b32_e32 v13, 0x800000, v7
	s_delay_alu instid0(VALU_DEP_2) | instskip(SKIP_1) | instid1(VALU_DEP_2)
	v_sub_nc_u32_e32 v11, 0x79, v9
	v_cmp_gt_u32_e32 vcc_lo, 0x7a, v9
	v_cndmask_b32_e32 v11, 0, v11, vcc_lo
	v_cmp_eq_u32_e32 vcc_lo, 0, v9
	s_delay_alu instid0(VALU_DEP_2) | instskip(SKIP_1) | instid1(VALU_DEP_2)
	v_cndmask_b32_e64 v17, v11, 0x78, vcc_lo
	v_cndmask_b32_e32 v7, v13, v7, vcc_lo
	v_add_nc_u32_e32 v11, 20, v17
	v_add_nc_u32_e32 v13, 19, v17
	s_delay_alu instid0(VALU_DEP_2) | instskip(NEXT) | instid1(VALU_DEP_2)
	v_lshlrev_b64 v[11:12], v11, -1
	v_lshlrev_b64 v[13:14], v13, 1
	s_delay_alu instid0(VALU_DEP_2) | instskip(NEXT) | instid1(VALU_DEP_3)
	v_not_b32_e32 v12, v12
	v_not_b32_e32 v11, v11
	s_delay_alu instid0(VALU_DEP_2) | instskip(NEXT) | instid1(VALU_DEP_2)
	v_and_b32_e32 v19, 0, v12
	v_and_b32_e32 v18, v7, v11
	v_lshrrev_b64 v[11:12], v17, v[7:8]
	s_delay_alu instid0(VALU_DEP_2) | instskip(NEXT) | instid1(VALU_DEP_2)
	v_cmp_eq_u64_e64 s2, v[18:19], v[13:14]
	v_dual_mov_b32 v14, v12 :: v_dual_mov_b32 v13, v11
	s_delay_alu instid0(VALU_DEP_2)
	s_and_saveexec_b32 s37, s2
; %bb.14:                               ;   in Loop: Header=BB91_10 Depth=1
	v_bfe_u32 v7, v11, 20, 1
	s_delay_alu instid0(VALU_DEP_1) | instskip(NEXT) | instid1(VALU_DEP_1)
	v_add_co_u32 v7, s2, v11, v7
	v_add_co_u32 v13, s2, v7, -1
; %bb.15:                               ;   in Loop: Header=BB91_10 Depth=1
	s_or_b32 exec_lo, exec_lo, s37
	v_add_nc_u32_e32 v7, 0xffffff81, v9
	v_lshrrev_b32_e32 v9, 23, v11
	s_mov_b32 s2, exec_lo
	s_delay_alu instid0(VALU_DEP_2) | instskip(NEXT) | instid1(VALU_DEP_1)
	v_cndmask_b32_e64 v7, v7, 0xffffff82, vcc_lo
	v_add3_u32 v9, v17, v7, v9
	v_and_b32_e32 v7, 0xfffff, v13
	s_delay_alu instid0(VALU_DEP_2) | instskip(NEXT) | instid1(VALU_DEP_2)
	v_add_nc_u32_e32 v13, 6, v9
	v_add_co_u32 v11, vcc_lo, v7, v11
	v_add_co_ci_u32_e32 v12, vcc_lo, 0, v12, vcc_lo
                                        ; implicit-def: $vgpr7
	s_delay_alu instid0(VALU_DEP_3)
	v_cmpx_ne_u32_e32 0, v13
	s_xor_b32 s2, exec_lo, s2
; %bb.16:                               ;   in Loop: Header=BB91_10 Depth=1
	s_delay_alu instid0(VALU_DEP_2) | instskip(SKIP_2) | instid1(VALU_DEP_2)
	v_cmp_lt_u64_e32 vcc_lo, 0xffffff, v[11:12]
	v_add_nc_u32_e32 v7, 7, v9
	v_cndmask_b32_e64 v9, 0, 1, vcc_lo
	v_cndmask_b32_e32 v7, v13, v7, vcc_lo
	s_delay_alu instid0(VALU_DEP_2)
	v_lshrrev_b64 v[11:12], v9, v[11:12]
; %bb.17:                               ;   in Loop: Header=BB91_10 Depth=1
	s_and_not1_saveexec_b32 s2, s2
; %bb.18:                               ;   in Loop: Header=BB91_10 Depth=1
	s_delay_alu instid0(VALU_DEP_1)
	v_bfe_u32 v7, v11, 23, 1
; %bb.19:                               ;   in Loop: Header=BB91_10 Depth=1
	s_or_b32 exec_lo, exec_lo, s2
	s_delay_alu instid0(VALU_DEP_2) | instskip(NEXT) | instid1(VALU_DEP_2)
	v_lshrrev_b64 v[11:12], 20, v[11:12]
	v_cmp_gt_i32_e32 vcc_lo, 16, v7
	v_cmp_ne_u32_e64 s2, 0, v7
	s_delay_alu instid0(VALU_DEP_3) | instskip(NEXT) | instid1(VALU_DEP_1)
	v_dual_cndmask_b32 v12, 0, v12 :: v_dual_cndmask_b32 v11, 7, v11
	v_cmp_ne_u64_e32 vcc_lo, 0, v[11:12]
                                        ; implicit-def: $vgpr12
	s_delay_alu instid0(VALU_DEP_3) | instskip(NEXT) | instid1(SALU_CYCLE_1)
	s_or_b32 s2, s2, vcc_lo
	s_and_saveexec_b32 s37, s2
	s_delay_alu instid0(SALU_CYCLE_1)
	s_xor_b32 s2, exec_lo, s37
; %bb.20:                               ;   in Loop: Header=BB91_10 Depth=1
	v_min_i32_e32 v7, 15, v7
	s_delay_alu instid0(VALU_DEP_1) | instskip(NEXT) | instid1(VALU_DEP_1)
	v_lshl_or_b32 v7, v7, 3, v16
                                        ; implicit-def: $vgpr16
	v_and_or_b32 v12, v11, 7, v7
; %bb.21:                               ;   in Loop: Header=BB91_10 Depth=1
	s_and_not1_saveexec_b32 s2, s2
; %bb.22:                               ;   in Loop: Header=BB91_10 Depth=1
	v_mov_b32_e32 v12, v16
; %bb.23:                               ;   in Loop: Header=BB91_10 Depth=1
	s_or_b32 exec_lo, exec_lo, s2
.LBB91_24:                              ;   in Loop: Header=BB91_10 Depth=1
	s_delay_alu instid0(SALU_CYCLE_1)
	s_or_b32 exec_lo, exec_lo, s29
.LBB91_25:                              ;   in Loop: Header=BB91_10 Depth=1
	s_and_not1_saveexec_b32 s2, s21
	s_delay_alu instid0(SALU_CYCLE_1)
	s_or_b32 exec_lo, exec_lo, s2
                                        ; implicit-def: $vgpr13
.LBB91_26:                              ;   in Loop: Header=BB91_10 Depth=1
	s_and_not1_saveexec_b32 s2, s13
; %bb.27:                               ;   in Loop: Header=BB91_10 Depth=1
	v_cmp_eq_u64_e32 vcc_lo, 0, v[7:8]
	v_or_b32_e32 v9, 0x7f, v13
	s_delay_alu instid0(VALU_DEP_1)
	v_cndmask_b32_e32 v12, v9, v12, vcc_lo
; %bb.28:                               ;   in Loop: Header=BB91_10 Depth=1
	s_or_b32 exec_lo, exec_lo, s2
	v_lshlrev_b32_e32 v7, 16, v10
	global_store_b8 v[3:4], v12, off offset:-1
	s_mov_b32 s2, exec_lo
	v_mov_b32_e32 v17, v8
	v_div_scale_f32 v9, null, s36, s36, v7
	s_delay_alu instid0(VALU_DEP_1) | instskip(SKIP_2) | instid1(VALU_DEP_1)
	v_rcp_f32_e32 v10, v9
	s_waitcnt_depctr 0xfff
	v_fma_f32 v11, -v9, v10, 1.0
	v_fmac_f32_e32 v10, v11, v10
	v_div_scale_f32 v11, vcc_lo, v7, s36, v7
	s_delay_alu instid0(VALU_DEP_1) | instskip(NEXT) | instid1(VALU_DEP_1)
	v_mul_f32_e32 v13, v11, v10
	v_fma_f32 v14, -v9, v13, v11
	s_delay_alu instid0(VALU_DEP_1) | instskip(NEXT) | instid1(VALU_DEP_1)
	v_fmac_f32_e32 v13, v14, v10
	v_fma_f32 v9, -v9, v13, v11
	s_delay_alu instid0(VALU_DEP_1) | instskip(NEXT) | instid1(VALU_DEP_1)
	v_div_fmas_f32 v9, v9, v10, v13
	v_div_fixup_f32 v9, v9, s36, v7
	s_delay_alu instid0(VALU_DEP_1) | instskip(SKIP_2) | instid1(VALU_DEP_2)
	v_and_b32_e32 v16, 0x7f800000, v9
	v_lshrrev_b32_e32 v11, 24, v9
	v_and_b32_e32 v7, 0x7fffff, v9
	v_and_b32_e32 v13, 0x80, v11
	s_delay_alu instid0(VALU_DEP_1)
	v_or_b32_e32 v10, 0x7e, v13
	v_cmpx_ne_u64_e32 0x7f800000, v[16:17]
	s_xor_b32 s13, exec_lo, s2
	s_cbranch_execz .LBB91_44
; %bb.29:                               ;   in Loop: Header=BB91_10 Depth=1
	v_dual_mov_b32 v12, v8 :: v_dual_and_b32 v11, 0x7fffffff, v9
	s_mov_b32 s2, exec_lo
	s_delay_alu instid0(VALU_DEP_1)
	v_cmpx_gt_u64_e32 0x43e00001, v[11:12]
	s_xor_b32 s21, exec_lo, s2
	s_cbranch_execz .LBB91_43
; %bb.30:                               ;   in Loop: Header=BB91_10 Depth=1
	v_mov_b32_e32 v10, 0
	s_mov_b32 s29, exec_lo
	v_cmpx_ne_u32_e32 0, v9
	s_cbranch_execz .LBB91_42
; %bb.31:                               ;   in Loop: Header=BB91_10 Depth=1
	v_bfe_u32 v14, v9, 23, 8
	v_or_b32_e32 v11, 0x800000, v7
	s_delay_alu instid0(VALU_DEP_2) | instskip(SKIP_1) | instid1(VALU_DEP_2)
	v_sub_nc_u32_e32 v9, 0x79, v14
	v_cmp_gt_u32_e32 vcc_lo, 0x7a, v14
	v_cndmask_b32_e32 v9, 0, v9, vcc_lo
	v_cmp_eq_u32_e32 vcc_lo, 0, v14
	s_delay_alu instid0(VALU_DEP_2) | instskip(SKIP_1) | instid1(VALU_DEP_2)
	v_cndmask_b32_e64 v16, v9, 0x78, vcc_lo
	v_cndmask_b32_e32 v7, v11, v7, vcc_lo
	v_add_nc_u32_e32 v9, 20, v16
	v_add_nc_u32_e32 v11, 19, v16
	s_delay_alu instid0(VALU_DEP_2) | instskip(NEXT) | instid1(VALU_DEP_2)
	v_lshlrev_b64 v[9:10], v9, -1
	v_lshlrev_b64 v[11:12], v11, 1
	s_delay_alu instid0(VALU_DEP_2) | instskip(NEXT) | instid1(VALU_DEP_3)
	v_not_b32_e32 v10, v10
	v_not_b32_e32 v9, v9
	s_delay_alu instid0(VALU_DEP_2) | instskip(NEXT) | instid1(VALU_DEP_2)
	v_and_b32_e32 v18, 0, v10
	v_and_b32_e32 v17, v7, v9
	v_lshrrev_b64 v[9:10], v16, v[7:8]
	s_delay_alu instid0(VALU_DEP_2) | instskip(NEXT) | instid1(VALU_DEP_2)
	v_cmp_eq_u64_e64 s2, v[17:18], v[11:12]
	v_dual_mov_b32 v12, v10 :: v_dual_mov_b32 v11, v9
	s_delay_alu instid0(VALU_DEP_2)
	s_and_saveexec_b32 s37, s2
; %bb.32:                               ;   in Loop: Header=BB91_10 Depth=1
	v_bfe_u32 v7, v9, 20, 1
	s_delay_alu instid0(VALU_DEP_1) | instskip(NEXT) | instid1(VALU_DEP_1)
	v_add_co_u32 v7, s2, v9, v7
	v_add_co_u32 v11, s2, v7, -1
; %bb.33:                               ;   in Loop: Header=BB91_10 Depth=1
	s_or_b32 exec_lo, exec_lo, s37
	v_add_nc_u32_e32 v7, 0xffffff81, v14
	v_lshrrev_b32_e32 v12, 23, v9
	s_mov_b32 s2, exec_lo
	s_delay_alu instid0(VALU_DEP_2) | instskip(NEXT) | instid1(VALU_DEP_1)
	v_cndmask_b32_e64 v7, v7, 0xffffff82, vcc_lo
	v_add3_u32 v12, v16, v7, v12
	v_and_b32_e32 v7, 0xfffff, v11
	s_delay_alu instid0(VALU_DEP_2) | instskip(NEXT) | instid1(VALU_DEP_2)
	v_add_nc_u32_e32 v11, 6, v12
	v_add_co_u32 v9, vcc_lo, v7, v9
	v_add_co_ci_u32_e32 v10, vcc_lo, 0, v10, vcc_lo
                                        ; implicit-def: $vgpr7
	s_delay_alu instid0(VALU_DEP_3)
	v_cmpx_ne_u32_e32 0, v11
	s_xor_b32 s2, exec_lo, s2
; %bb.34:                               ;   in Loop: Header=BB91_10 Depth=1
	s_delay_alu instid0(VALU_DEP_2) | instskip(SKIP_1) | instid1(VALU_DEP_1)
	v_cmp_lt_u64_e32 vcc_lo, 0xffffff, v[9:10]
	v_add_nc_u32_e32 v7, 7, v12
	v_cndmask_b32_e32 v7, v11, v7, vcc_lo
	v_cndmask_b32_e64 v11, 0, 1, vcc_lo
	s_delay_alu instid0(VALU_DEP_1)
	v_lshrrev_b64 v[9:10], v11, v[9:10]
; %bb.35:                               ;   in Loop: Header=BB91_10 Depth=1
	s_and_not1_saveexec_b32 s2, s2
; %bb.36:                               ;   in Loop: Header=BB91_10 Depth=1
	s_delay_alu instid0(VALU_DEP_1)
	v_bfe_u32 v7, v9, 23, 1
; %bb.37:                               ;   in Loop: Header=BB91_10 Depth=1
	s_or_b32 exec_lo, exec_lo, s2
	s_delay_alu instid0(VALU_DEP_2) | instskip(NEXT) | instid1(VALU_DEP_2)
	v_lshrrev_b64 v[9:10], 20, v[9:10]
	v_cmp_gt_i32_e32 vcc_lo, 16, v7
	v_cmp_ne_u32_e64 s2, 0, v7
	s_delay_alu instid0(VALU_DEP_3) | instskip(NEXT) | instid1(VALU_DEP_1)
	v_dual_cndmask_b32 v10, 0, v10 :: v_dual_cndmask_b32 v9, 7, v9
	v_cmp_ne_u64_e32 vcc_lo, 0, v[9:10]
                                        ; implicit-def: $vgpr10
	s_delay_alu instid0(VALU_DEP_3) | instskip(NEXT) | instid1(SALU_CYCLE_1)
	s_or_b32 s2, s2, vcc_lo
	s_and_saveexec_b32 s37, s2
	s_delay_alu instid0(SALU_CYCLE_1)
	s_xor_b32 s2, exec_lo, s37
; %bb.38:                               ;   in Loop: Header=BB91_10 Depth=1
	v_min_i32_e32 v7, 15, v7
	s_delay_alu instid0(VALU_DEP_1) | instskip(NEXT) | instid1(VALU_DEP_1)
	v_lshl_or_b32 v7, v7, 3, v13
                                        ; implicit-def: $vgpr13
	v_and_or_b32 v10, v9, 7, v7
; %bb.39:                               ;   in Loop: Header=BB91_10 Depth=1
	s_and_not1_saveexec_b32 s2, s2
; %bb.40:                               ;   in Loop: Header=BB91_10 Depth=1
	v_mov_b32_e32 v10, v13
; %bb.41:                               ;   in Loop: Header=BB91_10 Depth=1
	s_or_b32 exec_lo, exec_lo, s2
.LBB91_42:                              ;   in Loop: Header=BB91_10 Depth=1
	s_delay_alu instid0(SALU_CYCLE_1)
	s_or_b32 exec_lo, exec_lo, s29
.LBB91_43:                              ;   in Loop: Header=BB91_10 Depth=1
	s_and_not1_saveexec_b32 s2, s21
	s_delay_alu instid0(SALU_CYCLE_1)
	s_or_b32 exec_lo, exec_lo, s2
                                        ; implicit-def: $vgpr11
.LBB91_44:                              ;   in Loop: Header=BB91_10 Depth=1
	s_and_not1_saveexec_b32 s2, s13
	s_cbranch_execz .LBB91_9
; %bb.45:                               ;   in Loop: Header=BB91_10 Depth=1
	v_cmp_eq_u64_e32 vcc_lo, 0, v[7:8]
	v_or_b32_e32 v9, 0x7f, v11
	s_delay_alu instid0(VALU_DEP_1)
	v_cndmask_b32_e32 v10, v9, v10, vcc_lo
	s_branch .LBB91_9
.LBB91_46:
	s_or_b32 exec_lo, exec_lo, s35
	s_delay_alu instid0(SALU_CYCLE_1)
	s_mov_b32 s2, exec_lo
	v_cmpx_gt_i32_e64 s6, v0
	s_cbranch_execz .LBB91_67
; %bb.47:
	s_mul_i32 s3, s16, s11
	s_mul_hi_u32 s8, s16, s10
	s_mul_i32 s2, s16, s10
	s_add_i32 s3, s8, s3
	s_load_b32 s0, s[0:1], 0x8c
	s_lshl_b64 s[2:3], s[2:3], 2
	v_mov_b32_e32 v3, 0
	s_add_u32 s1, s14, s2
	s_addc_u32 s2, s15, s3
	s_waitcnt lgkmcnt(0)
	s_load_b32 s3, s[24:25], 0x0
	s_ashr_i32 s4, s4, 31
	s_delay_alu instid0(SALU_CYCLE_1) | instskip(NEXT) | instid1(SALU_CYCLE_1)
	s_mul_i32 s4, s22, s4
	s_add_i32 s4, s31, s4
	s_delay_alu instid0(SALU_CYCLE_1) | instskip(SKIP_3) | instid1(SALU_CYCLE_1)
	s_add_i32 s4, s4, s33
	s_add_u32 s8, s18, s34
	s_addc_u32 s9, s19, s4
	s_ashr_i32 s4, s5, 31
	s_mul_i32 s7, s7, s4
	s_delay_alu instid0(SALU_CYCLE_1) | instskip(NEXT) | instid1(SALU_CYCLE_1)
	s_add_i32 s4, s30, s7
	s_add_i32 s5, s4, s17
	s_add_u32 s4, s8, s23
	s_addc_u32 s5, s9, s5
	s_and_b32 s7, s0, 0xffff
	s_mov_b32 s8, 0
	s_branch .LBB91_49
.LBB91_48:                              ;   in Loop: Header=BB91_49 Depth=1
	s_or_b32 exec_lo, exec_lo, s0
	v_add_co_u32 v6, vcc_lo, s4, v0
	v_add_nc_u32_e32 v0, s7, v0
	v_add_co_ci_u32_e32 v7, vcc_lo, s5, v1, vcc_lo
	s_delay_alu instid0(VALU_DEP_2) | instskip(SKIP_2) | instid1(SALU_CYCLE_1)
	v_cmp_le_i32_e32 vcc_lo, s6, v0
	global_store_b8 v[6:7], v5, off
	s_or_b32 s8, vcc_lo, s8
	s_and_not1_b32 exec_lo, exec_lo, s8
	s_cbranch_execz .LBB91_67
.LBB91_49:                              ; =>This Inner Loop Header: Depth=1
	v_ashrrev_i32_e32 v1, 31, v0
	s_mov_b32 s0, exec_lo
	v_mov_b32_e32 v10, v3
	s_delay_alu instid0(VALU_DEP_2) | instskip(NEXT) | instid1(VALU_DEP_1)
	v_lshlrev_b64 v[4:5], 2, v[0:1]
	v_add_co_u32 v4, vcc_lo, s1, v4
	s_delay_alu instid0(VALU_DEP_2) | instskip(SKIP_4) | instid1(VALU_DEP_1)
	v_add_co_ci_u32_e32 v5, vcc_lo, s2, v5, vcc_lo
	global_load_u16 v2, v[4:5], off
	s_waitcnt vmcnt(0)
	v_lshlrev_b32_e32 v2, 16, v2
	s_waitcnt lgkmcnt(0)
	v_div_scale_f32 v4, null, s3, s3, v2
	s_delay_alu instid0(VALU_DEP_1) | instskip(SKIP_2) | instid1(VALU_DEP_1)
	v_rcp_f32_e32 v5, v4
	s_waitcnt_depctr 0xfff
	v_fma_f32 v6, -v4, v5, 1.0
	v_fmac_f32_e32 v5, v6, v5
	v_div_scale_f32 v6, vcc_lo, v2, s3, v2
	s_delay_alu instid0(VALU_DEP_1) | instskip(NEXT) | instid1(VALU_DEP_1)
	v_mul_f32_e32 v7, v6, v5
	v_fma_f32 v8, -v4, v7, v6
	s_delay_alu instid0(VALU_DEP_1) | instskip(NEXT) | instid1(VALU_DEP_1)
	v_fmac_f32_e32 v7, v8, v5
	v_fma_f32 v4, -v4, v7, v6
	s_delay_alu instid0(VALU_DEP_1) | instskip(NEXT) | instid1(VALU_DEP_1)
	v_div_fmas_f32 v4, v4, v5, v7
	v_div_fixup_f32 v4, v4, s3, v2
	s_delay_alu instid0(VALU_DEP_1) | instskip(SKIP_2) | instid1(VALU_DEP_3)
	v_lshrrev_b32_e32 v6, 24, v4
	v_and_b32_e32 v9, 0x7f800000, v4
	v_and_b32_e32 v2, 0x7fffff, v4
	;; [unrolled: 1-line block ×3, first 2 shown]
	s_delay_alu instid0(VALU_DEP_1) | instskip(NEXT) | instid1(VALU_DEP_4)
	v_or_b32_e32 v5, 0x7e, v8
	v_cmpx_ne_u64_e32 0x7f800000, v[9:10]
	s_xor_b32 s9, exec_lo, s0
	s_cbranch_execz .LBB91_65
; %bb.50:                               ;   in Loop: Header=BB91_49 Depth=1
	v_dual_mov_b32 v7, v3 :: v_dual_and_b32 v6, 0x7fffffff, v4
	s_mov_b32 s0, exec_lo
	s_delay_alu instid0(VALU_DEP_1)
	v_cmpx_gt_u64_e32 0x43e00001, v[6:7]
	s_xor_b32 s10, exec_lo, s0
	s_cbranch_execz .LBB91_64
; %bb.51:                               ;   in Loop: Header=BB91_49 Depth=1
	v_mov_b32_e32 v5, 0
	s_mov_b32 s11, exec_lo
	v_cmpx_ne_u32_e32 0, v4
	s_cbranch_execz .LBB91_63
; %bb.52:                               ;   in Loop: Header=BB91_49 Depth=1
	v_bfe_u32 v9, v4, 23, 8
	v_or_b32_e32 v6, 0x800000, v2
	s_delay_alu instid0(VALU_DEP_2) | instskip(SKIP_1) | instid1(VALU_DEP_2)
	v_sub_nc_u32_e32 v4, 0x79, v9
	v_cmp_gt_u32_e32 vcc_lo, 0x7a, v9
	v_cndmask_b32_e32 v4, 0, v4, vcc_lo
	v_cmp_eq_u32_e32 vcc_lo, 0, v9
	s_delay_alu instid0(VALU_DEP_2) | instskip(SKIP_1) | instid1(VALU_DEP_2)
	v_cndmask_b32_e64 v10, v4, 0x78, vcc_lo
	v_cndmask_b32_e32 v2, v6, v2, vcc_lo
	v_add_nc_u32_e32 v4, 20, v10
	v_add_nc_u32_e32 v6, 19, v10
	s_delay_alu instid0(VALU_DEP_2) | instskip(NEXT) | instid1(VALU_DEP_2)
	v_lshlrev_b64 v[4:5], v4, -1
	v_lshlrev_b64 v[6:7], v6, 1
	s_delay_alu instid0(VALU_DEP_2) | instskip(NEXT) | instid1(VALU_DEP_3)
	v_not_b32_e32 v5, v5
	v_not_b32_e32 v4, v4
	s_delay_alu instid0(VALU_DEP_2) | instskip(NEXT) | instid1(VALU_DEP_2)
	v_and_b32_e32 v12, 0, v5
	v_and_b32_e32 v11, v2, v4
	v_lshrrev_b64 v[4:5], v10, v[2:3]
	s_delay_alu instid0(VALU_DEP_2) | instskip(NEXT) | instid1(VALU_DEP_2)
	v_cmp_eq_u64_e64 s0, v[11:12], v[6:7]
	v_dual_mov_b32 v7, v5 :: v_dual_mov_b32 v6, v4
	s_delay_alu instid0(VALU_DEP_2)
	s_and_saveexec_b32 s12, s0
; %bb.53:                               ;   in Loop: Header=BB91_49 Depth=1
	v_bfe_u32 v2, v4, 20, 1
	s_delay_alu instid0(VALU_DEP_1) | instskip(NEXT) | instid1(VALU_DEP_1)
	v_add_co_u32 v2, s0, v4, v2
	v_add_co_u32 v6, s0, v2, -1
; %bb.54:                               ;   in Loop: Header=BB91_49 Depth=1
	s_or_b32 exec_lo, exec_lo, s12
	v_add_nc_u32_e32 v2, 0xffffff81, v9
	v_lshrrev_b32_e32 v7, 23, v4
	s_mov_b32 s0, exec_lo
	s_delay_alu instid0(VALU_DEP_2) | instskip(NEXT) | instid1(VALU_DEP_1)
	v_cndmask_b32_e64 v2, v2, 0xffffff82, vcc_lo
	v_add3_u32 v7, v10, v2, v7
	v_and_b32_e32 v2, 0xfffff, v6
	s_delay_alu instid0(VALU_DEP_2) | instskip(NEXT) | instid1(VALU_DEP_2)
	v_add_nc_u32_e32 v6, 6, v7
	v_add_co_u32 v4, vcc_lo, v2, v4
	v_add_co_ci_u32_e32 v5, vcc_lo, 0, v5, vcc_lo
                                        ; implicit-def: $vgpr2
	s_delay_alu instid0(VALU_DEP_3)
	v_cmpx_ne_u32_e32 0, v6
	s_xor_b32 s0, exec_lo, s0
; %bb.55:                               ;   in Loop: Header=BB91_49 Depth=1
	s_delay_alu instid0(VALU_DEP_2) | instskip(SKIP_1) | instid1(VALU_DEP_1)
	v_cmp_lt_u64_e32 vcc_lo, 0xffffff, v[4:5]
	v_add_nc_u32_e32 v2, 7, v7
	v_cndmask_b32_e32 v2, v6, v2, vcc_lo
	v_cndmask_b32_e64 v6, 0, 1, vcc_lo
	s_delay_alu instid0(VALU_DEP_1)
	v_lshrrev_b64 v[4:5], v6, v[4:5]
; %bb.56:                               ;   in Loop: Header=BB91_49 Depth=1
	s_and_not1_saveexec_b32 s0, s0
; %bb.57:                               ;   in Loop: Header=BB91_49 Depth=1
	s_delay_alu instid0(VALU_DEP_1)
	v_bfe_u32 v2, v4, 23, 1
; %bb.58:                               ;   in Loop: Header=BB91_49 Depth=1
	s_or_b32 exec_lo, exec_lo, s0
	s_delay_alu instid0(VALU_DEP_2) | instskip(NEXT) | instid1(VALU_DEP_2)
	v_lshrrev_b64 v[4:5], 20, v[4:5]
	v_cmp_gt_i32_e32 vcc_lo, 16, v2
	v_cmp_ne_u32_e64 s0, 0, v2
	s_delay_alu instid0(VALU_DEP_3) | instskip(NEXT) | instid1(VALU_DEP_1)
	v_dual_cndmask_b32 v5, 0, v5 :: v_dual_cndmask_b32 v4, 7, v4
	v_cmp_ne_u64_e32 vcc_lo, 0, v[4:5]
                                        ; implicit-def: $vgpr5
	s_delay_alu instid0(VALU_DEP_3) | instskip(NEXT) | instid1(SALU_CYCLE_1)
	s_or_b32 s0, s0, vcc_lo
	s_and_saveexec_b32 s12, s0
	s_delay_alu instid0(SALU_CYCLE_1)
	s_xor_b32 s0, exec_lo, s12
; %bb.59:                               ;   in Loop: Header=BB91_49 Depth=1
	v_min_i32_e32 v2, 15, v2
	s_delay_alu instid0(VALU_DEP_1) | instskip(NEXT) | instid1(VALU_DEP_1)
	v_lshl_or_b32 v2, v2, 3, v8
                                        ; implicit-def: $vgpr8
	v_and_or_b32 v5, v4, 7, v2
; %bb.60:                               ;   in Loop: Header=BB91_49 Depth=1
	s_and_not1_saveexec_b32 s0, s0
; %bb.61:                               ;   in Loop: Header=BB91_49 Depth=1
	v_mov_b32_e32 v5, v8
; %bb.62:                               ;   in Loop: Header=BB91_49 Depth=1
	s_or_b32 exec_lo, exec_lo, s0
.LBB91_63:                              ;   in Loop: Header=BB91_49 Depth=1
	s_delay_alu instid0(SALU_CYCLE_1)
	s_or_b32 exec_lo, exec_lo, s11
.LBB91_64:                              ;   in Loop: Header=BB91_49 Depth=1
	s_and_not1_saveexec_b32 s0, s10
	s_delay_alu instid0(SALU_CYCLE_1)
	s_or_b32 exec_lo, exec_lo, s0
                                        ; implicit-def: $vgpr6
.LBB91_65:                              ;   in Loop: Header=BB91_49 Depth=1
	s_and_not1_saveexec_b32 s0, s9
	s_cbranch_execz .LBB91_48
; %bb.66:                               ;   in Loop: Header=BB91_49 Depth=1
	v_cmp_eq_u64_e32 vcc_lo, 0, v[2:3]
	v_or_b32_e32 v4, 0x7f, v6
	s_delay_alu instid0(VALU_DEP_1)
	v_cndmask_b32_e32 v5, v4, v5, vcc_lo
	s_branch .LBB91_48
.LBB91_67:
	s_nop 0
	s_sendmsg sendmsg(MSG_DEALLOC_VGPRS)
	s_endpgm
.LBB91_68:
                                        ; implicit-def: $sgpr22_sgpr23
	s_branch .LBB91_6
	.section	.rodata,"a",@progbits
	.p2align	6, 0x0
	.amdhsa_kernel _ZN4vllm38concat_and_cache_mla_rope_fused_kernelIffLb0E14__hip_bfloat16hLNS_18Fp8KVCacheDataTypeE1EEEvPKlPT_S6_PKS5_PKT0_illlliPT3_S4_iiiiPKf
		.amdhsa_group_segment_fixed_size 0
		.amdhsa_private_segment_fixed_size 0
		.amdhsa_kernarg_size 384
		.amdhsa_user_sgpr_count 15
		.amdhsa_user_sgpr_dispatch_ptr 0
		.amdhsa_user_sgpr_queue_ptr 0
		.amdhsa_user_sgpr_kernarg_segment_ptr 1
		.amdhsa_user_sgpr_dispatch_id 0
		.amdhsa_user_sgpr_private_segment_size 0
		.amdhsa_wavefront_size32 1
		.amdhsa_uses_dynamic_stack 0
		.amdhsa_enable_private_segment 0
		.amdhsa_system_sgpr_workgroup_id_x 1
		.amdhsa_system_sgpr_workgroup_id_y 0
		.amdhsa_system_sgpr_workgroup_id_z 0
		.amdhsa_system_sgpr_workgroup_info 0
		.amdhsa_system_vgpr_workitem_id 0
		.amdhsa_next_free_vgpr 20
		.amdhsa_next_free_sgpr 43
		.amdhsa_reserve_vcc 1
		.amdhsa_float_round_mode_32 0
		.amdhsa_float_round_mode_16_64 0
		.amdhsa_float_denorm_mode_32 3
		.amdhsa_float_denorm_mode_16_64 3
		.amdhsa_dx10_clamp 1
		.amdhsa_ieee_mode 1
		.amdhsa_fp16_overflow 0
		.amdhsa_workgroup_processor_mode 1
		.amdhsa_memory_ordered 1
		.amdhsa_forward_progress 0
		.amdhsa_shared_vgpr_count 0
		.amdhsa_exception_fp_ieee_invalid_op 0
		.amdhsa_exception_fp_denorm_src 0
		.amdhsa_exception_fp_ieee_div_zero 0
		.amdhsa_exception_fp_ieee_overflow 0
		.amdhsa_exception_fp_ieee_underflow 0
		.amdhsa_exception_fp_ieee_inexact 0
		.amdhsa_exception_int_div_zero 0
	.end_amdhsa_kernel
	.section	.text._ZN4vllm38concat_and_cache_mla_rope_fused_kernelIffLb0E14__hip_bfloat16hLNS_18Fp8KVCacheDataTypeE1EEEvPKlPT_S6_PKS5_PKT0_illlliPT3_S4_iiiiPKf,"axG",@progbits,_ZN4vllm38concat_and_cache_mla_rope_fused_kernelIffLb0E14__hip_bfloat16hLNS_18Fp8KVCacheDataTypeE1EEEvPKlPT_S6_PKS5_PKT0_illlliPT3_S4_iiiiPKf,comdat
.Lfunc_end91:
	.size	_ZN4vllm38concat_and_cache_mla_rope_fused_kernelIffLb0E14__hip_bfloat16hLNS_18Fp8KVCacheDataTypeE1EEEvPKlPT_S6_PKS5_PKT0_illlliPT3_S4_iiiiPKf, .Lfunc_end91-_ZN4vllm38concat_and_cache_mla_rope_fused_kernelIffLb0E14__hip_bfloat16hLNS_18Fp8KVCacheDataTypeE1EEEvPKlPT_S6_PKS5_PKT0_illlliPT3_S4_iiiiPKf
                                        ; -- End function
	.section	.AMDGPU.csdata,"",@progbits
; Kernel info:
; codeLenInByte = 4336
; NumSgprs: 45
; NumVgprs: 20
; ScratchSize: 0
; MemoryBound: 0
; FloatMode: 240
; IeeeMode: 1
; LDSByteSize: 0 bytes/workgroup (compile time only)
; SGPRBlocks: 5
; VGPRBlocks: 2
; NumSGPRsForWavesPerEU: 45
; NumVGPRsForWavesPerEU: 20
; Occupancy: 16
; WaveLimiterHint : 1
; COMPUTE_PGM_RSRC2:SCRATCH_EN: 0
; COMPUTE_PGM_RSRC2:USER_SGPR: 15
; COMPUTE_PGM_RSRC2:TRAP_HANDLER: 0
; COMPUTE_PGM_RSRC2:TGID_X_EN: 1
; COMPUTE_PGM_RSRC2:TGID_Y_EN: 0
; COMPUTE_PGM_RSRC2:TGID_Z_EN: 0
; COMPUTE_PGM_RSRC2:TIDIG_COMP_CNT: 0
	.section	.text._ZN4vllm38concat_and_cache_mla_rope_fused_kernelIfN3c104HalfELb1E14__hip_bfloat16hLNS_18Fp8KVCacheDataTypeE1EEEvPKlPT_S8_PKS7_PKT0_illlliPT3_S6_iiiiPKf,"axG",@progbits,_ZN4vllm38concat_and_cache_mla_rope_fused_kernelIfN3c104HalfELb1E14__hip_bfloat16hLNS_18Fp8KVCacheDataTypeE1EEEvPKlPT_S8_PKS7_PKT0_illlliPT3_S6_iiiiPKf,comdat
	.protected	_ZN4vllm38concat_and_cache_mla_rope_fused_kernelIfN3c104HalfELb1E14__hip_bfloat16hLNS_18Fp8KVCacheDataTypeE1EEEvPKlPT_S8_PKS7_PKT0_illlliPT3_S6_iiiiPKf ; -- Begin function _ZN4vllm38concat_and_cache_mla_rope_fused_kernelIfN3c104HalfELb1E14__hip_bfloat16hLNS_18Fp8KVCacheDataTypeE1EEEvPKlPT_S8_PKS7_PKT0_illlliPT3_S6_iiiiPKf
	.globl	_ZN4vllm38concat_and_cache_mla_rope_fused_kernelIfN3c104HalfELb1E14__hip_bfloat16hLNS_18Fp8KVCacheDataTypeE1EEEvPKlPT_S8_PKS7_PKT0_illlliPT3_S6_iiiiPKf
	.p2align	8
	.type	_ZN4vllm38concat_and_cache_mla_rope_fused_kernelIfN3c104HalfELb1E14__hip_bfloat16hLNS_18Fp8KVCacheDataTypeE1EEEvPKlPT_S8_PKS7_PKT0_illlliPT3_S6_iiiiPKf,@function
_ZN4vllm38concat_and_cache_mla_rope_fused_kernelIfN3c104HalfELb1E14__hip_bfloat16hLNS_18Fp8KVCacheDataTypeE1EEEvPKlPT_S8_PKS7_PKT0_illlliPT3_S6_iiiiPKf: ; @_ZN4vllm38concat_and_cache_mla_rope_fused_kernelIfN3c104HalfELb1E14__hip_bfloat16hLNS_18Fp8KVCacheDataTypeE1EEEvPKlPT_S8_PKS7_PKT0_illlliPT3_S6_iiiiPKf
; %bb.0:
	s_load_b64 s[4:5], s[0:1], 0x60
	s_mov_b32 s16, s15
	s_mov_b32 s17, 0
	s_delay_alu instid0(SALU_CYCLE_1)
	s_lshl_b64 s[2:3], s[16:17], 3
	s_waitcnt lgkmcnt(0)
	s_add_u32 s4, s4, s2
	s_addc_u32 s5, s5, s3
	s_load_b64 s[28:29], s[4:5], 0x0
	s_waitcnt lgkmcnt(0)
	v_cmp_lt_i64_e64 s4, s[28:29], 0
	s_delay_alu instid0(VALU_DEP_1)
	s_and_b32 vcc_lo, exec_lo, s4
	s_cbranch_vccnz .LBB92_67
; %bb.1:
	s_clause 0x3
	s_load_b32 s21, s[0:1], 0x28
	s_load_b64 s[4:5], s[0:1], 0x0
	s_load_b128 s[12:15], s[0:1], 0x10
	s_load_b32 s17, s[0:1], 0x50
	s_waitcnt lgkmcnt(0)
	s_ashr_i32 s24, s21, 31
	s_add_u32 s2, s4, s2
	s_addc_u32 s3, s5, s3
	s_lshr_b32 s20, s21, 31
	s_load_b64 s[22:23], s[2:3], 0x0
	s_clause 0x2
	s_load_b64 s[2:3], s[0:1], 0x20
	s_load_b64 s[18:19], s[0:1], 0x58
	s_load_b256 s[4:11], s[0:1], 0x30
	s_add_i32 s20, s21, s20
	s_delay_alu instid0(SALU_CYCLE_1) | instskip(NEXT) | instid1(SALU_CYCLE_1)
	s_ashr_i32 s20, s20, 1
	s_mul_i32 s17, s20, s17
	s_waitcnt lgkmcnt(0)
	s_mul_i32 s24, s22, s24
	s_mul_hi_u32 s25, s22, s21
	s_mul_i32 s23, s23, s21
	s_add_i32 s24, s25, s24
	s_mul_i32 s26, s22, s21
	s_add_i32 s27, s24, s23
	s_mov_b32 s24, exec_lo
	v_cmpx_gt_i32_e64 s17, v0
	s_cbranch_execz .LBB92_4
; %bb.2:
	s_clause 0x1
	s_load_b64 s[22:23], s[0:1], 0x8
	s_load_b32 s36, s[0:1], 0x8c
	s_lshl_b64 s[30:31], s[26:27], 1
	s_mul_i32 s5, s16, s5
	s_mul_hi_u32 s21, s16, s4
	s_add_u32 s25, s2, s30
	s_mul_i32 s4, s16, s4
	s_addc_u32 s30, s3, s31
	s_add_i32 s5, s21, s5
	s_ashr_i32 s21, s20, 31
	s_lshl_b64 s[4:5], s[4:5], 2
	s_mov_b32 s35, 0
	s_waitcnt lgkmcnt(0)
	s_add_u32 s31, s22, s4
	s_addc_u32 s33, s23, s5
	s_abs_i32 s34, s20
	s_and_b32 s36, s36, 0xffff
	v_cvt_f32_u32_e32 v1, s34
	s_sub_i32 s4, 0, s34
	s_sub_i32 s37, 0, s20
	s_lshl_b64 s[22:23], s[20:21], 2
	s_delay_alu instid0(VALU_DEP_1) | instskip(SKIP_2) | instid1(VALU_DEP_1)
	v_rcp_iflag_f32_e32 v1, v1
	s_waitcnt_depctr 0xfff
	v_mul_f32_e32 v1, 0x4f7ffffe, v1
	v_cvt_u32_f32_e32 v1, v1
	s_delay_alu instid0(VALU_DEP_1) | instskip(SKIP_1) | instid1(VALU_DEP_1)
	v_mul_lo_u32 v2, s4, v1
	s_lshl_b64 s[4:5], s[20:21], 1
	v_mul_hi_u32 v2, v1, v2
	s_delay_alu instid0(VALU_DEP_1)
	v_dual_mov_b32 v1, v0 :: v_dual_add_nc_u32 v2, v1, v2
.LBB92_3:                               ; =>This Inner Loop Header: Depth=1
	s_delay_alu instid0(VALU_DEP_1) | instskip(SKIP_1) | instid1(VALU_DEP_2)
	v_sub_nc_u32_e32 v3, 0, v1
	v_ashrrev_i32_e32 v4, 31, v1
	v_max_i32_e32 v3, v1, v3
	s_delay_alu instid0(VALU_DEP_2) | instskip(NEXT) | instid1(VALU_DEP_2)
	v_xor_b32_e32 v4, s21, v4
	v_mul_hi_u32 v5, v3, v2
	s_delay_alu instid0(VALU_DEP_1) | instskip(SKIP_1) | instid1(VALU_DEP_2)
	v_mul_lo_u32 v6, v5, s34
	v_add_nc_u32_e32 v7, 1, v5
	v_sub_nc_u32_e32 v3, v3, v6
	s_delay_alu instid0(VALU_DEP_1) | instskip(SKIP_1) | instid1(VALU_DEP_4)
	v_subrev_nc_u32_e32 v6, s34, v3
	v_cmp_le_u32_e32 vcc_lo, s34, v3
	v_cndmask_b32_e32 v5, v5, v7, vcc_lo
	s_delay_alu instid0(VALU_DEP_1) | instskip(NEXT) | instid1(VALU_DEP_1)
	v_dual_cndmask_b32 v3, v3, v6 :: v_dual_add_nc_u32 v6, 1, v5
	v_cmp_le_u32_e32 vcc_lo, s34, v3
	s_delay_alu instid0(VALU_DEP_2) | instskip(NEXT) | instid1(VALU_DEP_1)
	v_cndmask_b32_e32 v3, v5, v6, vcc_lo
	v_xor_b32_e32 v3, v3, v4
	s_delay_alu instid0(VALU_DEP_1) | instskip(NEXT) | instid1(VALU_DEP_1)
	v_sub_nc_u32_e32 v7, v3, v4
	v_ashrrev_i32_e32 v8, 31, v7
	v_mad_u64_u32 v[3:4], null, s37, v7, v[1:2]
	v_mul_lo_u32 v9, v7, s7
	v_mad_u64_u32 v[5:6], null, v7, s6, 0
	s_delay_alu instid0(VALU_DEP_4) | instskip(SKIP_2) | instid1(VALU_DEP_3)
	v_mul_lo_u32 v7, v8, s6
	v_add_nc_u32_e32 v1, s36, v1
	v_ashrrev_i32_e32 v4, 31, v3
	v_add3_u32 v6, v6, v9, v7
	s_delay_alu instid0(VALU_DEP_2) | instskip(SKIP_1) | instid1(VALU_DEP_3)
	v_lshlrev_b64 v[7:8], 1, v[3:4]
	v_lshlrev_b64 v[3:4], 2, v[3:4]
	;; [unrolled: 1-line block ×3, first 2 shown]
	s_delay_alu instid0(VALU_DEP_3) | instskip(NEXT) | instid1(VALU_DEP_4)
	v_add_co_u32 v7, vcc_lo, s25, v7
	v_add_co_ci_u32_e32 v8, vcc_lo, s30, v8, vcc_lo
	s_delay_alu instid0(VALU_DEP_3) | instskip(NEXT) | instid1(VALU_DEP_4)
	v_add_co_u32 v10, vcc_lo, s31, v5
	v_add_co_ci_u32_e32 v11, vcc_lo, s33, v6, vcc_lo
	s_delay_alu instid0(VALU_DEP_4) | instskip(NEXT) | instid1(VALU_DEP_4)
	v_add_co_u32 v5, vcc_lo, v7, s4
	v_add_co_ci_u32_e32 v6, vcc_lo, s5, v8, vcc_lo
	s_delay_alu instid0(VALU_DEP_4) | instskip(NEXT) | instid1(VALU_DEP_4)
	v_add_co_u32 v3, vcc_lo, v10, v3
	v_add_co_ci_u32_e32 v4, vcc_lo, v11, v4, vcc_lo
	s_clause 0x1
	global_load_u16 v9, v[7:8], off
	global_load_u16 v7, v[5:6], off
	v_add_co_u32 v5, vcc_lo, v3, s22
	v_add_co_ci_u32_e32 v6, vcc_lo, s23, v4, vcc_lo
	s_clause 0x1
	global_load_b32 v8, v[3:4], off
	global_load_b32 v10, v[5:6], off
	v_cmp_le_i32_e32 vcc_lo, s17, v1
	s_or_b32 s35, vcc_lo, s35
	s_waitcnt vmcnt(3)
	v_cvt_f32_f16_e32 v11, v9
	s_waitcnt vmcnt(2)
	v_cvt_f32_f16_e32 v12, v7
	s_waitcnt vmcnt(0)
	s_delay_alu instid0(VALU_DEP_1) | instskip(SKIP_1) | instid1(VALU_DEP_2)
	v_mul_f32_e32 v12, v10, v12
	v_mul_f32_e32 v10, v10, v11
	v_fma_mix_f32 v9, v8, v9, -v12 op_sel_hi:[0,1,0]
	s_delay_alu instid0(VALU_DEP_2)
	v_fma_mix_f32 v7, v8, v7, v10 op_sel_hi:[0,1,0]
	s_clause 0x1
	global_store_b32 v[3:4], v9, off
	global_store_b32 v[5:6], v7, off
	s_and_not1_b32 exec_lo, exec_lo, s35
	s_cbranch_execnz .LBB92_3
.LBB92_4:
	s_or_b32 exec_lo, exec_lo, s24
	s_load_b128 s[4:7], s[0:1], 0x68
	s_waitcnt lgkmcnt(0)
	s_ashr_i32 s31, s7, 31
	s_mov_b32 s30, s7
	s_delay_alu instid0(SALU_CYCLE_1) | instskip(SKIP_1) | instid1(SALU_CYCLE_1)
	s_or_b64 s[24:25], s[28:29], s[30:31]
	s_mov_b32 s24, 0
	s_cmp_lg_u64 s[24:25], 0
	s_cbranch_scc0 .LBB92_68
; %bb.5:
	s_add_u32 s34, s30, s31
	s_mov_b32 s22, s31
	s_mov_b32 s23, s31
	s_addc_u32 s35, s31, s31
	s_delay_alu instid0(SALU_CYCLE_1) | instskip(NEXT) | instid1(SALU_CYCLE_1)
	s_xor_b64 s[34:35], s[34:35], s[22:23]
	v_cvt_f32_u32_e32 v1, s34
	v_cvt_f32_u32_e32 v2, s35
	s_sub_u32 s21, 0, s34
	s_subb_u32 s25, 0, s35
	s_delay_alu instid0(VALU_DEP_1) | instskip(NEXT) | instid1(VALU_DEP_1)
	v_fmamk_f32 v1, v2, 0x4f800000, v1
	v_rcp_f32_e32 v1, v1
	s_waitcnt_depctr 0xfff
	v_mul_f32_e32 v1, 0x5f7ffffc, v1
	s_delay_alu instid0(VALU_DEP_1) | instskip(NEXT) | instid1(VALU_DEP_1)
	v_mul_f32_e32 v2, 0x2f800000, v1
	v_trunc_f32_e32 v2, v2
	s_delay_alu instid0(VALU_DEP_1) | instskip(SKIP_1) | instid1(VALU_DEP_2)
	v_fmamk_f32 v1, v2, 0xcf800000, v1
	v_cvt_u32_f32_e32 v2, v2
	v_cvt_u32_f32_e32 v1, v1
	s_delay_alu instid0(VALU_DEP_2) | instskip(NEXT) | instid1(VALU_DEP_2)
	v_readfirstlane_b32 s7, v2
	v_readfirstlane_b32 s17, v1
	s_delay_alu instid0(VALU_DEP_2) | instskip(NEXT) | instid1(VALU_DEP_1)
	s_mul_i32 s33, s21, s7
	s_mul_hi_u32 s37, s21, s17
	s_mul_i32 s36, s25, s17
	s_add_i32 s33, s37, s33
	s_mul_i32 s38, s21, s17
	s_add_i32 s33, s33, s36
	s_mul_hi_u32 s37, s17, s38
	s_mul_hi_u32 s39, s7, s38
	s_mul_i32 s36, s7, s38
	s_mul_hi_u32 s38, s17, s33
	s_mul_i32 s17, s17, s33
	s_mul_hi_u32 s40, s7, s33
	s_add_u32 s17, s37, s17
	s_addc_u32 s37, 0, s38
	s_add_u32 s17, s17, s36
	s_mul_i32 s33, s7, s33
	s_addc_u32 s17, s37, s39
	s_addc_u32 s36, s40, 0
	s_add_u32 s17, s17, s33
	s_addc_u32 s33, 0, s36
	v_add_co_u32 v1, s17, v1, s17
	s_delay_alu instid0(VALU_DEP_1) | instskip(SKIP_1) | instid1(VALU_DEP_1)
	s_cmp_lg_u32 s17, 0
	s_addc_u32 s7, s7, s33
	v_readfirstlane_b32 s17, v1
	s_mul_i32 s33, s21, s7
	s_delay_alu instid0(VALU_DEP_1)
	s_mul_hi_u32 s36, s21, s17
	s_mul_i32 s25, s25, s17
	s_add_i32 s33, s36, s33
	s_mul_i32 s21, s21, s17
	s_add_i32 s33, s33, s25
	s_mul_hi_u32 s36, s7, s21
	s_mul_i32 s37, s7, s21
	s_mul_hi_u32 s21, s17, s21
	s_mul_hi_u32 s38, s17, s33
	s_mul_i32 s17, s17, s33
	s_mul_hi_u32 s25, s7, s33
	s_add_u32 s17, s21, s17
	s_addc_u32 s21, 0, s38
	s_add_u32 s17, s17, s37
	s_mul_i32 s33, s7, s33
	s_addc_u32 s17, s21, s36
	s_addc_u32 s21, s25, 0
	s_add_u32 s17, s17, s33
	s_addc_u32 s21, 0, s21
	v_add_co_u32 v1, s17, v1, s17
	s_delay_alu instid0(VALU_DEP_1) | instskip(SKIP_2) | instid1(VALU_DEP_1)
	s_cmp_lg_u32 s17, 0
	s_addc_u32 s7, s7, s21
	s_ashr_i32 s36, s29, 31
	v_readfirstlane_b32 s17, v1
	s_add_u32 s38, s28, s36
	s_mov_b32 s37, s36
	s_addc_u32 s39, s29, s36
	s_delay_alu instid0(SALU_CYCLE_1) | instskip(NEXT) | instid1(SALU_CYCLE_1)
	s_xor_b64 s[38:39], s[38:39], s[36:37]
	s_mul_i32 s25, s38, s7
	s_mul_hi_u32 s33, s38, s17
	s_mul_hi_u32 s21, s38, s7
	;; [unrolled: 1-line block ×3, first 2 shown]
	s_mul_i32 s17, s39, s17
	s_add_u32 s25, s33, s25
	s_addc_u32 s21, 0, s21
	s_mul_hi_u32 s40, s39, s7
	s_add_u32 s17, s25, s17
	s_mul_i32 s7, s39, s7
	s_addc_u32 s17, s21, s41
	s_addc_u32 s21, s40, 0
	s_add_u32 s7, s17, s7
	s_addc_u32 s17, 0, s21
	s_mul_hi_u32 s21, s34, s7
	s_mul_i32 s33, s34, s17
	s_mul_i32 s40, s34, s7
	s_add_i32 s21, s21, s33
	v_sub_co_u32 v1, s33, s38, s40
	s_mul_i32 s25, s35, s7
	s_delay_alu instid0(SALU_CYCLE_1) | instskip(NEXT) | instid1(VALU_DEP_1)
	s_add_i32 s21, s21, s25
	v_sub_co_u32 v2, s38, v1, s34
	s_sub_i32 s25, s39, s21
	s_cmp_lg_u32 s33, 0
	s_subb_u32 s25, s25, s35
	s_cmp_lg_u32 s38, 0
	v_readfirstlane_b32 s38, v2
	s_subb_u32 s25, s25, 0
	s_delay_alu instid0(SALU_CYCLE_1) | instskip(SKIP_1) | instid1(VALU_DEP_1)
	s_cmp_ge_u32 s25, s35
	s_cselect_b32 s40, -1, 0
	s_cmp_ge_u32 s38, s34
	s_cselect_b32 s38, -1, 0
	s_cmp_eq_u32 s25, s35
	s_cselect_b32 s25, s38, s40
	s_add_u32 s38, s7, 1
	s_addc_u32 s40, s17, 0
	s_add_u32 s41, s7, 2
	s_addc_u32 s42, s17, 0
	s_cmp_lg_u32 s25, 0
	s_cselect_b32 s25, s41, s38
	s_cselect_b32 s38, s42, s40
	s_cmp_lg_u32 s33, 0
	v_readfirstlane_b32 s33, v1
	s_subb_u32 s21, s39, s21
	s_delay_alu instid0(SALU_CYCLE_1) | instskip(SKIP_1) | instid1(VALU_DEP_1)
	s_cmp_ge_u32 s21, s35
	s_cselect_b32 s39, -1, 0
	s_cmp_ge_u32 s33, s34
	s_cselect_b32 s33, -1, 0
	s_cmp_eq_u32 s21, s35
	s_cselect_b32 s21, s33, s39
	s_delay_alu instid0(SALU_CYCLE_1) | instskip(SKIP_3) | instid1(SALU_CYCLE_1)
	s_cmp_lg_u32 s21, 0
	s_cselect_b32 s35, s38, s17
	s_cselect_b32 s34, s25, s7
	s_xor_b64 s[22:23], s[36:37], s[22:23]
	s_xor_b64 s[34:35], s[34:35], s[22:23]
	s_delay_alu instid0(SALU_CYCLE_1)
	s_sub_u32 s22, s34, s22
	s_subb_u32 s23, s35, s23
	s_and_not1_b32 vcc_lo, exec_lo, s24
	s_cbranch_vccnz .LBB92_7
.LBB92_6:
	v_cvt_f32_u32_e32 v1, s30
	s_sub_i32 s17, 0, s30
	s_mov_b32 s23, 0
	s_delay_alu instid0(VALU_DEP_1) | instskip(SKIP_2) | instid1(VALU_DEP_1)
	v_rcp_iflag_f32_e32 v1, v1
	s_waitcnt_depctr 0xfff
	v_mul_f32_e32 v1, 0x4f7ffffe, v1
	v_cvt_u32_f32_e32 v1, v1
	s_delay_alu instid0(VALU_DEP_1) | instskip(NEXT) | instid1(VALU_DEP_1)
	v_readfirstlane_b32 s7, v1
	s_mul_i32 s17, s17, s7
	s_delay_alu instid0(SALU_CYCLE_1) | instskip(NEXT) | instid1(SALU_CYCLE_1)
	s_mul_hi_u32 s17, s7, s17
	s_add_i32 s7, s7, s17
	s_delay_alu instid0(SALU_CYCLE_1) | instskip(NEXT) | instid1(SALU_CYCLE_1)
	s_mul_hi_u32 s7, s28, s7
	s_mul_i32 s17, s7, s30
	s_add_i32 s21, s7, 1
	s_sub_i32 s17, s28, s17
	s_delay_alu instid0(SALU_CYCLE_1)
	s_sub_i32 s22, s17, s30
	s_cmp_ge_u32 s17, s30
	s_cselect_b32 s7, s21, s7
	s_cselect_b32 s17, s22, s17
	s_add_i32 s21, s7, 1
	s_cmp_ge_u32 s17, s30
	s_cselect_b32 s22, s21, s7
.LBB92_7:
	s_load_b64 s[24:25], s[0:1], 0x78
	s_mul_i32 s7, s22, s31
	s_mul_hi_u32 s17, s22, s30
	s_mul_i32 s21, s22, s30
	s_add_i32 s7, s17, s7
	s_mul_i32 s17, s23, s30
	s_mul_i32 s30, s23, s4
	s_add_i32 s17, s7, s17
	s_sub_u32 s7, s28, s21
	s_subb_u32 s17, s29, s17
	s_mul_hi_u32 s29, s22, s4
	s_mul_i32 s31, s22, s4
	s_mul_hi_u32 s28, s7, s5
	s_mul_i32 s17, s17, s5
	s_mul_i32 s23, s7, s5
	s_mov_b32 s33, exec_lo
	v_cmpx_gt_i32_e64 s20, v0
	s_cbranch_execz .LBB92_46
; %bb.8:
	s_load_b32 s38, s[0:1], 0x8c
	s_ashr_i32 s36, s4, 31
	s_ashr_i32 s37, s5, 31
	s_mul_i32 s36, s22, s36
	s_mul_i32 s37, s7, s37
	s_add_i32 s36, s29, s36
	s_add_i32 s37, s28, s37
	s_ashr_i32 s21, s20, 31
	s_add_i32 s36, s36, s30
	s_add_i32 s37, s37, s17
	s_add_u32 s42, s31, s23
	s_addc_u32 s43, s36, s37
	s_add_u32 s36, s42, s18
	s_addc_u32 s37, s43, s19
	s_ashr_i32 s44, s6, 31
	s_add_u32 s36, s36, s6
	v_dual_mov_b32 v2, 0 :: v_dual_lshlrev_b32 v1, 1, v0
	s_addc_u32 s37, s37, s44
	s_lshl_b64 s[26:27], s[26:27], 1
	s_waitcnt lgkmcnt(0)
	s_and_b32 s38, s38, 0xffff
	s_add_u32 s2, s2, s26
	s_load_b32 s34, s[24:25], 0x0
	s_addc_u32 s3, s3, s27
	v_add_co_u32 v3, s2, s2, v1
	s_delay_alu instid0(VALU_DEP_1)
	v_add_co_ci_u32_e64 v4, null, s3, 0, s2
	s_mul_i32 s2, s9, s16
	s_mul_hi_u32 s9, s8, s16
	s_mul_i32 s26, s8, s16
	s_add_i32 s27, s9, s2
	v_lshlrev_b32_e32 v1, 2, v0
	s_lshl_b64 s[40:41], s[26:27], 2
	s_lshl_b32 s3, s38, 1
	s_lshl_b64 s[8:9], s[20:21], 1
	s_lshl_b64 s[26:27], s[20:21], 2
	s_add_u32 s2, s12, s40
	s_addc_u32 s12, s13, s41
	v_add_co_u32 v5, s2, s2, v1
	s_lshl_b32 s39, s38, 2
	v_add_co_ci_u32_e64 v6, null, s12, 0, s2
	s_add_u32 s2, s42, s20
	s_addc_u32 s12, s43, s21
	s_add_u32 s2, s2, s6
	s_addc_u32 s12, s12, s44
	s_add_u32 s21, s18, s2
	s_mov_b32 s35, 0
	s_addc_u32 s40, s19, s12
	s_mov_b64 s[12:13], 0
	s_branch .LBB92_10
.LBB92_9:                               ;   in Loop: Header=BB92_10 Depth=1
	s_or_b32 exec_lo, exec_lo, s2
	s_add_u32 s12, s12, s38
	v_add_co_u32 v3, vcc_lo, v3, s3
	v_add_nc_u32_e32 v1, s12, v0
	v_add_co_ci_u32_e32 v4, vcc_lo, 0, v4, vcc_lo
	v_add_co_u32 v5, vcc_lo, v5, s39
	v_add_co_ci_u32_e32 v6, vcc_lo, 0, v6, vcc_lo
	v_add_co_u32 v7, s2, s21, v0
	s_addc_u32 s13, s13, 0
	v_cmp_le_i32_e32 vcc_lo, s20, v1
	s_add_u32 s21, s21, s38
	v_add_co_ci_u32_e64 v8, null, s40, 0, s2
	s_addc_u32 s40, s40, 0
	s_add_u32 s36, s36, s38
	s_addc_u32 s37, s37, 0
	s_or_b32 s35, vcc_lo, s35
	global_store_b8 v[7:8], v9, off
	s_and_not1_b32 exec_lo, exec_lo, s35
	s_cbranch_execz .LBB92_46
.LBB92_10:                              ; =>This Inner Loop Header: Depth=1
	v_add_co_u32 v7, vcc_lo, v3, s8
	v_add_co_ci_u32_e32 v8, vcc_lo, s9, v4, vcc_lo
	v_add_co_u32 v13, vcc_lo, v5, s26
	v_add_co_ci_u32_e32 v14, vcc_lo, s27, v6, vcc_lo
	s_mov_b32 s2, exec_lo
	global_load_u16 v1, v[7:8], off
	s_clause 0x1
	global_load_b32 v8, v[13:14], off
	global_load_b32 v10, v[5:6], off
	global_load_u16 v9, v[3:4], off
	s_waitcnt vmcnt(3)
	v_cvt_f32_f16_e32 v7, v1
	s_waitcnt vmcnt(2)
	s_delay_alu instid0(VALU_DEP_1) | instskip(SKIP_1) | instid1(VALU_DEP_1)
	v_mul_f32_e32 v7, v8, v7
	s_waitcnt vmcnt(0)
	v_fma_mix_f32 v17, v10, v9, -v7 op_sel_hi:[0,1,0]
	s_delay_alu instid0(VALU_DEP_1) | instskip(SKIP_1) | instid1(VALU_DEP_1)
	v_lshlrev_b32_e32 v7, 16, v17
	s_waitcnt lgkmcnt(0)
	v_div_scale_f32 v11, null, s34, s34, v7
	s_delay_alu instid0(VALU_DEP_1) | instskip(SKIP_2) | instid1(VALU_DEP_1)
	v_rcp_f32_e32 v12, v11
	s_waitcnt_depctr 0xfff
	v_fma_f32 v15, -v11, v12, 1.0
	v_fmac_f32_e32 v12, v15, v12
	v_div_scale_f32 v15, vcc_lo, v7, s34, v7
	s_delay_alu instid0(VALU_DEP_1) | instskip(NEXT) | instid1(VALU_DEP_1)
	v_mul_f32_e32 v16, v15, v12
	v_fma_f32 v18, -v11, v16, v15
	s_delay_alu instid0(VALU_DEP_1) | instskip(NEXT) | instid1(VALU_DEP_1)
	v_fmac_f32_e32 v16, v18, v12
	v_fma_f32 v11, -v11, v16, v15
	s_delay_alu instid0(VALU_DEP_1) | instskip(NEXT) | instid1(VALU_DEP_1)
	v_div_fmas_f32 v11, v11, v12, v16
	v_div_fixup_f32 v7, v11, s34, v7
	v_cvt_f32_f16_e32 v11, v9
	v_mov_b32_e32 v16, v2
	s_delay_alu instid0(VALU_DEP_3) | instskip(NEXT) | instid1(VALU_DEP_3)
	v_lshrrev_b32_e32 v9, 24, v7
	v_mul_f32_e32 v8, v8, v11
	v_and_b32_e32 v15, 0x7f800000, v7
	s_delay_alu instid0(VALU_DEP_3) | instskip(NEXT) | instid1(VALU_DEP_3)
	v_and_b32_e32 v12, 0x80, v9
	v_fma_mix_f32 v11, v10, v1, v8 op_sel_hi:[0,1,0]
	v_and_b32_e32 v1, 0x7fffff, v7
	s_clause 0x1
	global_store_b32 v[5:6], v17, off
	global_store_b32 v[13:14], v11, off
	v_or_b32_e32 v8, 0x7e, v12
	v_cmpx_ne_u64_e32 0x7f800000, v[15:16]
	s_xor_b32 s41, exec_lo, s2
	s_cbranch_execz .LBB92_26
; %bb.11:                               ;   in Loop: Header=BB92_10 Depth=1
	v_dual_mov_b32 v10, v2 :: v_dual_and_b32 v9, 0x7fffffff, v7
	s_mov_b32 s2, exec_lo
	s_delay_alu instid0(VALU_DEP_1)
	v_cmpx_gt_u64_e32 0x43e00001, v[9:10]
	s_xor_b32 s42, exec_lo, s2
	s_cbranch_execz .LBB92_25
; %bb.12:                               ;   in Loop: Header=BB92_10 Depth=1
	v_mov_b32_e32 v8, 0
	s_mov_b32 s43, exec_lo
	v_cmpx_ne_u32_e32 0, v7
	s_cbranch_execz .LBB92_24
; %bb.13:                               ;   in Loop: Header=BB92_10 Depth=1
	v_bfe_u32 v13, v7, 23, 8
	v_or_b32_e32 v9, 0x800000, v1
	s_delay_alu instid0(VALU_DEP_2) | instskip(SKIP_1) | instid1(VALU_DEP_2)
	v_sub_nc_u32_e32 v7, 0x79, v13
	v_cmp_gt_u32_e32 vcc_lo, 0x7a, v13
	v_cndmask_b32_e32 v7, 0, v7, vcc_lo
	v_cmp_eq_u32_e32 vcc_lo, 0, v13
	s_delay_alu instid0(VALU_DEP_2) | instskip(SKIP_1) | instid1(VALU_DEP_2)
	v_cndmask_b32_e64 v14, v7, 0x78, vcc_lo
	v_cndmask_b32_e32 v1, v9, v1, vcc_lo
	v_add_nc_u32_e32 v7, 20, v14
	v_add_nc_u32_e32 v9, 19, v14
	s_delay_alu instid0(VALU_DEP_2) | instskip(NEXT) | instid1(VALU_DEP_2)
	v_lshlrev_b64 v[7:8], v7, -1
	v_lshlrev_b64 v[9:10], v9, 1
	s_delay_alu instid0(VALU_DEP_2) | instskip(NEXT) | instid1(VALU_DEP_3)
	v_not_b32_e32 v8, v8
	v_not_b32_e32 v7, v7
	s_delay_alu instid0(VALU_DEP_2) | instskip(NEXT) | instid1(VALU_DEP_2)
	v_and_b32_e32 v16, 0, v8
	v_and_b32_e32 v15, v1, v7
	v_lshrrev_b64 v[7:8], v14, v[1:2]
	s_delay_alu instid0(VALU_DEP_2) | instskip(NEXT) | instid1(VALU_DEP_2)
	v_cmp_eq_u64_e64 s2, v[15:16], v[9:10]
	v_dual_mov_b32 v10, v8 :: v_dual_mov_b32 v9, v7
	s_delay_alu instid0(VALU_DEP_2)
	s_and_saveexec_b32 s44, s2
; %bb.14:                               ;   in Loop: Header=BB92_10 Depth=1
	v_bfe_u32 v1, v7, 20, 1
	s_delay_alu instid0(VALU_DEP_1) | instskip(NEXT) | instid1(VALU_DEP_1)
	v_add_co_u32 v1, s2, v7, v1
	v_add_co_u32 v9, s2, v1, -1
; %bb.15:                               ;   in Loop: Header=BB92_10 Depth=1
	s_or_b32 exec_lo, exec_lo, s44
	v_add_nc_u32_e32 v1, 0xffffff81, v13
	v_lshrrev_b32_e32 v10, 23, v7
	s_mov_b32 s2, exec_lo
	s_delay_alu instid0(VALU_DEP_2) | instskip(NEXT) | instid1(VALU_DEP_1)
	v_cndmask_b32_e64 v1, v1, 0xffffff82, vcc_lo
	v_add3_u32 v10, v14, v1, v10
	v_and_b32_e32 v1, 0xfffff, v9
	s_delay_alu instid0(VALU_DEP_2) | instskip(NEXT) | instid1(VALU_DEP_2)
	v_add_nc_u32_e32 v9, 6, v10
	v_add_co_u32 v7, vcc_lo, v1, v7
	v_add_co_ci_u32_e32 v8, vcc_lo, 0, v8, vcc_lo
                                        ; implicit-def: $vgpr1
	s_delay_alu instid0(VALU_DEP_3)
	v_cmpx_ne_u32_e32 0, v9
	s_xor_b32 s2, exec_lo, s2
; %bb.16:                               ;   in Loop: Header=BB92_10 Depth=1
	s_delay_alu instid0(VALU_DEP_2) | instskip(SKIP_1) | instid1(VALU_DEP_1)
	v_cmp_lt_u64_e32 vcc_lo, 0xffffff, v[7:8]
	v_add_nc_u32_e32 v1, 7, v10
	v_cndmask_b32_e32 v1, v9, v1, vcc_lo
	v_cndmask_b32_e64 v9, 0, 1, vcc_lo
	s_delay_alu instid0(VALU_DEP_1)
	v_lshrrev_b64 v[7:8], v9, v[7:8]
; %bb.17:                               ;   in Loop: Header=BB92_10 Depth=1
	s_and_not1_saveexec_b32 s2, s2
; %bb.18:                               ;   in Loop: Header=BB92_10 Depth=1
	s_delay_alu instid0(VALU_DEP_1)
	v_bfe_u32 v1, v7, 23, 1
; %bb.19:                               ;   in Loop: Header=BB92_10 Depth=1
	s_or_b32 exec_lo, exec_lo, s2
	s_delay_alu instid0(VALU_DEP_2) | instskip(NEXT) | instid1(VALU_DEP_2)
	v_lshrrev_b64 v[7:8], 20, v[7:8]
	v_cmp_gt_i32_e32 vcc_lo, 16, v1
	v_cmp_ne_u32_e64 s2, 0, v1
	s_delay_alu instid0(VALU_DEP_3) | instskip(NEXT) | instid1(VALU_DEP_1)
	v_dual_cndmask_b32 v8, 0, v8 :: v_dual_cndmask_b32 v7, 7, v7
	v_cmp_ne_u64_e32 vcc_lo, 0, v[7:8]
                                        ; implicit-def: $vgpr8
	s_delay_alu instid0(VALU_DEP_3) | instskip(NEXT) | instid1(SALU_CYCLE_1)
	s_or_b32 s2, s2, vcc_lo
	s_and_saveexec_b32 s44, s2
	s_delay_alu instid0(SALU_CYCLE_1)
	s_xor_b32 s2, exec_lo, s44
; %bb.20:                               ;   in Loop: Header=BB92_10 Depth=1
	v_min_i32_e32 v1, 15, v1
	s_delay_alu instid0(VALU_DEP_1) | instskip(NEXT) | instid1(VALU_DEP_1)
	v_lshl_or_b32 v1, v1, 3, v12
                                        ; implicit-def: $vgpr12
	v_and_or_b32 v8, v7, 7, v1
; %bb.21:                               ;   in Loop: Header=BB92_10 Depth=1
	s_and_not1_saveexec_b32 s2, s2
; %bb.22:                               ;   in Loop: Header=BB92_10 Depth=1
	v_mov_b32_e32 v8, v12
; %bb.23:                               ;   in Loop: Header=BB92_10 Depth=1
	s_or_b32 exec_lo, exec_lo, s2
.LBB92_24:                              ;   in Loop: Header=BB92_10 Depth=1
	s_delay_alu instid0(SALU_CYCLE_1)
	s_or_b32 exec_lo, exec_lo, s43
.LBB92_25:                              ;   in Loop: Header=BB92_10 Depth=1
	s_and_not1_saveexec_b32 s2, s42
	s_delay_alu instid0(SALU_CYCLE_1)
	s_or_b32 exec_lo, exec_lo, s2
                                        ; implicit-def: $vgpr9
.LBB92_26:                              ;   in Loop: Header=BB92_10 Depth=1
	s_and_not1_saveexec_b32 s2, s41
; %bb.27:                               ;   in Loop: Header=BB92_10 Depth=1
	v_cmp_eq_u64_e32 vcc_lo, 0, v[1:2]
	v_or_b32_e32 v7, 0x7f, v9
	s_delay_alu instid0(VALU_DEP_1)
	v_cndmask_b32_e32 v8, v7, v8, vcc_lo
; %bb.28:                               ;   in Loop: Header=BB92_10 Depth=1
	s_or_b32 exec_lo, exec_lo, s2
	v_lshlrev_b32_e32 v1, 16, v11
	v_add_co_u32 v14, s2, s36, v0
	s_delay_alu instid0(VALU_DEP_1) | instskip(NEXT) | instid1(VALU_DEP_3)
	v_add_co_ci_u32_e64 v15, null, s37, 0, s2
	v_div_scale_f32 v7, null, s34, s34, v1
	v_div_scale_f32 v11, vcc_lo, v1, s34, v1
	global_store_b8 v[14:15], v8, off
	v_rcp_f32_e32 v9, v7
	s_mov_b32 s2, exec_lo
	v_mov_b32_e32 v13, v2
	s_waitcnt_depctr 0xfff
	v_fma_f32 v10, -v7, v9, 1.0
	s_delay_alu instid0(VALU_DEP_1) | instskip(NEXT) | instid1(VALU_DEP_1)
	v_fmac_f32_e32 v9, v10, v9
	v_mul_f32_e32 v10, v11, v9
	s_delay_alu instid0(VALU_DEP_1) | instskip(NEXT) | instid1(VALU_DEP_1)
	v_fma_f32 v12, -v7, v10, v11
	v_fmac_f32_e32 v10, v12, v9
	s_delay_alu instid0(VALU_DEP_1) | instskip(NEXT) | instid1(VALU_DEP_1)
	v_fma_f32 v7, -v7, v10, v11
	v_div_fmas_f32 v7, v7, v9, v10
	s_delay_alu instid0(VALU_DEP_1) | instskip(NEXT) | instid1(VALU_DEP_1)
	v_div_fixup_f32 v7, v7, s34, v1
	v_lshrrev_b32_e32 v10, 24, v7
	v_and_b32_e32 v12, 0x7f800000, v7
	v_and_b32_e32 v1, 0x7fffff, v7
	s_delay_alu instid0(VALU_DEP_3) | instskip(NEXT) | instid1(VALU_DEP_1)
	v_and_b32_e32 v11, 0x80, v10
	v_or_b32_e32 v9, 0x7e, v11
	s_delay_alu instid0(VALU_DEP_4)
	v_cmpx_ne_u64_e32 0x7f800000, v[12:13]
	s_xor_b32 s41, exec_lo, s2
	s_cbranch_execz .LBB92_44
; %bb.29:                               ;   in Loop: Header=BB92_10 Depth=1
	v_dual_mov_b32 v13, v2 :: v_dual_and_b32 v12, 0x7fffffff, v7
	s_mov_b32 s2, exec_lo
	s_delay_alu instid0(VALU_DEP_1)
	v_cmpx_gt_u64_e32 0x43e00001, v[12:13]
	s_xor_b32 s42, exec_lo, s2
	s_cbranch_execz .LBB92_43
; %bb.30:                               ;   in Loop: Header=BB92_10 Depth=1
	v_mov_b32_e32 v9, 0
	s_mov_b32 s43, exec_lo
	v_cmpx_ne_u32_e32 0, v7
	s_cbranch_execz .LBB92_42
; %bb.31:                               ;   in Loop: Header=BB92_10 Depth=1
	v_bfe_u32 v12, v7, 23, 8
	v_or_b32_e32 v9, 0x800000, v1
	s_delay_alu instid0(VALU_DEP_2) | instskip(SKIP_1) | instid1(VALU_DEP_2)
	v_sub_nc_u32_e32 v7, 0x79, v12
	v_cmp_gt_u32_e32 vcc_lo, 0x7a, v12
	v_cndmask_b32_e32 v7, 0, v7, vcc_lo
	v_cmp_eq_u32_e32 vcc_lo, 0, v12
	s_delay_alu instid0(VALU_DEP_2) | instskip(SKIP_1) | instid1(VALU_DEP_2)
	v_cndmask_b32_e64 v13, v7, 0x78, vcc_lo
	v_cndmask_b32_e32 v1, v9, v1, vcc_lo
	v_add_nc_u32_e32 v7, 20, v13
	v_add_nc_u32_e32 v9, 19, v13
	s_delay_alu instid0(VALU_DEP_2) | instskip(NEXT) | instid1(VALU_DEP_2)
	v_lshlrev_b64 v[7:8], v7, -1
	v_lshlrev_b64 v[9:10], v9, 1
	s_delay_alu instid0(VALU_DEP_2) | instskip(NEXT) | instid1(VALU_DEP_3)
	v_not_b32_e32 v8, v8
	v_not_b32_e32 v7, v7
	s_delay_alu instid0(VALU_DEP_2) | instskip(NEXT) | instid1(VALU_DEP_2)
	v_and_b32_e32 v15, 0, v8
	v_and_b32_e32 v14, v1, v7
	v_lshrrev_b64 v[7:8], v13, v[1:2]
	s_delay_alu instid0(VALU_DEP_2) | instskip(NEXT) | instid1(VALU_DEP_2)
	v_cmp_eq_u64_e64 s2, v[14:15], v[9:10]
	v_dual_mov_b32 v10, v8 :: v_dual_mov_b32 v9, v7
	s_delay_alu instid0(VALU_DEP_2)
	s_and_saveexec_b32 s44, s2
; %bb.32:                               ;   in Loop: Header=BB92_10 Depth=1
	v_bfe_u32 v1, v7, 20, 1
	s_delay_alu instid0(VALU_DEP_1) | instskip(NEXT) | instid1(VALU_DEP_1)
	v_add_co_u32 v1, s2, v7, v1
	v_add_co_u32 v9, s2, v1, -1
; %bb.33:                               ;   in Loop: Header=BB92_10 Depth=1
	s_or_b32 exec_lo, exec_lo, s44
	v_add_nc_u32_e32 v1, 0xffffff81, v12
	v_lshrrev_b32_e32 v10, 23, v7
	s_mov_b32 s2, exec_lo
	s_delay_alu instid0(VALU_DEP_2) | instskip(NEXT) | instid1(VALU_DEP_1)
	v_cndmask_b32_e64 v1, v1, 0xffffff82, vcc_lo
	v_add3_u32 v10, v13, v1, v10
	v_and_b32_e32 v1, 0xfffff, v9
	s_delay_alu instid0(VALU_DEP_2) | instskip(NEXT) | instid1(VALU_DEP_2)
	v_add_nc_u32_e32 v9, 6, v10
	v_add_co_u32 v7, vcc_lo, v1, v7
	v_add_co_ci_u32_e32 v8, vcc_lo, 0, v8, vcc_lo
                                        ; implicit-def: $vgpr1
	s_delay_alu instid0(VALU_DEP_3)
	v_cmpx_ne_u32_e32 0, v9
	s_xor_b32 s2, exec_lo, s2
; %bb.34:                               ;   in Loop: Header=BB92_10 Depth=1
	s_delay_alu instid0(VALU_DEP_2) | instskip(SKIP_1) | instid1(VALU_DEP_1)
	v_cmp_lt_u64_e32 vcc_lo, 0xffffff, v[7:8]
	v_add_nc_u32_e32 v1, 7, v10
	v_cndmask_b32_e32 v1, v9, v1, vcc_lo
	v_cndmask_b32_e64 v9, 0, 1, vcc_lo
	s_delay_alu instid0(VALU_DEP_1)
	v_lshrrev_b64 v[7:8], v9, v[7:8]
; %bb.35:                               ;   in Loop: Header=BB92_10 Depth=1
	s_and_not1_saveexec_b32 s2, s2
; %bb.36:                               ;   in Loop: Header=BB92_10 Depth=1
	s_delay_alu instid0(VALU_DEP_1)
	v_bfe_u32 v1, v7, 23, 1
; %bb.37:                               ;   in Loop: Header=BB92_10 Depth=1
	s_or_b32 exec_lo, exec_lo, s2
	s_delay_alu instid0(VALU_DEP_2) | instskip(NEXT) | instid1(VALU_DEP_2)
	v_lshrrev_b64 v[7:8], 20, v[7:8]
	v_cmp_gt_i32_e32 vcc_lo, 16, v1
	v_cmp_ne_u32_e64 s2, 0, v1
                                        ; implicit-def: $vgpr9
	s_delay_alu instid0(VALU_DEP_3) | instskip(NEXT) | instid1(VALU_DEP_1)
	v_dual_cndmask_b32 v8, 0, v8 :: v_dual_cndmask_b32 v7, 7, v7
	v_cmp_ne_u64_e32 vcc_lo, 0, v[7:8]
	s_delay_alu instid0(VALU_DEP_3) | instskip(NEXT) | instid1(SALU_CYCLE_1)
	s_or_b32 s2, s2, vcc_lo
	s_and_saveexec_b32 s44, s2
	s_delay_alu instid0(SALU_CYCLE_1)
	s_xor_b32 s2, exec_lo, s44
; %bb.38:                               ;   in Loop: Header=BB92_10 Depth=1
	v_min_i32_e32 v1, 15, v1
	s_delay_alu instid0(VALU_DEP_1) | instskip(NEXT) | instid1(VALU_DEP_1)
	v_lshl_or_b32 v1, v1, 3, v11
                                        ; implicit-def: $vgpr11
	v_and_or_b32 v9, v7, 7, v1
; %bb.39:                               ;   in Loop: Header=BB92_10 Depth=1
	s_and_not1_saveexec_b32 s2, s2
; %bb.40:                               ;   in Loop: Header=BB92_10 Depth=1
	v_mov_b32_e32 v9, v11
; %bb.41:                               ;   in Loop: Header=BB92_10 Depth=1
	s_or_b32 exec_lo, exec_lo, s2
.LBB92_42:                              ;   in Loop: Header=BB92_10 Depth=1
	s_delay_alu instid0(SALU_CYCLE_1)
	s_or_b32 exec_lo, exec_lo, s43
.LBB92_43:                              ;   in Loop: Header=BB92_10 Depth=1
	s_and_not1_saveexec_b32 s2, s42
	s_delay_alu instid0(SALU_CYCLE_1)
	s_or_b32 exec_lo, exec_lo, s2
                                        ; implicit-def: $vgpr10
.LBB92_44:                              ;   in Loop: Header=BB92_10 Depth=1
	s_and_not1_saveexec_b32 s2, s41
	s_cbranch_execz .LBB92_9
; %bb.45:                               ;   in Loop: Header=BB92_10 Depth=1
	v_cmp_eq_u64_e32 vcc_lo, 0, v[1:2]
	v_or_b32_e32 v7, 0x7f, v10
	s_delay_alu instid0(VALU_DEP_1)
	v_cndmask_b32_e32 v9, v7, v9, vcc_lo
	s_branch .LBB92_9
.LBB92_46:
	s_or_b32 exec_lo, exec_lo, s33
	s_delay_alu instid0(SALU_CYCLE_1)
	s_mov_b32 s2, exec_lo
	v_cmpx_gt_i32_e64 s6, v0
	s_cbranch_execz .LBB92_67
; %bb.47:
	s_mul_i32 s3, s16, s11
	s_mul_hi_u32 s8, s16, s10
	s_mul_i32 s2, s16, s10
	s_add_i32 s3, s8, s3
	s_load_b32 s0, s[0:1], 0x8c
	s_lshl_b64 s[2:3], s[2:3], 2
	v_mov_b32_e32 v3, 0
	s_add_u32 s1, s14, s2
	s_addc_u32 s2, s15, s3
	s_waitcnt lgkmcnt(0)
	s_load_b32 s3, s[24:25], 0x0
	s_ashr_i32 s4, s4, 31
	s_delay_alu instid0(SALU_CYCLE_1) | instskip(NEXT) | instid1(SALU_CYCLE_1)
	s_mul_i32 s4, s22, s4
	s_add_i32 s4, s29, s4
	s_delay_alu instid0(SALU_CYCLE_1) | instskip(SKIP_3) | instid1(SALU_CYCLE_1)
	s_add_i32 s4, s4, s30
	s_add_u32 s8, s18, s31
	s_addc_u32 s9, s19, s4
	s_ashr_i32 s4, s5, 31
	s_mul_i32 s7, s7, s4
	s_delay_alu instid0(SALU_CYCLE_1) | instskip(NEXT) | instid1(SALU_CYCLE_1)
	s_add_i32 s4, s28, s7
	s_add_i32 s5, s4, s17
	s_add_u32 s4, s8, s23
	s_addc_u32 s5, s9, s5
	s_and_b32 s7, s0, 0xffff
	s_mov_b32 s8, 0
	s_branch .LBB92_49
.LBB92_48:                              ;   in Loop: Header=BB92_49 Depth=1
	s_or_b32 exec_lo, exec_lo, s0
	v_add_co_u32 v6, vcc_lo, s4, v0
	v_add_nc_u32_e32 v0, s7, v0
	v_add_co_ci_u32_e32 v7, vcc_lo, s5, v1, vcc_lo
	s_delay_alu instid0(VALU_DEP_2) | instskip(SKIP_2) | instid1(SALU_CYCLE_1)
	v_cmp_le_i32_e32 vcc_lo, s6, v0
	global_store_b8 v[6:7], v5, off
	s_or_b32 s8, vcc_lo, s8
	s_and_not1_b32 exec_lo, exec_lo, s8
	s_cbranch_execz .LBB92_67
.LBB92_49:                              ; =>This Inner Loop Header: Depth=1
	v_ashrrev_i32_e32 v1, 31, v0
	s_mov_b32 s0, exec_lo
	v_mov_b32_e32 v10, v3
	s_delay_alu instid0(VALU_DEP_2) | instskip(NEXT) | instid1(VALU_DEP_1)
	v_lshlrev_b64 v[4:5], 2, v[0:1]
	v_add_co_u32 v4, vcc_lo, s1, v4
	s_delay_alu instid0(VALU_DEP_2) | instskip(SKIP_4) | instid1(VALU_DEP_1)
	v_add_co_ci_u32_e32 v5, vcc_lo, s2, v5, vcc_lo
	global_load_u16 v2, v[4:5], off
	s_waitcnt vmcnt(0)
	v_lshlrev_b32_e32 v2, 16, v2
	s_waitcnt lgkmcnt(0)
	v_div_scale_f32 v4, null, s3, s3, v2
	s_delay_alu instid0(VALU_DEP_1) | instskip(SKIP_2) | instid1(VALU_DEP_1)
	v_rcp_f32_e32 v5, v4
	s_waitcnt_depctr 0xfff
	v_fma_f32 v6, -v4, v5, 1.0
	v_fmac_f32_e32 v5, v6, v5
	v_div_scale_f32 v6, vcc_lo, v2, s3, v2
	s_delay_alu instid0(VALU_DEP_1) | instskip(NEXT) | instid1(VALU_DEP_1)
	v_mul_f32_e32 v7, v6, v5
	v_fma_f32 v8, -v4, v7, v6
	s_delay_alu instid0(VALU_DEP_1) | instskip(NEXT) | instid1(VALU_DEP_1)
	v_fmac_f32_e32 v7, v8, v5
	v_fma_f32 v4, -v4, v7, v6
	s_delay_alu instid0(VALU_DEP_1) | instskip(NEXT) | instid1(VALU_DEP_1)
	v_div_fmas_f32 v4, v4, v5, v7
	v_div_fixup_f32 v4, v4, s3, v2
	s_delay_alu instid0(VALU_DEP_1) | instskip(SKIP_2) | instid1(VALU_DEP_3)
	v_lshrrev_b32_e32 v6, 24, v4
	v_and_b32_e32 v9, 0x7f800000, v4
	v_and_b32_e32 v2, 0x7fffff, v4
	;; [unrolled: 1-line block ×3, first 2 shown]
	s_delay_alu instid0(VALU_DEP_1) | instskip(NEXT) | instid1(VALU_DEP_4)
	v_or_b32_e32 v5, 0x7e, v8
	v_cmpx_ne_u64_e32 0x7f800000, v[9:10]
	s_xor_b32 s9, exec_lo, s0
	s_cbranch_execz .LBB92_65
; %bb.50:                               ;   in Loop: Header=BB92_49 Depth=1
	v_dual_mov_b32 v7, v3 :: v_dual_and_b32 v6, 0x7fffffff, v4
	s_mov_b32 s0, exec_lo
	s_delay_alu instid0(VALU_DEP_1)
	v_cmpx_gt_u64_e32 0x43e00001, v[6:7]
	s_xor_b32 s10, exec_lo, s0
	s_cbranch_execz .LBB92_64
; %bb.51:                               ;   in Loop: Header=BB92_49 Depth=1
	v_mov_b32_e32 v5, 0
	s_mov_b32 s11, exec_lo
	v_cmpx_ne_u32_e32 0, v4
	s_cbranch_execz .LBB92_63
; %bb.52:                               ;   in Loop: Header=BB92_49 Depth=1
	v_bfe_u32 v9, v4, 23, 8
	v_or_b32_e32 v6, 0x800000, v2
	s_delay_alu instid0(VALU_DEP_2) | instskip(SKIP_1) | instid1(VALU_DEP_2)
	v_sub_nc_u32_e32 v4, 0x79, v9
	v_cmp_gt_u32_e32 vcc_lo, 0x7a, v9
	v_cndmask_b32_e32 v4, 0, v4, vcc_lo
	v_cmp_eq_u32_e32 vcc_lo, 0, v9
	s_delay_alu instid0(VALU_DEP_2) | instskip(SKIP_1) | instid1(VALU_DEP_2)
	v_cndmask_b32_e64 v10, v4, 0x78, vcc_lo
	v_cndmask_b32_e32 v2, v6, v2, vcc_lo
	v_add_nc_u32_e32 v4, 20, v10
	v_add_nc_u32_e32 v6, 19, v10
	s_delay_alu instid0(VALU_DEP_2) | instskip(NEXT) | instid1(VALU_DEP_2)
	v_lshlrev_b64 v[4:5], v4, -1
	v_lshlrev_b64 v[6:7], v6, 1
	s_delay_alu instid0(VALU_DEP_2) | instskip(NEXT) | instid1(VALU_DEP_3)
	v_not_b32_e32 v5, v5
	v_not_b32_e32 v4, v4
	s_delay_alu instid0(VALU_DEP_2) | instskip(NEXT) | instid1(VALU_DEP_2)
	v_and_b32_e32 v12, 0, v5
	v_and_b32_e32 v11, v2, v4
	v_lshrrev_b64 v[4:5], v10, v[2:3]
	s_delay_alu instid0(VALU_DEP_2) | instskip(NEXT) | instid1(VALU_DEP_2)
	v_cmp_eq_u64_e64 s0, v[11:12], v[6:7]
	v_dual_mov_b32 v7, v5 :: v_dual_mov_b32 v6, v4
	s_delay_alu instid0(VALU_DEP_2)
	s_and_saveexec_b32 s12, s0
; %bb.53:                               ;   in Loop: Header=BB92_49 Depth=1
	v_bfe_u32 v2, v4, 20, 1
	s_delay_alu instid0(VALU_DEP_1) | instskip(NEXT) | instid1(VALU_DEP_1)
	v_add_co_u32 v2, s0, v4, v2
	v_add_co_u32 v6, s0, v2, -1
; %bb.54:                               ;   in Loop: Header=BB92_49 Depth=1
	s_or_b32 exec_lo, exec_lo, s12
	v_add_nc_u32_e32 v2, 0xffffff81, v9
	v_lshrrev_b32_e32 v7, 23, v4
	s_mov_b32 s0, exec_lo
	s_delay_alu instid0(VALU_DEP_2) | instskip(NEXT) | instid1(VALU_DEP_1)
	v_cndmask_b32_e64 v2, v2, 0xffffff82, vcc_lo
	v_add3_u32 v7, v10, v2, v7
	v_and_b32_e32 v2, 0xfffff, v6
	s_delay_alu instid0(VALU_DEP_2) | instskip(NEXT) | instid1(VALU_DEP_2)
	v_add_nc_u32_e32 v6, 6, v7
	v_add_co_u32 v4, vcc_lo, v2, v4
	v_add_co_ci_u32_e32 v5, vcc_lo, 0, v5, vcc_lo
                                        ; implicit-def: $vgpr2
	s_delay_alu instid0(VALU_DEP_3)
	v_cmpx_ne_u32_e32 0, v6
	s_xor_b32 s0, exec_lo, s0
; %bb.55:                               ;   in Loop: Header=BB92_49 Depth=1
	s_delay_alu instid0(VALU_DEP_2) | instskip(SKIP_1) | instid1(VALU_DEP_1)
	v_cmp_lt_u64_e32 vcc_lo, 0xffffff, v[4:5]
	v_add_nc_u32_e32 v2, 7, v7
	v_cndmask_b32_e32 v2, v6, v2, vcc_lo
	v_cndmask_b32_e64 v6, 0, 1, vcc_lo
	s_delay_alu instid0(VALU_DEP_1)
	v_lshrrev_b64 v[4:5], v6, v[4:5]
; %bb.56:                               ;   in Loop: Header=BB92_49 Depth=1
	s_and_not1_saveexec_b32 s0, s0
; %bb.57:                               ;   in Loop: Header=BB92_49 Depth=1
	s_delay_alu instid0(VALU_DEP_1)
	v_bfe_u32 v2, v4, 23, 1
; %bb.58:                               ;   in Loop: Header=BB92_49 Depth=1
	s_or_b32 exec_lo, exec_lo, s0
	s_delay_alu instid0(VALU_DEP_2) | instskip(NEXT) | instid1(VALU_DEP_2)
	v_lshrrev_b64 v[4:5], 20, v[4:5]
	v_cmp_gt_i32_e32 vcc_lo, 16, v2
	v_cmp_ne_u32_e64 s0, 0, v2
	s_delay_alu instid0(VALU_DEP_3) | instskip(NEXT) | instid1(VALU_DEP_1)
	v_dual_cndmask_b32 v5, 0, v5 :: v_dual_cndmask_b32 v4, 7, v4
	v_cmp_ne_u64_e32 vcc_lo, 0, v[4:5]
                                        ; implicit-def: $vgpr5
	s_delay_alu instid0(VALU_DEP_3) | instskip(NEXT) | instid1(SALU_CYCLE_1)
	s_or_b32 s0, s0, vcc_lo
	s_and_saveexec_b32 s12, s0
	s_delay_alu instid0(SALU_CYCLE_1)
	s_xor_b32 s0, exec_lo, s12
; %bb.59:                               ;   in Loop: Header=BB92_49 Depth=1
	v_min_i32_e32 v2, 15, v2
	s_delay_alu instid0(VALU_DEP_1) | instskip(NEXT) | instid1(VALU_DEP_1)
	v_lshl_or_b32 v2, v2, 3, v8
                                        ; implicit-def: $vgpr8
	v_and_or_b32 v5, v4, 7, v2
; %bb.60:                               ;   in Loop: Header=BB92_49 Depth=1
	s_and_not1_saveexec_b32 s0, s0
; %bb.61:                               ;   in Loop: Header=BB92_49 Depth=1
	v_mov_b32_e32 v5, v8
; %bb.62:                               ;   in Loop: Header=BB92_49 Depth=1
	s_or_b32 exec_lo, exec_lo, s0
.LBB92_63:                              ;   in Loop: Header=BB92_49 Depth=1
	s_delay_alu instid0(SALU_CYCLE_1)
	s_or_b32 exec_lo, exec_lo, s11
.LBB92_64:                              ;   in Loop: Header=BB92_49 Depth=1
	s_and_not1_saveexec_b32 s0, s10
	s_delay_alu instid0(SALU_CYCLE_1)
	s_or_b32 exec_lo, exec_lo, s0
                                        ; implicit-def: $vgpr6
.LBB92_65:                              ;   in Loop: Header=BB92_49 Depth=1
	s_and_not1_saveexec_b32 s0, s9
	s_cbranch_execz .LBB92_48
; %bb.66:                               ;   in Loop: Header=BB92_49 Depth=1
	v_cmp_eq_u64_e32 vcc_lo, 0, v[2:3]
	v_or_b32_e32 v4, 0x7f, v6
	s_delay_alu instid0(VALU_DEP_1)
	v_cndmask_b32_e32 v5, v4, v5, vcc_lo
	s_branch .LBB92_48
.LBB92_67:
	s_nop 0
	s_sendmsg sendmsg(MSG_DEALLOC_VGPRS)
	s_endpgm
.LBB92_68:
                                        ; implicit-def: $sgpr22_sgpr23
	s_branch .LBB92_6
	.section	.rodata,"a",@progbits
	.p2align	6, 0x0
	.amdhsa_kernel _ZN4vllm38concat_and_cache_mla_rope_fused_kernelIfN3c104HalfELb1E14__hip_bfloat16hLNS_18Fp8KVCacheDataTypeE1EEEvPKlPT_S8_PKS7_PKT0_illlliPT3_S6_iiiiPKf
		.amdhsa_group_segment_fixed_size 0
		.amdhsa_private_segment_fixed_size 0
		.amdhsa_kernarg_size 384
		.amdhsa_user_sgpr_count 15
		.amdhsa_user_sgpr_dispatch_ptr 0
		.amdhsa_user_sgpr_queue_ptr 0
		.amdhsa_user_sgpr_kernarg_segment_ptr 1
		.amdhsa_user_sgpr_dispatch_id 0
		.amdhsa_user_sgpr_private_segment_size 0
		.amdhsa_wavefront_size32 1
		.amdhsa_uses_dynamic_stack 0
		.amdhsa_enable_private_segment 0
		.amdhsa_system_sgpr_workgroup_id_x 1
		.amdhsa_system_sgpr_workgroup_id_y 0
		.amdhsa_system_sgpr_workgroup_id_z 0
		.amdhsa_system_sgpr_workgroup_info 0
		.amdhsa_system_vgpr_workitem_id 0
		.amdhsa_next_free_vgpr 19
		.amdhsa_next_free_sgpr 45
		.amdhsa_reserve_vcc 1
		.amdhsa_float_round_mode_32 0
		.amdhsa_float_round_mode_16_64 0
		.amdhsa_float_denorm_mode_32 3
		.amdhsa_float_denorm_mode_16_64 3
		.amdhsa_dx10_clamp 1
		.amdhsa_ieee_mode 1
		.amdhsa_fp16_overflow 0
		.amdhsa_workgroup_processor_mode 1
		.amdhsa_memory_ordered 1
		.amdhsa_forward_progress 0
		.amdhsa_shared_vgpr_count 0
		.amdhsa_exception_fp_ieee_invalid_op 0
		.amdhsa_exception_fp_denorm_src 0
		.amdhsa_exception_fp_ieee_div_zero 0
		.amdhsa_exception_fp_ieee_overflow 0
		.amdhsa_exception_fp_ieee_underflow 0
		.amdhsa_exception_fp_ieee_inexact 0
		.amdhsa_exception_int_div_zero 0
	.end_amdhsa_kernel
	.section	.text._ZN4vllm38concat_and_cache_mla_rope_fused_kernelIfN3c104HalfELb1E14__hip_bfloat16hLNS_18Fp8KVCacheDataTypeE1EEEvPKlPT_S8_PKS7_PKT0_illlliPT3_S6_iiiiPKf,"axG",@progbits,_ZN4vllm38concat_and_cache_mla_rope_fused_kernelIfN3c104HalfELb1E14__hip_bfloat16hLNS_18Fp8KVCacheDataTypeE1EEEvPKlPT_S8_PKS7_PKT0_illlliPT3_S6_iiiiPKf,comdat
.Lfunc_end92:
	.size	_ZN4vllm38concat_and_cache_mla_rope_fused_kernelIfN3c104HalfELb1E14__hip_bfloat16hLNS_18Fp8KVCacheDataTypeE1EEEvPKlPT_S8_PKS7_PKT0_illlliPT3_S6_iiiiPKf, .Lfunc_end92-_ZN4vllm38concat_and_cache_mla_rope_fused_kernelIfN3c104HalfELb1E14__hip_bfloat16hLNS_18Fp8KVCacheDataTypeE1EEEvPKlPT_S8_PKS7_PKT0_illlliPT3_S6_iiiiPKf
                                        ; -- End function
	.section	.AMDGPU.csdata,"",@progbits
; Kernel info:
; codeLenInByte = 4444
; NumSgprs: 47
; NumVgprs: 19
; ScratchSize: 0
; MemoryBound: 0
; FloatMode: 240
; IeeeMode: 1
; LDSByteSize: 0 bytes/workgroup (compile time only)
; SGPRBlocks: 5
; VGPRBlocks: 2
; NumSGPRsForWavesPerEU: 47
; NumVGPRsForWavesPerEU: 19
; Occupancy: 16
; WaveLimiterHint : 1
; COMPUTE_PGM_RSRC2:SCRATCH_EN: 0
; COMPUTE_PGM_RSRC2:USER_SGPR: 15
; COMPUTE_PGM_RSRC2:TRAP_HANDLER: 0
; COMPUTE_PGM_RSRC2:TGID_X_EN: 1
; COMPUTE_PGM_RSRC2:TGID_Y_EN: 0
; COMPUTE_PGM_RSRC2:TGID_Z_EN: 0
; COMPUTE_PGM_RSRC2:TIDIG_COMP_CNT: 0
	.section	.text._ZN4vllm38concat_and_cache_mla_rope_fused_kernelIfN3c104HalfELb0E14__hip_bfloat16hLNS_18Fp8KVCacheDataTypeE1EEEvPKlPT_S8_PKS7_PKT0_illlliPT3_S6_iiiiPKf,"axG",@progbits,_ZN4vllm38concat_and_cache_mla_rope_fused_kernelIfN3c104HalfELb0E14__hip_bfloat16hLNS_18Fp8KVCacheDataTypeE1EEEvPKlPT_S8_PKS7_PKT0_illlliPT3_S6_iiiiPKf,comdat
	.protected	_ZN4vllm38concat_and_cache_mla_rope_fused_kernelIfN3c104HalfELb0E14__hip_bfloat16hLNS_18Fp8KVCacheDataTypeE1EEEvPKlPT_S8_PKS7_PKT0_illlliPT3_S6_iiiiPKf ; -- Begin function _ZN4vllm38concat_and_cache_mla_rope_fused_kernelIfN3c104HalfELb0E14__hip_bfloat16hLNS_18Fp8KVCacheDataTypeE1EEEvPKlPT_S8_PKS7_PKT0_illlliPT3_S6_iiiiPKf
	.globl	_ZN4vllm38concat_and_cache_mla_rope_fused_kernelIfN3c104HalfELb0E14__hip_bfloat16hLNS_18Fp8KVCacheDataTypeE1EEEvPKlPT_S8_PKS7_PKT0_illlliPT3_S6_iiiiPKf
	.p2align	8
	.type	_ZN4vllm38concat_and_cache_mla_rope_fused_kernelIfN3c104HalfELb0E14__hip_bfloat16hLNS_18Fp8KVCacheDataTypeE1EEEvPKlPT_S8_PKS7_PKT0_illlliPT3_S6_iiiiPKf,@function
_ZN4vllm38concat_and_cache_mla_rope_fused_kernelIfN3c104HalfELb0E14__hip_bfloat16hLNS_18Fp8KVCacheDataTypeE1EEEvPKlPT_S8_PKS7_PKT0_illlliPT3_S6_iiiiPKf: ; @_ZN4vllm38concat_and_cache_mla_rope_fused_kernelIfN3c104HalfELb0E14__hip_bfloat16hLNS_18Fp8KVCacheDataTypeE1EEEvPKlPT_S8_PKS7_PKT0_illlliPT3_S6_iiiiPKf
; %bb.0:
	s_load_b64 s[4:5], s[0:1], 0x60
	s_mov_b32 s16, s15
	s_mov_b32 s17, 0
	s_delay_alu instid0(SALU_CYCLE_1)
	s_lshl_b64 s[2:3], s[16:17], 3
	s_waitcnt lgkmcnt(0)
	s_add_u32 s4, s4, s2
	s_addc_u32 s5, s5, s3
	s_load_b64 s[26:27], s[4:5], 0x0
	s_waitcnt lgkmcnt(0)
	v_cmp_lt_i64_e64 s4, s[26:27], 0
	s_delay_alu instid0(VALU_DEP_1)
	s_and_b32 vcc_lo, exec_lo, s4
	s_cbranch_vccnz .LBB93_67
; %bb.1:
	s_clause 0x3
	s_load_b32 s21, s[0:1], 0x28
	s_load_b64 s[4:5], s[0:1], 0x0
	s_load_b128 s[12:15], s[0:1], 0x10
	s_load_b32 s17, s[0:1], 0x50
	v_lshlrev_b32_e32 v3, 1, v0
	s_waitcnt lgkmcnt(0)
	s_ashr_i32 s24, s21, 31
	s_add_u32 s2, s4, s2
	s_addc_u32 s3, s5, s3
	s_lshr_b32 s20, s21, 31
	s_load_b64 s[22:23], s[2:3], 0x0
	s_clause 0x2
	s_load_b64 s[2:3], s[0:1], 0x20
	s_load_b64 s[18:19], s[0:1], 0x58
	s_load_b256 s[4:11], s[0:1], 0x30
	s_add_i32 s20, s21, s20
	s_delay_alu instid0(SALU_CYCLE_1) | instskip(NEXT) | instid1(SALU_CYCLE_1)
	s_ashr_i32 s20, s20, 1
	s_mul_i32 s17, s20, s17
	s_waitcnt lgkmcnt(0)
	s_mul_i32 s24, s22, s24
	s_mul_hi_u32 s25, s22, s21
	s_mul_i32 s23, s23, s21
	s_add_i32 s24, s25, s24
	s_mul_i32 s28, s22, s21
	s_add_i32 s29, s24, s23
	s_mov_b32 s22, exec_lo
	v_cmpx_gt_i32_e64 s17, v0
	s_cbranch_execz .LBB93_4
; %bb.2:
	s_clause 0x1
	s_load_b64 s[30:31], s[0:1], 0x8
	s_load_b32 s34, s[0:1], 0x8c
	s_lshl_b64 s[24:25], s[28:29], 1
	s_mul_i32 s5, s16, s5
	s_mul_hi_u32 s21, s16, s4
	s_add_u32 s23, s2, s24
	s_mul_i32 s4, s16, s4
	s_addc_u32 s24, s3, s25
	s_add_i32 s5, s21, s5
	s_ashr_i32 s21, s20, 31
	s_lshl_b64 s[4:5], s[4:5], 2
	s_mov_b32 s33, 0
	s_waitcnt lgkmcnt(0)
	s_add_u32 s25, s30, s4
	s_addc_u32 s30, s31, s5
	s_abs_i32 s31, s20
	s_and_b32 s34, s34, 0xffff
	v_cvt_f32_u32_e32 v1, s31
	s_sub_i32 s4, 0, s31
	s_sub_i32 s35, 0, s20
	s_lshl_b32 s37, s34, 1
	s_delay_alu instid0(VALU_DEP_1) | instskip(SKIP_2) | instid1(VALU_DEP_1)
	v_rcp_iflag_f32_e32 v1, v1
	s_waitcnt_depctr 0xfff
	v_mul_f32_e32 v1, 0x4f7ffffe, v1
	v_cvt_u32_f32_e32 v2, v1
	s_delay_alu instid0(VALU_DEP_1) | instskip(SKIP_1) | instid1(SALU_CYCLE_1)
	v_mul_lo_u32 v1, s4, v2
	s_lshl_b32 s4, s20, 1
	s_sub_i32 s36, 0, s4
	s_lshl_b64 s[4:5], s[20:21], 1
	s_delay_alu instid0(VALU_DEP_1) | instskip(NEXT) | instid1(VALU_DEP_1)
	v_mul_hi_u32 v4, v2, v1
	v_dual_mov_b32 v1, v3 :: v_dual_add_nc_u32 v4, v2, v4
	v_mov_b32_e32 v2, v0
.LBB93_3:                               ; =>This Inner Loop Header: Depth=1
	s_delay_alu instid0(VALU_DEP_1) | instskip(SKIP_1) | instid1(VALU_DEP_2)
	v_sub_nc_u32_e32 v5, 0, v2
	v_ashrrev_i32_e32 v6, 31, v2
	v_max_i32_e32 v5, v2, v5
	s_delay_alu instid0(VALU_DEP_2) | instskip(NEXT) | instid1(VALU_DEP_2)
	v_xor_b32_e32 v6, s21, v6
	v_mul_hi_u32 v7, v5, v4
	s_delay_alu instid0(VALU_DEP_1) | instskip(SKIP_1) | instid1(VALU_DEP_2)
	v_mul_lo_u32 v8, v7, s31
	v_add_nc_u32_e32 v9, 1, v7
	v_sub_nc_u32_e32 v5, v5, v8
	s_delay_alu instid0(VALU_DEP_1) | instskip(SKIP_1) | instid1(VALU_DEP_4)
	v_subrev_nc_u32_e32 v8, s31, v5
	v_cmp_le_u32_e32 vcc_lo, s31, v5
	v_cndmask_b32_e32 v7, v7, v9, vcc_lo
	s_delay_alu instid0(VALU_DEP_1) | instskip(NEXT) | instid1(VALU_DEP_1)
	v_dual_cndmask_b32 v5, v5, v8 :: v_dual_add_nc_u32 v8, 1, v7
	v_cmp_le_u32_e32 vcc_lo, s31, v5
	s_delay_alu instid0(VALU_DEP_2) | instskip(NEXT) | instid1(VALU_DEP_1)
	v_cndmask_b32_e32 v5, v7, v8, vcc_lo
	v_xor_b32_e32 v5, v5, v6
	s_delay_alu instid0(VALU_DEP_1) | instskip(NEXT) | instid1(VALU_DEP_1)
	v_sub_nc_u32_e32 v11, v5, v6
	v_mad_u64_u32 v[5:6], null, s35, v11, v[2:3]
	v_ashrrev_i32_e32 v6, 31, v11
	v_mul_lo_u32 v12, v11, s7
	v_mad_u64_u32 v[7:8], null, v11, s6, 0
	v_mad_u64_u32 v[9:10], null, s36, v11, v[1:2]
	s_delay_alu instid0(VALU_DEP_4) | instskip(SKIP_3) | instid1(VALU_DEP_3)
	v_mul_lo_u32 v11, v6, s6
	v_ashrrev_i32_e32 v6, 31, v5
	v_add_nc_u32_e32 v2, s34, v2
	v_add_nc_u32_e32 v1, s37, v1
	v_lshlrev_b64 v[5:6], 1, v[5:6]
	v_ashrrev_i32_e32 v10, 31, v9
	v_add3_u32 v8, v8, v12, v11
	s_delay_alu instid0(VALU_DEP_3) | instskip(NEXT) | instid1(VALU_DEP_2)
	v_add_co_u32 v5, vcc_lo, s23, v5
	v_lshlrev_b64 v[7:8], 2, v[7:8]
	v_add_co_ci_u32_e32 v6, vcc_lo, s24, v6, vcc_lo
	s_delay_alu instid0(VALU_DEP_3) | instskip(SKIP_1) | instid1(VALU_DEP_3)
	v_add_co_u32 v11, vcc_lo, v5, s4
	v_lshlrev_b64 v[9:10], 2, v[9:10]
	v_add_co_ci_u32_e32 v12, vcc_lo, s5, v6, vcc_lo
	v_add_co_u32 v7, vcc_lo, s25, v7
	v_add_co_ci_u32_e32 v8, vcc_lo, s30, v8, vcc_lo
	s_clause 0x1
	global_load_u16 v13, v[5:6], off
	global_load_u16 v11, v[11:12], off
	v_add_co_u32 v5, vcc_lo, v7, v9
	v_add_co_ci_u32_e32 v6, vcc_lo, v8, v10, vcc_lo
	v_cmp_le_i32_e32 vcc_lo, s17, v2
	global_load_b64 v[7:8], v[5:6], off
	s_or_b32 s33, vcc_lo, s33
	s_waitcnt vmcnt(2)
	v_cvt_f32_f16_e32 v9, v13
	s_waitcnt vmcnt(1)
	v_cvt_f32_f16_e32 v10, v11
	s_waitcnt vmcnt(0)
	s_delay_alu instid0(VALU_DEP_1) | instskip(SKIP_1) | instid1(VALU_DEP_2)
	v_mul_f32_e32 v10, v8, v10
	v_mul_f32_e32 v9, v8, v9
	v_fma_mix_f32 v8, v7, v13, -v10 op_sel_hi:[0,1,0]
	s_delay_alu instid0(VALU_DEP_2)
	v_fma_mix_f32 v9, v7, v11, v9 op_sel_hi:[0,1,0]
	global_store_b64 v[5:6], v[8:9], off
	s_and_not1_b32 exec_lo, exec_lo, s33
	s_cbranch_execnz .LBB93_3
.LBB93_4:
	s_or_b32 exec_lo, exec_lo, s22
	s_load_b128 s[4:7], s[0:1], 0x68
	s_waitcnt lgkmcnt(0)
	s_ashr_i32 s31, s7, 31
	s_mov_b32 s30, s7
	s_delay_alu instid0(SALU_CYCLE_1) | instskip(SKIP_1) | instid1(SALU_CYCLE_1)
	s_or_b64 s[24:25], s[26:27], s[30:31]
	s_mov_b32 s24, 0
	s_cmp_lg_u64 s[24:25], 0
	s_cbranch_scc0 .LBB93_68
; %bb.5:
	s_add_u32 s34, s30, s31
	s_mov_b32 s22, s31
	s_mov_b32 s23, s31
	s_addc_u32 s35, s31, s31
	s_delay_alu instid0(SALU_CYCLE_1) | instskip(NEXT) | instid1(SALU_CYCLE_1)
	s_xor_b64 s[34:35], s[34:35], s[22:23]
	v_cvt_f32_u32_e32 v1, s34
	v_cvt_f32_u32_e32 v2, s35
	s_sub_u32 s21, 0, s34
	s_subb_u32 s25, 0, s35
	s_delay_alu instid0(VALU_DEP_1) | instskip(NEXT) | instid1(VALU_DEP_1)
	v_fmamk_f32 v1, v2, 0x4f800000, v1
	v_rcp_f32_e32 v1, v1
	s_waitcnt_depctr 0xfff
	v_mul_f32_e32 v1, 0x5f7ffffc, v1
	s_delay_alu instid0(VALU_DEP_1) | instskip(NEXT) | instid1(VALU_DEP_1)
	v_mul_f32_e32 v2, 0x2f800000, v1
	v_trunc_f32_e32 v2, v2
	s_delay_alu instid0(VALU_DEP_1) | instskip(SKIP_1) | instid1(VALU_DEP_2)
	v_fmamk_f32 v1, v2, 0xcf800000, v1
	v_cvt_u32_f32_e32 v2, v2
	v_cvt_u32_f32_e32 v1, v1
	s_delay_alu instid0(VALU_DEP_2) | instskip(NEXT) | instid1(VALU_DEP_2)
	v_readfirstlane_b32 s7, v2
	v_readfirstlane_b32 s17, v1
	s_delay_alu instid0(VALU_DEP_2) | instskip(NEXT) | instid1(VALU_DEP_1)
	s_mul_i32 s33, s21, s7
	s_mul_hi_u32 s37, s21, s17
	s_mul_i32 s36, s25, s17
	s_add_i32 s33, s37, s33
	s_mul_i32 s38, s21, s17
	s_add_i32 s33, s33, s36
	s_mul_hi_u32 s37, s17, s38
	s_mul_hi_u32 s39, s7, s38
	s_mul_i32 s36, s7, s38
	s_mul_hi_u32 s38, s17, s33
	s_mul_i32 s17, s17, s33
	s_mul_hi_u32 s40, s7, s33
	s_add_u32 s17, s37, s17
	s_addc_u32 s37, 0, s38
	s_add_u32 s17, s17, s36
	s_mul_i32 s33, s7, s33
	s_addc_u32 s17, s37, s39
	s_addc_u32 s36, s40, 0
	s_add_u32 s17, s17, s33
	s_addc_u32 s33, 0, s36
	v_add_co_u32 v1, s17, v1, s17
	s_delay_alu instid0(VALU_DEP_1) | instskip(SKIP_1) | instid1(VALU_DEP_1)
	s_cmp_lg_u32 s17, 0
	s_addc_u32 s7, s7, s33
	v_readfirstlane_b32 s17, v1
	s_mul_i32 s33, s21, s7
	s_delay_alu instid0(VALU_DEP_1)
	s_mul_hi_u32 s36, s21, s17
	s_mul_i32 s25, s25, s17
	s_add_i32 s33, s36, s33
	s_mul_i32 s21, s21, s17
	s_add_i32 s33, s33, s25
	s_mul_hi_u32 s36, s7, s21
	s_mul_i32 s37, s7, s21
	s_mul_hi_u32 s21, s17, s21
	s_mul_hi_u32 s38, s17, s33
	s_mul_i32 s17, s17, s33
	s_mul_hi_u32 s25, s7, s33
	s_add_u32 s17, s21, s17
	s_addc_u32 s21, 0, s38
	s_add_u32 s17, s17, s37
	s_mul_i32 s33, s7, s33
	s_addc_u32 s17, s21, s36
	s_addc_u32 s21, s25, 0
	s_add_u32 s17, s17, s33
	s_addc_u32 s21, 0, s21
	v_add_co_u32 v1, s17, v1, s17
	s_delay_alu instid0(VALU_DEP_1) | instskip(SKIP_2) | instid1(VALU_DEP_1)
	s_cmp_lg_u32 s17, 0
	s_addc_u32 s7, s7, s21
	s_ashr_i32 s36, s27, 31
	v_readfirstlane_b32 s17, v1
	s_add_u32 s38, s26, s36
	s_mov_b32 s37, s36
	s_addc_u32 s39, s27, s36
	s_delay_alu instid0(SALU_CYCLE_1) | instskip(NEXT) | instid1(SALU_CYCLE_1)
	s_xor_b64 s[38:39], s[38:39], s[36:37]
	s_mul_i32 s25, s38, s7
	s_mul_hi_u32 s33, s38, s17
	s_mul_hi_u32 s21, s38, s7
	;; [unrolled: 1-line block ×3, first 2 shown]
	s_mul_i32 s17, s39, s17
	s_add_u32 s25, s33, s25
	s_addc_u32 s21, 0, s21
	s_mul_hi_u32 s40, s39, s7
	s_add_u32 s17, s25, s17
	s_mul_i32 s7, s39, s7
	s_addc_u32 s17, s21, s41
	s_addc_u32 s21, s40, 0
	s_add_u32 s7, s17, s7
	s_addc_u32 s17, 0, s21
	s_mul_hi_u32 s21, s34, s7
	s_mul_i32 s33, s34, s17
	s_mul_i32 s40, s34, s7
	s_add_i32 s21, s21, s33
	v_sub_co_u32 v1, s33, s38, s40
	s_mul_i32 s25, s35, s7
	s_delay_alu instid0(SALU_CYCLE_1) | instskip(NEXT) | instid1(VALU_DEP_1)
	s_add_i32 s21, s21, s25
	v_sub_co_u32 v2, s38, v1, s34
	s_sub_i32 s25, s39, s21
	s_cmp_lg_u32 s33, 0
	s_subb_u32 s25, s25, s35
	s_cmp_lg_u32 s38, 0
	v_readfirstlane_b32 s38, v2
	s_subb_u32 s25, s25, 0
	s_delay_alu instid0(SALU_CYCLE_1) | instskip(SKIP_1) | instid1(VALU_DEP_1)
	s_cmp_ge_u32 s25, s35
	s_cselect_b32 s40, -1, 0
	s_cmp_ge_u32 s38, s34
	s_cselect_b32 s38, -1, 0
	s_cmp_eq_u32 s25, s35
	s_cselect_b32 s25, s38, s40
	s_add_u32 s38, s7, 1
	s_addc_u32 s40, s17, 0
	s_add_u32 s41, s7, 2
	s_addc_u32 s42, s17, 0
	s_cmp_lg_u32 s25, 0
	s_cselect_b32 s25, s41, s38
	s_cselect_b32 s38, s42, s40
	s_cmp_lg_u32 s33, 0
	v_readfirstlane_b32 s33, v1
	s_subb_u32 s21, s39, s21
	s_delay_alu instid0(SALU_CYCLE_1) | instskip(SKIP_1) | instid1(VALU_DEP_1)
	s_cmp_ge_u32 s21, s35
	s_cselect_b32 s39, -1, 0
	s_cmp_ge_u32 s33, s34
	s_cselect_b32 s33, -1, 0
	s_cmp_eq_u32 s21, s35
	s_cselect_b32 s21, s33, s39
	s_delay_alu instid0(SALU_CYCLE_1) | instskip(SKIP_3) | instid1(SALU_CYCLE_1)
	s_cmp_lg_u32 s21, 0
	s_cselect_b32 s35, s38, s17
	s_cselect_b32 s34, s25, s7
	s_xor_b64 s[22:23], s[36:37], s[22:23]
	s_xor_b64 s[34:35], s[34:35], s[22:23]
	s_delay_alu instid0(SALU_CYCLE_1)
	s_sub_u32 s22, s34, s22
	s_subb_u32 s23, s35, s23
	s_and_not1_b32 vcc_lo, exec_lo, s24
	s_cbranch_vccnz .LBB93_7
.LBB93_6:
	v_cvt_f32_u32_e32 v1, s30
	s_sub_i32 s17, 0, s30
	s_mov_b32 s23, 0
	s_delay_alu instid0(VALU_DEP_1) | instskip(SKIP_2) | instid1(VALU_DEP_1)
	v_rcp_iflag_f32_e32 v1, v1
	s_waitcnt_depctr 0xfff
	v_mul_f32_e32 v1, 0x4f7ffffe, v1
	v_cvt_u32_f32_e32 v1, v1
	s_delay_alu instid0(VALU_DEP_1) | instskip(NEXT) | instid1(VALU_DEP_1)
	v_readfirstlane_b32 s7, v1
	s_mul_i32 s17, s17, s7
	s_delay_alu instid0(SALU_CYCLE_1) | instskip(NEXT) | instid1(SALU_CYCLE_1)
	s_mul_hi_u32 s17, s7, s17
	s_add_i32 s7, s7, s17
	s_delay_alu instid0(SALU_CYCLE_1) | instskip(NEXT) | instid1(SALU_CYCLE_1)
	s_mul_hi_u32 s7, s26, s7
	s_mul_i32 s17, s7, s30
	s_add_i32 s21, s7, 1
	s_sub_i32 s17, s26, s17
	s_delay_alu instid0(SALU_CYCLE_1)
	s_sub_i32 s22, s17, s30
	s_cmp_ge_u32 s17, s30
	s_cselect_b32 s7, s21, s7
	s_cselect_b32 s17, s22, s17
	s_add_i32 s21, s7, 1
	s_cmp_ge_u32 s17, s30
	s_cselect_b32 s22, s21, s7
.LBB93_7:
	s_load_b64 s[24:25], s[0:1], 0x78
	s_mul_i32 s7, s22, s31
	s_mul_hi_u32 s17, s22, s30
	s_mul_i32 s21, s22, s30
	s_add_i32 s7, s17, s7
	s_mul_i32 s17, s23, s30
	s_mul_i32 s30, s23, s4
	s_add_i32 s17, s7, s17
	s_sub_u32 s7, s26, s21
	s_subb_u32 s17, s27, s17
	s_mul_hi_u32 s27, s22, s4
	s_mul_i32 s31, s22, s4
	s_mul_hi_u32 s26, s7, s5
	s_mul_i32 s17, s17, s5
	s_mul_i32 s23, s7, s5
	s_mov_b32 s33, exec_lo
	v_cmpx_gt_i32_e64 s20, v0
	s_cbranch_execz .LBB93_46
; %bb.8:
	s_load_b32 s35, s[0:1], 0x8c
	s_ashr_i32 s38, s4, 31
	s_ashr_i32 s39, s5, 31
	s_lshl_b64 s[36:37], s[28:29], 1
	s_mul_i32 s28, s22, s38
	s_mul_i32 s29, s7, s39
	s_add_i32 s28, s27, s28
	s_add_i32 s29, s26, s29
	s_ashr_i32 s21, s20, 31
	s_ashr_i32 s40, s6, 31
	s_add_i32 s38, s28, s30
	s_add_i32 s29, s29, s17
	s_waitcnt lgkmcnt(0)
	s_load_b32 s34, s[24:25], 0x0
	s_mul_i32 s9, s9, s16
	v_lshlrev_b32_e32 v1, 3, v0
	v_mov_b32_e32 v17, v0
	s_and_b32 s28, s35, 0xffff
	s_add_u32 s2, s2, s36
	s_addc_u32 s35, s3, s37
	s_lshl_b32 s3, s28, 1
	s_lshl_b64 s[36:37], s[20:21], 1
	v_add_co_u32 v11, s2, s2, v3
	s_add_u32 s21, s31, s23
	v_add_co_ci_u32_e64 v12, null, s35, 0, s2
	s_addc_u32 s2, s38, s29
	s_add_u32 s29, s18, s6
	s_addc_u32 s35, s19, s40
	s_add_u32 s21, s29, s21
	s_mul_hi_u32 s29, s8, s16
	s_addc_u32 s2, s35, s2
	s_add_i32 s9, s29, s9
	s_mul_i32 s8, s8, s16
	v_add_co_u32 v2, s21, s21, v3
	s_lshl_b64 s[8:9], s[8:9], 2
	v_add_co_ci_u32_e64 v3, null, s2, 0, s21
	s_add_u32 s2, s12, s8
	v_add_co_u32 v13, vcc_lo, v11, s36
	s_addc_u32 s8, s13, s9
	v_add_co_u32 v1, s2, s2, v1
	v_add_co_ci_u32_e32 v14, vcc_lo, s37, v12, vcc_lo
	v_add_co_ci_u32_e64 v4, null, s8, 0, s2
	v_add_co_u32 v15, vcc_lo, v2, 1
	v_add_co_ci_u32_e32 v16, vcc_lo, 0, v3, vcc_lo
	v_add_co_u32 v1, vcc_lo, v1, 4
	s_delay_alu instid0(VALU_DEP_4)
	v_add_co_ci_u32_e32 v2, vcc_lo, 0, v4, vcc_lo
	v_mov_b32_e32 v4, 0
	s_mov_b32 s12, 0
	s_lshl_b32 s13, s28, 3
	s_mov_b64 s[8:9], 0
	s_branch .LBB93_10
.LBB93_9:                               ;   in Loop: Header=BB93_10 Depth=1
	s_or_b32 exec_lo, exec_lo, s2
	v_add_nc_u32_e32 v17, s28, v17
	v_add_co_u32 v1, s2, v1, s13
	s_delay_alu instid0(VALU_DEP_1) | instskip(NEXT) | instid1(VALU_DEP_3)
	v_add_co_ci_u32_e64 v2, s2, 0, v2, s2
	v_cmp_le_i32_e32 vcc_lo, s20, v17
	s_add_u32 s8, s8, s3
	s_addc_u32 s9, s9, 0
	global_store_b8 v[5:6], v9, off
	s_or_b32 s12, vcc_lo, s12
	s_delay_alu instid0(SALU_CYCLE_1)
	s_and_not1_b32 exec_lo, exec_lo, s12
	s_cbranch_execz .LBB93_46
.LBB93_10:                              ; =>This Inner Loop Header: Depth=1
	v_add_co_u32 v5, vcc_lo, v13, s8
	v_add_co_ci_u32_e32 v6, vcc_lo, s9, v14, vcc_lo
	s_mov_b32 s2, exec_lo
	global_load_u16 v3, v[5:6], off
	v_add_co_u32 v5, vcc_lo, v11, s8
	v_add_co_ci_u32_e32 v6, vcc_lo, s9, v12, vcc_lo
	global_load_b64 v[19:20], v[1:2], off offset:-4
	global_load_u16 v6, v[5:6], off
	s_waitcnt vmcnt(2)
	v_cvt_f32_f16_e32 v5, v3
	s_waitcnt vmcnt(1)
	s_delay_alu instid0(VALU_DEP_1) | instskip(SKIP_1) | instid1(VALU_DEP_1)
	v_mul_f32_e32 v5, v20, v5
	s_waitcnt vmcnt(0)
	v_fma_mix_f32 v5, v19, v6, -v5 op_sel_hi:[0,1,0]
	v_cvt_f32_f16_e32 v6, v6
	s_delay_alu instid0(VALU_DEP_1) | instskip(SKIP_1) | instid1(VALU_DEP_1)
	v_dual_mul_f32 v6, v20, v6 :: v_dual_lshlrev_b32 v7, 16, v5
	s_waitcnt lgkmcnt(0)
	v_div_scale_f32 v8, null, s34, s34, v7
	s_delay_alu instid0(VALU_DEP_2) | instskip(NEXT) | instid1(VALU_DEP_2)
	v_fma_mix_f32 v6, v19, v3, v6 op_sel_hi:[0,1,0]
	v_rcp_f32_e32 v9, v8
	global_store_b64 v[1:2], v[5:6], off offset:-4
	v_fma_f32 v10, -v8, v9, 1.0
	s_delay_alu instid0(VALU_DEP_1) | instskip(SKIP_1) | instid1(VALU_DEP_1)
	v_fmac_f32_e32 v9, v10, v9
	v_div_scale_f32 v10, vcc_lo, v7, s34, v7
	v_mul_f32_e32 v18, v10, v9
	s_delay_alu instid0(VALU_DEP_1) | instskip(NEXT) | instid1(VALU_DEP_1)
	v_fma_f32 v21, -v8, v18, v10
	v_dual_fmac_f32 v18, v21, v9 :: v_dual_mov_b32 v21, v4
	s_delay_alu instid0(VALU_DEP_1) | instskip(NEXT) | instid1(VALU_DEP_1)
	v_fma_f32 v8, -v8, v18, v10
	v_div_fmas_f32 v8, v8, v9, v18
	s_delay_alu instid0(VALU_DEP_1) | instskip(NEXT) | instid1(VALU_DEP_1)
	v_div_fixup_f32 v7, v8, s34, v7
	v_and_b32_e32 v3, 0x7fffff, v7
	v_lshrrev_b32_e32 v9, 24, v7
	v_and_b32_e32 v20, 0x7f800000, v7
	s_delay_alu instid0(VALU_DEP_2) | instskip(NEXT) | instid1(VALU_DEP_1)
	v_and_b32_e32 v18, 0x80, v9
	v_or_b32_e32 v8, 0x7e, v18
	s_delay_alu instid0(VALU_DEP_3)
	v_cmpx_ne_u64_e32 0x7f800000, v[20:21]
	s_xor_b32 s21, exec_lo, s2
	s_cbranch_execz .LBB93_26
; %bb.11:                               ;   in Loop: Header=BB93_10 Depth=1
	v_dual_mov_b32 v10, v4 :: v_dual_and_b32 v9, 0x7fffffff, v7
	s_mov_b32 s2, exec_lo
	s_delay_alu instid0(VALU_DEP_1)
	v_cmpx_gt_u64_e32 0x43e00001, v[9:10]
	s_xor_b32 s29, exec_lo, s2
	s_cbranch_execz .LBB93_25
; %bb.12:                               ;   in Loop: Header=BB93_10 Depth=1
	v_mov_b32_e32 v8, 0
	s_mov_b32 s35, exec_lo
	v_cmpx_ne_u32_e32 0, v7
	s_cbranch_execz .LBB93_24
; %bb.13:                               ;   in Loop: Header=BB93_10 Depth=1
	v_bfe_u32 v5, v7, 23, 8
	v_or_b32_e32 v9, 0x800000, v3
	s_delay_alu instid0(VALU_DEP_2) | instskip(SKIP_1) | instid1(VALU_DEP_2)
	v_sub_nc_u32_e32 v7, 0x79, v5
	v_cmp_gt_u32_e32 vcc_lo, 0x7a, v5
	v_cndmask_b32_e32 v7, 0, v7, vcc_lo
	v_cmp_eq_u32_e32 vcc_lo, 0, v5
	s_delay_alu instid0(VALU_DEP_2) | instskip(SKIP_1) | instid1(VALU_DEP_2)
	v_cndmask_b32_e64 v19, v7, 0x78, vcc_lo
	v_cndmask_b32_e32 v3, v9, v3, vcc_lo
	v_add_nc_u32_e32 v7, 20, v19
	v_add_nc_u32_e32 v9, 19, v19
	s_delay_alu instid0(VALU_DEP_2) | instskip(NEXT) | instid1(VALU_DEP_2)
	v_lshlrev_b64 v[7:8], v7, -1
	v_lshlrev_b64 v[9:10], v9, 1
	s_delay_alu instid0(VALU_DEP_2) | instskip(NEXT) | instid1(VALU_DEP_3)
	v_not_b32_e32 v8, v8
	v_not_b32_e32 v7, v7
	s_delay_alu instid0(VALU_DEP_2) | instskip(NEXT) | instid1(VALU_DEP_2)
	v_and_b32_e32 v21, 0, v8
	v_and_b32_e32 v20, v3, v7
	v_lshrrev_b64 v[7:8], v19, v[3:4]
	s_delay_alu instid0(VALU_DEP_2) | instskip(NEXT) | instid1(VALU_DEP_2)
	v_cmp_eq_u64_e64 s2, v[20:21], v[9:10]
	v_dual_mov_b32 v10, v8 :: v_dual_mov_b32 v9, v7
	s_delay_alu instid0(VALU_DEP_2)
	s_and_saveexec_b32 s36, s2
; %bb.14:                               ;   in Loop: Header=BB93_10 Depth=1
	v_bfe_u32 v3, v7, 20, 1
	s_delay_alu instid0(VALU_DEP_1) | instskip(NEXT) | instid1(VALU_DEP_1)
	v_add_co_u32 v3, s2, v7, v3
	v_add_co_u32 v9, s2, v3, -1
; %bb.15:                               ;   in Loop: Header=BB93_10 Depth=1
	s_or_b32 exec_lo, exec_lo, s36
	v_add_nc_u32_e32 v3, 0xffffff81, v5
	v_lshrrev_b32_e32 v5, 23, v7
	s_mov_b32 s2, exec_lo
	s_delay_alu instid0(VALU_DEP_2) | instskip(NEXT) | instid1(VALU_DEP_1)
	v_cndmask_b32_e64 v3, v3, 0xffffff82, vcc_lo
	v_add3_u32 v5, v19, v3, v5
	v_and_b32_e32 v3, 0xfffff, v9
	s_delay_alu instid0(VALU_DEP_2) | instskip(NEXT) | instid1(VALU_DEP_2)
	v_add_nc_u32_e32 v9, 6, v5
	v_add_co_u32 v7, vcc_lo, v3, v7
	v_add_co_ci_u32_e32 v8, vcc_lo, 0, v8, vcc_lo
                                        ; implicit-def: $vgpr3
	s_delay_alu instid0(VALU_DEP_3)
	v_cmpx_ne_u32_e32 0, v9
	s_xor_b32 s2, exec_lo, s2
; %bb.16:                               ;   in Loop: Header=BB93_10 Depth=1
	s_delay_alu instid0(VALU_DEP_2) | instskip(SKIP_2) | instid1(VALU_DEP_2)
	v_cmp_lt_u64_e32 vcc_lo, 0xffffff, v[7:8]
	v_add_nc_u32_e32 v3, 7, v5
	v_cndmask_b32_e64 v5, 0, 1, vcc_lo
	v_cndmask_b32_e32 v3, v9, v3, vcc_lo
	s_delay_alu instid0(VALU_DEP_2)
	v_lshrrev_b64 v[7:8], v5, v[7:8]
; %bb.17:                               ;   in Loop: Header=BB93_10 Depth=1
	s_and_not1_saveexec_b32 s2, s2
; %bb.18:                               ;   in Loop: Header=BB93_10 Depth=1
	s_delay_alu instid0(VALU_DEP_1)
	v_bfe_u32 v3, v7, 23, 1
; %bb.19:                               ;   in Loop: Header=BB93_10 Depth=1
	s_or_b32 exec_lo, exec_lo, s2
	s_delay_alu instid0(VALU_DEP_2) | instskip(NEXT) | instid1(VALU_DEP_2)
	v_lshrrev_b64 v[7:8], 20, v[7:8]
	v_cmp_gt_i32_e32 vcc_lo, 16, v3
	v_cmp_ne_u32_e64 s2, 0, v3
	s_delay_alu instid0(VALU_DEP_3) | instskip(NEXT) | instid1(VALU_DEP_1)
	v_dual_cndmask_b32 v8, 0, v8 :: v_dual_cndmask_b32 v7, 7, v7
	v_cmp_ne_u64_e32 vcc_lo, 0, v[7:8]
                                        ; implicit-def: $vgpr8
	s_delay_alu instid0(VALU_DEP_3) | instskip(NEXT) | instid1(SALU_CYCLE_1)
	s_or_b32 s2, s2, vcc_lo
	s_and_saveexec_b32 s36, s2
	s_delay_alu instid0(SALU_CYCLE_1)
	s_xor_b32 s2, exec_lo, s36
; %bb.20:                               ;   in Loop: Header=BB93_10 Depth=1
	v_min_i32_e32 v3, 15, v3
	s_delay_alu instid0(VALU_DEP_1) | instskip(NEXT) | instid1(VALU_DEP_1)
	v_lshl_or_b32 v3, v3, 3, v18
                                        ; implicit-def: $vgpr18
	v_and_or_b32 v8, v7, 7, v3
; %bb.21:                               ;   in Loop: Header=BB93_10 Depth=1
	s_and_not1_saveexec_b32 s2, s2
; %bb.22:                               ;   in Loop: Header=BB93_10 Depth=1
	v_mov_b32_e32 v8, v18
; %bb.23:                               ;   in Loop: Header=BB93_10 Depth=1
	s_or_b32 exec_lo, exec_lo, s2
.LBB93_24:                              ;   in Loop: Header=BB93_10 Depth=1
	s_delay_alu instid0(SALU_CYCLE_1)
	s_or_b32 exec_lo, exec_lo, s35
.LBB93_25:                              ;   in Loop: Header=BB93_10 Depth=1
	s_and_not1_saveexec_b32 s2, s29
	s_delay_alu instid0(SALU_CYCLE_1)
	s_or_b32 exec_lo, exec_lo, s2
                                        ; implicit-def: $vgpr9
.LBB93_26:                              ;   in Loop: Header=BB93_10 Depth=1
	s_and_not1_saveexec_b32 s2, s21
; %bb.27:                               ;   in Loop: Header=BB93_10 Depth=1
	v_cmp_eq_u64_e32 vcc_lo, 0, v[3:4]
	v_or_b32_e32 v5, 0x7f, v9
	s_delay_alu instid0(VALU_DEP_1)
	v_cndmask_b32_e32 v8, v5, v8, vcc_lo
; %bb.28:                               ;   in Loop: Header=BB93_10 Depth=1
	s_or_b32 exec_lo, exec_lo, s2
	v_dual_mov_b32 v20, v4 :: v_dual_lshlrev_b32 v3, 16, v6
	s_mov_b32 s2, exec_lo
	s_delay_alu instid0(VALU_DEP_1) | instskip(SKIP_1) | instid1(VALU_DEP_2)
	v_div_scale_f32 v5, null, s34, s34, v3
	v_div_scale_f32 v9, vcc_lo, v3, s34, v3
	v_rcp_f32_e32 v6, v5
	s_waitcnt_depctr 0xfff
	v_fma_f32 v7, -v5, v6, 1.0
	s_delay_alu instid0(VALU_DEP_1) | instskip(NEXT) | instid1(VALU_DEP_1)
	v_fmac_f32_e32 v6, v7, v6
	v_mul_f32_e32 v7, v9, v6
	s_delay_alu instid0(VALU_DEP_1) | instskip(NEXT) | instid1(VALU_DEP_1)
	v_fma_f32 v10, -v5, v7, v9
	v_fmac_f32_e32 v7, v10, v6
	s_delay_alu instid0(VALU_DEP_1) | instskip(NEXT) | instid1(VALU_DEP_1)
	v_fma_f32 v5, -v5, v7, v9
	v_div_fmas_f32 v5, v5, v6, v7
	s_delay_alu instid0(VALU_DEP_1) | instskip(SKIP_2) | instid1(VALU_DEP_3)
	v_div_fixup_f32 v7, v5, s34, v3
	v_add_co_u32 v5, vcc_lo, v15, s8
	v_add_co_ci_u32_e32 v6, vcc_lo, s9, v16, vcc_lo
	v_and_b32_e32 v19, 0x7f800000, v7
	v_lshrrev_b32_e32 v10, 24, v7
	v_and_b32_e32 v3, 0x7fffff, v7
	global_store_b8 v[5:6], v8, off offset:-1
	v_and_b32_e32 v18, 0x80, v10
	s_delay_alu instid0(VALU_DEP_1)
	v_or_b32_e32 v9, 0x7e, v18
	v_cmpx_ne_u64_e32 0x7f800000, v[19:20]
	s_xor_b32 s21, exec_lo, s2
	s_cbranch_execz .LBB93_44
; %bb.29:                               ;   in Loop: Header=BB93_10 Depth=1
	v_dual_mov_b32 v20, v4 :: v_dual_and_b32 v19, 0x7fffffff, v7
	s_mov_b32 s2, exec_lo
	s_delay_alu instid0(VALU_DEP_1)
	v_cmpx_gt_u64_e32 0x43e00001, v[19:20]
	s_xor_b32 s29, exec_lo, s2
	s_cbranch_execz .LBB93_43
; %bb.30:                               ;   in Loop: Header=BB93_10 Depth=1
	v_mov_b32_e32 v9, 0
	s_mov_b32 s35, exec_lo
	v_cmpx_ne_u32_e32 0, v7
	s_cbranch_execz .LBB93_42
; %bb.31:                               ;   in Loop: Header=BB93_10 Depth=1
	v_bfe_u32 v19, v7, 23, 8
	v_or_b32_e32 v9, 0x800000, v3
	s_delay_alu instid0(VALU_DEP_2) | instskip(SKIP_1) | instid1(VALU_DEP_2)
	v_sub_nc_u32_e32 v7, 0x79, v19
	v_cmp_gt_u32_e32 vcc_lo, 0x7a, v19
	v_cndmask_b32_e32 v7, 0, v7, vcc_lo
	v_cmp_eq_u32_e32 vcc_lo, 0, v19
	s_delay_alu instid0(VALU_DEP_2) | instskip(SKIP_1) | instid1(VALU_DEP_2)
	v_cndmask_b32_e64 v20, v7, 0x78, vcc_lo
	v_cndmask_b32_e32 v3, v9, v3, vcc_lo
	v_add_nc_u32_e32 v7, 20, v20
	v_add_nc_u32_e32 v9, 19, v20
	s_delay_alu instid0(VALU_DEP_2) | instskip(NEXT) | instid1(VALU_DEP_2)
	v_lshlrev_b64 v[7:8], v7, -1
	v_lshlrev_b64 v[9:10], v9, 1
	s_delay_alu instid0(VALU_DEP_2) | instskip(NEXT) | instid1(VALU_DEP_3)
	v_not_b32_e32 v8, v8
	v_not_b32_e32 v7, v7
	s_delay_alu instid0(VALU_DEP_2) | instskip(NEXT) | instid1(VALU_DEP_2)
	v_and_b32_e32 v22, 0, v8
	v_and_b32_e32 v21, v3, v7
	v_lshrrev_b64 v[7:8], v20, v[3:4]
	s_delay_alu instid0(VALU_DEP_2) | instskip(NEXT) | instid1(VALU_DEP_2)
	v_cmp_eq_u64_e64 s2, v[21:22], v[9:10]
	v_dual_mov_b32 v10, v8 :: v_dual_mov_b32 v9, v7
	s_delay_alu instid0(VALU_DEP_2)
	s_and_saveexec_b32 s36, s2
; %bb.32:                               ;   in Loop: Header=BB93_10 Depth=1
	v_bfe_u32 v3, v7, 20, 1
	s_delay_alu instid0(VALU_DEP_1) | instskip(NEXT) | instid1(VALU_DEP_1)
	v_add_co_u32 v3, s2, v7, v3
	v_add_co_u32 v9, s2, v3, -1
; %bb.33:                               ;   in Loop: Header=BB93_10 Depth=1
	s_or_b32 exec_lo, exec_lo, s36
	v_add_nc_u32_e32 v3, 0xffffff81, v19
	v_lshrrev_b32_e32 v10, 23, v7
	s_mov_b32 s2, exec_lo
	s_delay_alu instid0(VALU_DEP_2) | instskip(NEXT) | instid1(VALU_DEP_1)
	v_cndmask_b32_e64 v3, v3, 0xffffff82, vcc_lo
	v_add3_u32 v10, v20, v3, v10
	v_and_b32_e32 v3, 0xfffff, v9
	s_delay_alu instid0(VALU_DEP_2) | instskip(NEXT) | instid1(VALU_DEP_2)
	v_add_nc_u32_e32 v9, 6, v10
	v_add_co_u32 v7, vcc_lo, v3, v7
	v_add_co_ci_u32_e32 v8, vcc_lo, 0, v8, vcc_lo
                                        ; implicit-def: $vgpr3
	s_delay_alu instid0(VALU_DEP_3)
	v_cmpx_ne_u32_e32 0, v9
	s_xor_b32 s2, exec_lo, s2
; %bb.34:                               ;   in Loop: Header=BB93_10 Depth=1
	s_delay_alu instid0(VALU_DEP_2) | instskip(SKIP_1) | instid1(VALU_DEP_1)
	v_cmp_lt_u64_e32 vcc_lo, 0xffffff, v[7:8]
	v_add_nc_u32_e32 v3, 7, v10
	v_cndmask_b32_e32 v3, v9, v3, vcc_lo
	v_cndmask_b32_e64 v9, 0, 1, vcc_lo
	s_delay_alu instid0(VALU_DEP_1)
	v_lshrrev_b64 v[7:8], v9, v[7:8]
; %bb.35:                               ;   in Loop: Header=BB93_10 Depth=1
	s_and_not1_saveexec_b32 s2, s2
; %bb.36:                               ;   in Loop: Header=BB93_10 Depth=1
	s_delay_alu instid0(VALU_DEP_1)
	v_bfe_u32 v3, v7, 23, 1
; %bb.37:                               ;   in Loop: Header=BB93_10 Depth=1
	s_or_b32 exec_lo, exec_lo, s2
	s_delay_alu instid0(VALU_DEP_2) | instskip(NEXT) | instid1(VALU_DEP_2)
	v_lshrrev_b64 v[7:8], 20, v[7:8]
	v_cmp_gt_i32_e32 vcc_lo, 16, v3
	v_cmp_ne_u32_e64 s2, 0, v3
                                        ; implicit-def: $vgpr9
	s_delay_alu instid0(VALU_DEP_3) | instskip(NEXT) | instid1(VALU_DEP_1)
	v_dual_cndmask_b32 v8, 0, v8 :: v_dual_cndmask_b32 v7, 7, v7
	v_cmp_ne_u64_e32 vcc_lo, 0, v[7:8]
	s_delay_alu instid0(VALU_DEP_3) | instskip(NEXT) | instid1(SALU_CYCLE_1)
	s_or_b32 s2, s2, vcc_lo
	s_and_saveexec_b32 s36, s2
	s_delay_alu instid0(SALU_CYCLE_1)
	s_xor_b32 s2, exec_lo, s36
; %bb.38:                               ;   in Loop: Header=BB93_10 Depth=1
	v_min_i32_e32 v3, 15, v3
	s_delay_alu instid0(VALU_DEP_1) | instskip(NEXT) | instid1(VALU_DEP_1)
	v_lshl_or_b32 v3, v3, 3, v18
                                        ; implicit-def: $vgpr18
	v_and_or_b32 v9, v7, 7, v3
; %bb.39:                               ;   in Loop: Header=BB93_10 Depth=1
	s_and_not1_saveexec_b32 s2, s2
; %bb.40:                               ;   in Loop: Header=BB93_10 Depth=1
	v_mov_b32_e32 v9, v18
; %bb.41:                               ;   in Loop: Header=BB93_10 Depth=1
	s_or_b32 exec_lo, exec_lo, s2
.LBB93_42:                              ;   in Loop: Header=BB93_10 Depth=1
	s_delay_alu instid0(SALU_CYCLE_1)
	s_or_b32 exec_lo, exec_lo, s35
.LBB93_43:                              ;   in Loop: Header=BB93_10 Depth=1
	s_and_not1_saveexec_b32 s2, s29
	s_delay_alu instid0(SALU_CYCLE_1)
	s_or_b32 exec_lo, exec_lo, s2
                                        ; implicit-def: $vgpr10
.LBB93_44:                              ;   in Loop: Header=BB93_10 Depth=1
	s_and_not1_saveexec_b32 s2, s21
	s_cbranch_execz .LBB93_9
; %bb.45:                               ;   in Loop: Header=BB93_10 Depth=1
	v_cmp_eq_u64_e32 vcc_lo, 0, v[3:4]
	v_or_b32_e32 v7, 0x7f, v10
	s_delay_alu instid0(VALU_DEP_1)
	v_cndmask_b32_e32 v9, v7, v9, vcc_lo
	s_branch .LBB93_9
.LBB93_46:
	s_or_b32 exec_lo, exec_lo, s33
	s_delay_alu instid0(SALU_CYCLE_1)
	s_mov_b32 s2, exec_lo
	v_cmpx_gt_i32_e64 s6, v0
	s_cbranch_execz .LBB93_67
; %bb.47:
	s_mul_i32 s3, s16, s11
	s_mul_hi_u32 s8, s16, s10
	s_mul_i32 s2, s16, s10
	s_add_i32 s3, s8, s3
	s_load_b32 s0, s[0:1], 0x8c
	s_lshl_b64 s[2:3], s[2:3], 2
	v_mov_b32_e32 v3, 0
	s_add_u32 s1, s14, s2
	s_addc_u32 s2, s15, s3
	s_waitcnt lgkmcnt(0)
	s_load_b32 s3, s[24:25], 0x0
	s_ashr_i32 s4, s4, 31
	s_delay_alu instid0(SALU_CYCLE_1) | instskip(NEXT) | instid1(SALU_CYCLE_1)
	s_mul_i32 s4, s22, s4
	s_add_i32 s4, s27, s4
	s_delay_alu instid0(SALU_CYCLE_1) | instskip(SKIP_3) | instid1(SALU_CYCLE_1)
	s_add_i32 s4, s4, s30
	s_add_u32 s8, s18, s31
	s_addc_u32 s9, s19, s4
	s_ashr_i32 s4, s5, 31
	s_mul_i32 s7, s7, s4
	s_delay_alu instid0(SALU_CYCLE_1) | instskip(NEXT) | instid1(SALU_CYCLE_1)
	s_add_i32 s4, s26, s7
	s_add_i32 s5, s4, s17
	s_add_u32 s4, s8, s23
	s_addc_u32 s5, s9, s5
	s_and_b32 s7, s0, 0xffff
	s_mov_b32 s8, 0
	s_branch .LBB93_49
.LBB93_48:                              ;   in Loop: Header=BB93_49 Depth=1
	s_or_b32 exec_lo, exec_lo, s0
	v_add_co_u32 v6, vcc_lo, s4, v0
	v_add_nc_u32_e32 v0, s7, v0
	v_add_co_ci_u32_e32 v7, vcc_lo, s5, v1, vcc_lo
	s_delay_alu instid0(VALU_DEP_2) | instskip(SKIP_2) | instid1(SALU_CYCLE_1)
	v_cmp_le_i32_e32 vcc_lo, s6, v0
	global_store_b8 v[6:7], v5, off
	s_or_b32 s8, vcc_lo, s8
	s_and_not1_b32 exec_lo, exec_lo, s8
	s_cbranch_execz .LBB93_67
.LBB93_49:                              ; =>This Inner Loop Header: Depth=1
	v_ashrrev_i32_e32 v1, 31, v0
	s_mov_b32 s0, exec_lo
	v_mov_b32_e32 v10, v3
	s_delay_alu instid0(VALU_DEP_2) | instskip(NEXT) | instid1(VALU_DEP_1)
	v_lshlrev_b64 v[4:5], 2, v[0:1]
	v_add_co_u32 v4, vcc_lo, s1, v4
	s_delay_alu instid0(VALU_DEP_2) | instskip(SKIP_4) | instid1(VALU_DEP_1)
	v_add_co_ci_u32_e32 v5, vcc_lo, s2, v5, vcc_lo
	global_load_u16 v2, v[4:5], off
	s_waitcnt vmcnt(0)
	v_lshlrev_b32_e32 v2, 16, v2
	s_waitcnt lgkmcnt(0)
	v_div_scale_f32 v4, null, s3, s3, v2
	s_delay_alu instid0(VALU_DEP_1) | instskip(SKIP_2) | instid1(VALU_DEP_1)
	v_rcp_f32_e32 v5, v4
	s_waitcnt_depctr 0xfff
	v_fma_f32 v6, -v4, v5, 1.0
	v_fmac_f32_e32 v5, v6, v5
	v_div_scale_f32 v6, vcc_lo, v2, s3, v2
	s_delay_alu instid0(VALU_DEP_1) | instskip(NEXT) | instid1(VALU_DEP_1)
	v_mul_f32_e32 v7, v6, v5
	v_fma_f32 v8, -v4, v7, v6
	s_delay_alu instid0(VALU_DEP_1) | instskip(NEXT) | instid1(VALU_DEP_1)
	v_fmac_f32_e32 v7, v8, v5
	v_fma_f32 v4, -v4, v7, v6
	s_delay_alu instid0(VALU_DEP_1) | instskip(NEXT) | instid1(VALU_DEP_1)
	v_div_fmas_f32 v4, v4, v5, v7
	v_div_fixup_f32 v4, v4, s3, v2
	s_delay_alu instid0(VALU_DEP_1) | instskip(SKIP_2) | instid1(VALU_DEP_3)
	v_lshrrev_b32_e32 v6, 24, v4
	v_and_b32_e32 v9, 0x7f800000, v4
	v_and_b32_e32 v2, 0x7fffff, v4
	;; [unrolled: 1-line block ×3, first 2 shown]
	s_delay_alu instid0(VALU_DEP_1) | instskip(NEXT) | instid1(VALU_DEP_4)
	v_or_b32_e32 v5, 0x7e, v8
	v_cmpx_ne_u64_e32 0x7f800000, v[9:10]
	s_xor_b32 s9, exec_lo, s0
	s_cbranch_execz .LBB93_65
; %bb.50:                               ;   in Loop: Header=BB93_49 Depth=1
	v_dual_mov_b32 v7, v3 :: v_dual_and_b32 v6, 0x7fffffff, v4
	s_mov_b32 s0, exec_lo
	s_delay_alu instid0(VALU_DEP_1)
	v_cmpx_gt_u64_e32 0x43e00001, v[6:7]
	s_xor_b32 s10, exec_lo, s0
	s_cbranch_execz .LBB93_64
; %bb.51:                               ;   in Loop: Header=BB93_49 Depth=1
	v_mov_b32_e32 v5, 0
	s_mov_b32 s11, exec_lo
	v_cmpx_ne_u32_e32 0, v4
	s_cbranch_execz .LBB93_63
; %bb.52:                               ;   in Loop: Header=BB93_49 Depth=1
	v_bfe_u32 v9, v4, 23, 8
	v_or_b32_e32 v6, 0x800000, v2
	s_delay_alu instid0(VALU_DEP_2) | instskip(SKIP_1) | instid1(VALU_DEP_2)
	v_sub_nc_u32_e32 v4, 0x79, v9
	v_cmp_gt_u32_e32 vcc_lo, 0x7a, v9
	v_cndmask_b32_e32 v4, 0, v4, vcc_lo
	v_cmp_eq_u32_e32 vcc_lo, 0, v9
	s_delay_alu instid0(VALU_DEP_2) | instskip(SKIP_1) | instid1(VALU_DEP_2)
	v_cndmask_b32_e64 v10, v4, 0x78, vcc_lo
	v_cndmask_b32_e32 v2, v6, v2, vcc_lo
	v_add_nc_u32_e32 v4, 20, v10
	v_add_nc_u32_e32 v6, 19, v10
	s_delay_alu instid0(VALU_DEP_2) | instskip(NEXT) | instid1(VALU_DEP_2)
	v_lshlrev_b64 v[4:5], v4, -1
	v_lshlrev_b64 v[6:7], v6, 1
	s_delay_alu instid0(VALU_DEP_2) | instskip(NEXT) | instid1(VALU_DEP_3)
	v_not_b32_e32 v5, v5
	v_not_b32_e32 v4, v4
	s_delay_alu instid0(VALU_DEP_2) | instskip(NEXT) | instid1(VALU_DEP_2)
	v_and_b32_e32 v12, 0, v5
	v_and_b32_e32 v11, v2, v4
	v_lshrrev_b64 v[4:5], v10, v[2:3]
	s_delay_alu instid0(VALU_DEP_2) | instskip(NEXT) | instid1(VALU_DEP_2)
	v_cmp_eq_u64_e64 s0, v[11:12], v[6:7]
	v_dual_mov_b32 v7, v5 :: v_dual_mov_b32 v6, v4
	s_delay_alu instid0(VALU_DEP_2)
	s_and_saveexec_b32 s12, s0
; %bb.53:                               ;   in Loop: Header=BB93_49 Depth=1
	v_bfe_u32 v2, v4, 20, 1
	s_delay_alu instid0(VALU_DEP_1) | instskip(NEXT) | instid1(VALU_DEP_1)
	v_add_co_u32 v2, s0, v4, v2
	v_add_co_u32 v6, s0, v2, -1
; %bb.54:                               ;   in Loop: Header=BB93_49 Depth=1
	s_or_b32 exec_lo, exec_lo, s12
	v_add_nc_u32_e32 v2, 0xffffff81, v9
	v_lshrrev_b32_e32 v7, 23, v4
	s_mov_b32 s0, exec_lo
	s_delay_alu instid0(VALU_DEP_2) | instskip(NEXT) | instid1(VALU_DEP_1)
	v_cndmask_b32_e64 v2, v2, 0xffffff82, vcc_lo
	v_add3_u32 v7, v10, v2, v7
	v_and_b32_e32 v2, 0xfffff, v6
	s_delay_alu instid0(VALU_DEP_2) | instskip(NEXT) | instid1(VALU_DEP_2)
	v_add_nc_u32_e32 v6, 6, v7
	v_add_co_u32 v4, vcc_lo, v2, v4
	v_add_co_ci_u32_e32 v5, vcc_lo, 0, v5, vcc_lo
                                        ; implicit-def: $vgpr2
	s_delay_alu instid0(VALU_DEP_3)
	v_cmpx_ne_u32_e32 0, v6
	s_xor_b32 s0, exec_lo, s0
; %bb.55:                               ;   in Loop: Header=BB93_49 Depth=1
	s_delay_alu instid0(VALU_DEP_2) | instskip(SKIP_1) | instid1(VALU_DEP_1)
	v_cmp_lt_u64_e32 vcc_lo, 0xffffff, v[4:5]
	v_add_nc_u32_e32 v2, 7, v7
	v_cndmask_b32_e32 v2, v6, v2, vcc_lo
	v_cndmask_b32_e64 v6, 0, 1, vcc_lo
	s_delay_alu instid0(VALU_DEP_1)
	v_lshrrev_b64 v[4:5], v6, v[4:5]
; %bb.56:                               ;   in Loop: Header=BB93_49 Depth=1
	s_and_not1_saveexec_b32 s0, s0
; %bb.57:                               ;   in Loop: Header=BB93_49 Depth=1
	s_delay_alu instid0(VALU_DEP_1)
	v_bfe_u32 v2, v4, 23, 1
; %bb.58:                               ;   in Loop: Header=BB93_49 Depth=1
	s_or_b32 exec_lo, exec_lo, s0
	s_delay_alu instid0(VALU_DEP_2) | instskip(NEXT) | instid1(VALU_DEP_2)
	v_lshrrev_b64 v[4:5], 20, v[4:5]
	v_cmp_gt_i32_e32 vcc_lo, 16, v2
	v_cmp_ne_u32_e64 s0, 0, v2
	s_delay_alu instid0(VALU_DEP_3) | instskip(NEXT) | instid1(VALU_DEP_1)
	v_dual_cndmask_b32 v5, 0, v5 :: v_dual_cndmask_b32 v4, 7, v4
	v_cmp_ne_u64_e32 vcc_lo, 0, v[4:5]
                                        ; implicit-def: $vgpr5
	s_delay_alu instid0(VALU_DEP_3) | instskip(NEXT) | instid1(SALU_CYCLE_1)
	s_or_b32 s0, s0, vcc_lo
	s_and_saveexec_b32 s12, s0
	s_delay_alu instid0(SALU_CYCLE_1)
	s_xor_b32 s0, exec_lo, s12
; %bb.59:                               ;   in Loop: Header=BB93_49 Depth=1
	v_min_i32_e32 v2, 15, v2
	s_delay_alu instid0(VALU_DEP_1) | instskip(NEXT) | instid1(VALU_DEP_1)
	v_lshl_or_b32 v2, v2, 3, v8
                                        ; implicit-def: $vgpr8
	v_and_or_b32 v5, v4, 7, v2
; %bb.60:                               ;   in Loop: Header=BB93_49 Depth=1
	s_and_not1_saveexec_b32 s0, s0
; %bb.61:                               ;   in Loop: Header=BB93_49 Depth=1
	v_mov_b32_e32 v5, v8
; %bb.62:                               ;   in Loop: Header=BB93_49 Depth=1
	s_or_b32 exec_lo, exec_lo, s0
.LBB93_63:                              ;   in Loop: Header=BB93_49 Depth=1
	s_delay_alu instid0(SALU_CYCLE_1)
	s_or_b32 exec_lo, exec_lo, s11
.LBB93_64:                              ;   in Loop: Header=BB93_49 Depth=1
	s_and_not1_saveexec_b32 s0, s10
	s_delay_alu instid0(SALU_CYCLE_1)
	s_or_b32 exec_lo, exec_lo, s0
                                        ; implicit-def: $vgpr6
.LBB93_65:                              ;   in Loop: Header=BB93_49 Depth=1
	s_and_not1_saveexec_b32 s0, s9
	s_cbranch_execz .LBB93_48
; %bb.66:                               ;   in Loop: Header=BB93_49 Depth=1
	v_cmp_eq_u64_e32 vcc_lo, 0, v[2:3]
	v_or_b32_e32 v4, 0x7f, v6
	s_delay_alu instid0(VALU_DEP_1)
	v_cndmask_b32_e32 v5, v4, v5, vcc_lo
	s_branch .LBB93_48
.LBB93_67:
	s_nop 0
	s_sendmsg sendmsg(MSG_DEALLOC_VGPRS)
	s_endpgm
.LBB93_68:
                                        ; implicit-def: $sgpr22_sgpr23
	s_branch .LBB93_6
	.section	.rodata,"a",@progbits
	.p2align	6, 0x0
	.amdhsa_kernel _ZN4vllm38concat_and_cache_mla_rope_fused_kernelIfN3c104HalfELb0E14__hip_bfloat16hLNS_18Fp8KVCacheDataTypeE1EEEvPKlPT_S8_PKS7_PKT0_illlliPT3_S6_iiiiPKf
		.amdhsa_group_segment_fixed_size 0
		.amdhsa_private_segment_fixed_size 0
		.amdhsa_kernarg_size 384
		.amdhsa_user_sgpr_count 15
		.amdhsa_user_sgpr_dispatch_ptr 0
		.amdhsa_user_sgpr_queue_ptr 0
		.amdhsa_user_sgpr_kernarg_segment_ptr 1
		.amdhsa_user_sgpr_dispatch_id 0
		.amdhsa_user_sgpr_private_segment_size 0
		.amdhsa_wavefront_size32 1
		.amdhsa_uses_dynamic_stack 0
		.amdhsa_enable_private_segment 0
		.amdhsa_system_sgpr_workgroup_id_x 1
		.amdhsa_system_sgpr_workgroup_id_y 0
		.amdhsa_system_sgpr_workgroup_id_z 0
		.amdhsa_system_sgpr_workgroup_info 0
		.amdhsa_system_vgpr_workitem_id 0
		.amdhsa_next_free_vgpr 23
		.amdhsa_next_free_sgpr 43
		.amdhsa_reserve_vcc 1
		.amdhsa_float_round_mode_32 0
		.amdhsa_float_round_mode_16_64 0
		.amdhsa_float_denorm_mode_32 3
		.amdhsa_float_denorm_mode_16_64 3
		.amdhsa_dx10_clamp 1
		.amdhsa_ieee_mode 1
		.amdhsa_fp16_overflow 0
		.amdhsa_workgroup_processor_mode 1
		.amdhsa_memory_ordered 1
		.amdhsa_forward_progress 0
		.amdhsa_shared_vgpr_count 0
		.amdhsa_exception_fp_ieee_invalid_op 0
		.amdhsa_exception_fp_denorm_src 0
		.amdhsa_exception_fp_ieee_div_zero 0
		.amdhsa_exception_fp_ieee_overflow 0
		.amdhsa_exception_fp_ieee_underflow 0
		.amdhsa_exception_fp_ieee_inexact 0
		.amdhsa_exception_int_div_zero 0
	.end_amdhsa_kernel
	.section	.text._ZN4vllm38concat_and_cache_mla_rope_fused_kernelIfN3c104HalfELb0E14__hip_bfloat16hLNS_18Fp8KVCacheDataTypeE1EEEvPKlPT_S8_PKS7_PKT0_illlliPT3_S6_iiiiPKf,"axG",@progbits,_ZN4vllm38concat_and_cache_mla_rope_fused_kernelIfN3c104HalfELb0E14__hip_bfloat16hLNS_18Fp8KVCacheDataTypeE1EEEvPKlPT_S8_PKS7_PKT0_illlliPT3_S6_iiiiPKf,comdat
.Lfunc_end93:
	.size	_ZN4vllm38concat_and_cache_mla_rope_fused_kernelIfN3c104HalfELb0E14__hip_bfloat16hLNS_18Fp8KVCacheDataTypeE1EEEvPKlPT_S8_PKS7_PKT0_illlliPT3_S6_iiiiPKf, .Lfunc_end93-_ZN4vllm38concat_and_cache_mla_rope_fused_kernelIfN3c104HalfELb0E14__hip_bfloat16hLNS_18Fp8KVCacheDataTypeE1EEEvPKlPT_S8_PKS7_PKT0_illlliPT3_S6_iiiiPKf
                                        ; -- End function
	.section	.AMDGPU.csdata,"",@progbits
; Kernel info:
; codeLenInByte = 4388
; NumSgprs: 45
; NumVgprs: 23
; ScratchSize: 0
; MemoryBound: 0
; FloatMode: 240
; IeeeMode: 1
; LDSByteSize: 0 bytes/workgroup (compile time only)
; SGPRBlocks: 5
; VGPRBlocks: 2
; NumSGPRsForWavesPerEU: 45
; NumVGPRsForWavesPerEU: 23
; Occupancy: 16
; WaveLimiterHint : 1
; COMPUTE_PGM_RSRC2:SCRATCH_EN: 0
; COMPUTE_PGM_RSRC2:USER_SGPR: 15
; COMPUTE_PGM_RSRC2:TRAP_HANDLER: 0
; COMPUTE_PGM_RSRC2:TGID_X_EN: 1
; COMPUTE_PGM_RSRC2:TGID_Y_EN: 0
; COMPUTE_PGM_RSRC2:TGID_Z_EN: 0
; COMPUTE_PGM_RSRC2:TIDIG_COMP_CNT: 0
	.section	.text._ZN4vllm38concat_and_cache_mla_rope_fused_kernelIfN3c108BFloat16ELb1E14__hip_bfloat16hLNS_18Fp8KVCacheDataTypeE1EEEvPKlPT_S8_PKS7_PKT0_illlliPT3_S6_iiiiPKf,"axG",@progbits,_ZN4vllm38concat_and_cache_mla_rope_fused_kernelIfN3c108BFloat16ELb1E14__hip_bfloat16hLNS_18Fp8KVCacheDataTypeE1EEEvPKlPT_S8_PKS7_PKT0_illlliPT3_S6_iiiiPKf,comdat
	.protected	_ZN4vllm38concat_and_cache_mla_rope_fused_kernelIfN3c108BFloat16ELb1E14__hip_bfloat16hLNS_18Fp8KVCacheDataTypeE1EEEvPKlPT_S8_PKS7_PKT0_illlliPT3_S6_iiiiPKf ; -- Begin function _ZN4vllm38concat_and_cache_mla_rope_fused_kernelIfN3c108BFloat16ELb1E14__hip_bfloat16hLNS_18Fp8KVCacheDataTypeE1EEEvPKlPT_S8_PKS7_PKT0_illlliPT3_S6_iiiiPKf
	.globl	_ZN4vllm38concat_and_cache_mla_rope_fused_kernelIfN3c108BFloat16ELb1E14__hip_bfloat16hLNS_18Fp8KVCacheDataTypeE1EEEvPKlPT_S8_PKS7_PKT0_illlliPT3_S6_iiiiPKf
	.p2align	8
	.type	_ZN4vllm38concat_and_cache_mla_rope_fused_kernelIfN3c108BFloat16ELb1E14__hip_bfloat16hLNS_18Fp8KVCacheDataTypeE1EEEvPKlPT_S8_PKS7_PKT0_illlliPT3_S6_iiiiPKf,@function
_ZN4vllm38concat_and_cache_mla_rope_fused_kernelIfN3c108BFloat16ELb1E14__hip_bfloat16hLNS_18Fp8KVCacheDataTypeE1EEEvPKlPT_S8_PKS7_PKT0_illlliPT3_S6_iiiiPKf: ; @_ZN4vllm38concat_and_cache_mla_rope_fused_kernelIfN3c108BFloat16ELb1E14__hip_bfloat16hLNS_18Fp8KVCacheDataTypeE1EEEvPKlPT_S8_PKS7_PKT0_illlliPT3_S6_iiiiPKf
; %bb.0:
	s_load_b64 s[4:5], s[0:1], 0x60
	s_mov_b32 s16, s15
	s_mov_b32 s17, 0
	s_delay_alu instid0(SALU_CYCLE_1)
	s_lshl_b64 s[2:3], s[16:17], 3
	s_waitcnt lgkmcnt(0)
	s_add_u32 s4, s4, s2
	s_addc_u32 s5, s5, s3
	s_load_b64 s[28:29], s[4:5], 0x0
	s_waitcnt lgkmcnt(0)
	v_cmp_lt_i64_e64 s4, s[28:29], 0
	s_delay_alu instid0(VALU_DEP_1)
	s_and_b32 vcc_lo, exec_lo, s4
	s_cbranch_vccnz .LBB94_67
; %bb.1:
	s_clause 0x3
	s_load_b32 s21, s[0:1], 0x28
	s_load_b64 s[4:5], s[0:1], 0x0
	s_load_b128 s[12:15], s[0:1], 0x10
	s_load_b32 s17, s[0:1], 0x50
	s_waitcnt lgkmcnt(0)
	s_ashr_i32 s24, s21, 31
	s_add_u32 s2, s4, s2
	s_addc_u32 s3, s5, s3
	s_lshr_b32 s20, s21, 31
	s_load_b64 s[22:23], s[2:3], 0x0
	s_clause 0x2
	s_load_b64 s[2:3], s[0:1], 0x20
	s_load_b64 s[18:19], s[0:1], 0x58
	s_load_b256 s[4:11], s[0:1], 0x30
	s_add_i32 s20, s21, s20
	s_delay_alu instid0(SALU_CYCLE_1) | instskip(NEXT) | instid1(SALU_CYCLE_1)
	s_ashr_i32 s20, s20, 1
	s_mul_i32 s17, s20, s17
	s_waitcnt lgkmcnt(0)
	s_mul_i32 s24, s22, s24
	s_mul_hi_u32 s25, s22, s21
	s_mul_i32 s23, s23, s21
	s_add_i32 s24, s25, s24
	s_mul_i32 s26, s22, s21
	s_add_i32 s27, s24, s23
	s_mov_b32 s24, exec_lo
	v_cmpx_gt_i32_e64 s17, v0
	s_cbranch_execz .LBB94_4
; %bb.2:
	s_clause 0x1
	s_load_b64 s[22:23], s[0:1], 0x8
	s_load_b32 s36, s[0:1], 0x8c
	s_lshl_b64 s[30:31], s[26:27], 1
	s_mul_i32 s5, s16, s5
	s_mul_hi_u32 s21, s16, s4
	s_add_u32 s25, s2, s30
	s_mul_i32 s4, s16, s4
	s_addc_u32 s30, s3, s31
	s_add_i32 s5, s21, s5
	s_ashr_i32 s21, s20, 31
	s_lshl_b64 s[4:5], s[4:5], 2
	s_mov_b32 s35, 0
	s_waitcnt lgkmcnt(0)
	s_add_u32 s31, s22, s4
	s_addc_u32 s33, s23, s5
	s_abs_i32 s34, s20
	s_and_b32 s36, s36, 0xffff
	v_cvt_f32_u32_e32 v1, s34
	s_sub_i32 s4, 0, s34
	s_sub_i32 s37, 0, s20
	s_lshl_b64 s[22:23], s[20:21], 2
	s_delay_alu instid0(VALU_DEP_1) | instskip(SKIP_2) | instid1(VALU_DEP_1)
	v_rcp_iflag_f32_e32 v1, v1
	s_waitcnt_depctr 0xfff
	v_mul_f32_e32 v1, 0x4f7ffffe, v1
	v_cvt_u32_f32_e32 v1, v1
	s_delay_alu instid0(VALU_DEP_1) | instskip(SKIP_1) | instid1(VALU_DEP_1)
	v_mul_lo_u32 v2, s4, v1
	s_lshl_b64 s[4:5], s[20:21], 1
	v_mul_hi_u32 v2, v1, v2
	s_delay_alu instid0(VALU_DEP_1)
	v_dual_mov_b32 v1, v0 :: v_dual_add_nc_u32 v2, v1, v2
.LBB94_3:                               ; =>This Inner Loop Header: Depth=1
	s_delay_alu instid0(VALU_DEP_1) | instskip(SKIP_1) | instid1(VALU_DEP_2)
	v_sub_nc_u32_e32 v3, 0, v1
	v_ashrrev_i32_e32 v4, 31, v1
	v_max_i32_e32 v3, v1, v3
	s_delay_alu instid0(VALU_DEP_2) | instskip(NEXT) | instid1(VALU_DEP_2)
	v_xor_b32_e32 v4, s21, v4
	v_mul_hi_u32 v5, v3, v2
	s_delay_alu instid0(VALU_DEP_1) | instskip(SKIP_1) | instid1(VALU_DEP_2)
	v_mul_lo_u32 v6, v5, s34
	v_add_nc_u32_e32 v7, 1, v5
	v_sub_nc_u32_e32 v3, v3, v6
	s_delay_alu instid0(VALU_DEP_1) | instskip(SKIP_1) | instid1(VALU_DEP_4)
	v_subrev_nc_u32_e32 v6, s34, v3
	v_cmp_le_u32_e32 vcc_lo, s34, v3
	v_cndmask_b32_e32 v5, v5, v7, vcc_lo
	s_delay_alu instid0(VALU_DEP_1) | instskip(NEXT) | instid1(VALU_DEP_1)
	v_dual_cndmask_b32 v3, v3, v6 :: v_dual_add_nc_u32 v6, 1, v5
	v_cmp_le_u32_e32 vcc_lo, s34, v3
	s_delay_alu instid0(VALU_DEP_2) | instskip(NEXT) | instid1(VALU_DEP_1)
	v_cndmask_b32_e32 v3, v5, v6, vcc_lo
	v_xor_b32_e32 v3, v3, v4
	s_delay_alu instid0(VALU_DEP_1) | instskip(NEXT) | instid1(VALU_DEP_1)
	v_sub_nc_u32_e32 v7, v3, v4
	v_ashrrev_i32_e32 v8, 31, v7
	v_mad_u64_u32 v[3:4], null, s37, v7, v[1:2]
	v_mul_lo_u32 v9, v7, s7
	v_mad_u64_u32 v[5:6], null, v7, s6, 0
	s_delay_alu instid0(VALU_DEP_4) | instskip(SKIP_2) | instid1(VALU_DEP_3)
	v_mul_lo_u32 v7, v8, s6
	v_add_nc_u32_e32 v1, s36, v1
	v_ashrrev_i32_e32 v4, 31, v3
	v_add3_u32 v6, v6, v9, v7
	s_delay_alu instid0(VALU_DEP_2) | instskip(SKIP_1) | instid1(VALU_DEP_3)
	v_lshlrev_b64 v[7:8], 1, v[3:4]
	v_lshlrev_b64 v[3:4], 2, v[3:4]
	;; [unrolled: 1-line block ×3, first 2 shown]
	s_delay_alu instid0(VALU_DEP_3) | instskip(NEXT) | instid1(VALU_DEP_4)
	v_add_co_u32 v7, vcc_lo, s25, v7
	v_add_co_ci_u32_e32 v8, vcc_lo, s30, v8, vcc_lo
	s_delay_alu instid0(VALU_DEP_3) | instskip(NEXT) | instid1(VALU_DEP_4)
	v_add_co_u32 v10, vcc_lo, s31, v5
	v_add_co_ci_u32_e32 v11, vcc_lo, s33, v6, vcc_lo
	s_delay_alu instid0(VALU_DEP_4) | instskip(NEXT) | instid1(VALU_DEP_4)
	v_add_co_u32 v5, vcc_lo, v7, s4
	v_add_co_ci_u32_e32 v6, vcc_lo, s5, v8, vcc_lo
	s_delay_alu instid0(VALU_DEP_4) | instskip(NEXT) | instid1(VALU_DEP_4)
	v_add_co_u32 v3, vcc_lo, v10, v3
	v_add_co_ci_u32_e32 v4, vcc_lo, v11, v4, vcc_lo
	s_clause 0x1
	global_load_u16 v9, v[7:8], off
	global_load_u16 v7, v[5:6], off
	v_add_co_u32 v5, vcc_lo, v3, s22
	v_add_co_ci_u32_e32 v6, vcc_lo, s23, v4, vcc_lo
	s_clause 0x1
	global_load_b32 v8, v[3:4], off
	global_load_b32 v10, v[5:6], off
	v_cmp_le_i32_e32 vcc_lo, s17, v1
	s_or_b32 s35, vcc_lo, s35
	s_waitcnt vmcnt(3)
	v_lshlrev_b32_e32 v9, 16, v9
	s_waitcnt vmcnt(2)
	v_lshlrev_b32_e32 v7, 16, v7
	s_waitcnt vmcnt(1)
	s_delay_alu instid0(VALU_DEP_1) | instskip(SKIP_2) | instid1(VALU_DEP_2)
	v_mul_f32_e32 v11, v8, v7
	s_waitcnt vmcnt(0)
	v_mul_f32_e32 v7, v10, v7
	v_fmac_f32_e32 v11, v10, v9
	s_delay_alu instid0(VALU_DEP_2)
	v_fma_f32 v7, v8, v9, -v7
	s_clause 0x1
	global_store_b32 v[3:4], v7, off
	global_store_b32 v[5:6], v11, off
	s_and_not1_b32 exec_lo, exec_lo, s35
	s_cbranch_execnz .LBB94_3
.LBB94_4:
	s_or_b32 exec_lo, exec_lo, s24
	s_load_b128 s[4:7], s[0:1], 0x68
	s_waitcnt lgkmcnt(0)
	s_ashr_i32 s31, s7, 31
	s_mov_b32 s30, s7
	s_delay_alu instid0(SALU_CYCLE_1) | instskip(SKIP_1) | instid1(SALU_CYCLE_1)
	s_or_b64 s[24:25], s[28:29], s[30:31]
	s_mov_b32 s24, 0
	s_cmp_lg_u64 s[24:25], 0
	s_cbranch_scc0 .LBB94_68
; %bb.5:
	s_add_u32 s34, s30, s31
	s_mov_b32 s22, s31
	s_mov_b32 s23, s31
	s_addc_u32 s35, s31, s31
	s_delay_alu instid0(SALU_CYCLE_1) | instskip(NEXT) | instid1(SALU_CYCLE_1)
	s_xor_b64 s[34:35], s[34:35], s[22:23]
	v_cvt_f32_u32_e32 v1, s34
	v_cvt_f32_u32_e32 v2, s35
	s_sub_u32 s21, 0, s34
	s_subb_u32 s25, 0, s35
	s_delay_alu instid0(VALU_DEP_1) | instskip(NEXT) | instid1(VALU_DEP_1)
	v_fmamk_f32 v1, v2, 0x4f800000, v1
	v_rcp_f32_e32 v1, v1
	s_waitcnt_depctr 0xfff
	v_mul_f32_e32 v1, 0x5f7ffffc, v1
	s_delay_alu instid0(VALU_DEP_1) | instskip(NEXT) | instid1(VALU_DEP_1)
	v_mul_f32_e32 v2, 0x2f800000, v1
	v_trunc_f32_e32 v2, v2
	s_delay_alu instid0(VALU_DEP_1) | instskip(SKIP_1) | instid1(VALU_DEP_2)
	v_fmamk_f32 v1, v2, 0xcf800000, v1
	v_cvt_u32_f32_e32 v2, v2
	v_cvt_u32_f32_e32 v1, v1
	s_delay_alu instid0(VALU_DEP_2) | instskip(NEXT) | instid1(VALU_DEP_2)
	v_readfirstlane_b32 s7, v2
	v_readfirstlane_b32 s17, v1
	s_delay_alu instid0(VALU_DEP_2) | instskip(NEXT) | instid1(VALU_DEP_1)
	s_mul_i32 s33, s21, s7
	s_mul_hi_u32 s37, s21, s17
	s_mul_i32 s36, s25, s17
	s_add_i32 s33, s37, s33
	s_mul_i32 s38, s21, s17
	s_add_i32 s33, s33, s36
	s_mul_hi_u32 s37, s17, s38
	s_mul_hi_u32 s39, s7, s38
	s_mul_i32 s36, s7, s38
	s_mul_hi_u32 s38, s17, s33
	s_mul_i32 s17, s17, s33
	s_mul_hi_u32 s40, s7, s33
	s_add_u32 s17, s37, s17
	s_addc_u32 s37, 0, s38
	s_add_u32 s17, s17, s36
	s_mul_i32 s33, s7, s33
	s_addc_u32 s17, s37, s39
	s_addc_u32 s36, s40, 0
	s_add_u32 s17, s17, s33
	s_addc_u32 s33, 0, s36
	v_add_co_u32 v1, s17, v1, s17
	s_delay_alu instid0(VALU_DEP_1) | instskip(SKIP_1) | instid1(VALU_DEP_1)
	s_cmp_lg_u32 s17, 0
	s_addc_u32 s7, s7, s33
	v_readfirstlane_b32 s17, v1
	s_mul_i32 s33, s21, s7
	s_delay_alu instid0(VALU_DEP_1)
	s_mul_hi_u32 s36, s21, s17
	s_mul_i32 s25, s25, s17
	s_add_i32 s33, s36, s33
	s_mul_i32 s21, s21, s17
	s_add_i32 s33, s33, s25
	s_mul_hi_u32 s36, s7, s21
	s_mul_i32 s37, s7, s21
	s_mul_hi_u32 s21, s17, s21
	s_mul_hi_u32 s38, s17, s33
	s_mul_i32 s17, s17, s33
	s_mul_hi_u32 s25, s7, s33
	s_add_u32 s17, s21, s17
	s_addc_u32 s21, 0, s38
	s_add_u32 s17, s17, s37
	s_mul_i32 s33, s7, s33
	s_addc_u32 s17, s21, s36
	s_addc_u32 s21, s25, 0
	s_add_u32 s17, s17, s33
	s_addc_u32 s21, 0, s21
	v_add_co_u32 v1, s17, v1, s17
	s_delay_alu instid0(VALU_DEP_1) | instskip(SKIP_2) | instid1(VALU_DEP_1)
	s_cmp_lg_u32 s17, 0
	s_addc_u32 s7, s7, s21
	s_ashr_i32 s36, s29, 31
	v_readfirstlane_b32 s17, v1
	s_add_u32 s38, s28, s36
	s_mov_b32 s37, s36
	s_addc_u32 s39, s29, s36
	s_delay_alu instid0(SALU_CYCLE_1) | instskip(NEXT) | instid1(SALU_CYCLE_1)
	s_xor_b64 s[38:39], s[38:39], s[36:37]
	s_mul_i32 s25, s38, s7
	s_mul_hi_u32 s33, s38, s17
	s_mul_hi_u32 s21, s38, s7
	;; [unrolled: 1-line block ×3, first 2 shown]
	s_mul_i32 s17, s39, s17
	s_add_u32 s25, s33, s25
	s_addc_u32 s21, 0, s21
	s_mul_hi_u32 s40, s39, s7
	s_add_u32 s17, s25, s17
	s_mul_i32 s7, s39, s7
	s_addc_u32 s17, s21, s41
	s_addc_u32 s21, s40, 0
	s_add_u32 s7, s17, s7
	s_addc_u32 s17, 0, s21
	s_mul_hi_u32 s21, s34, s7
	s_mul_i32 s33, s34, s17
	s_mul_i32 s40, s34, s7
	s_add_i32 s21, s21, s33
	v_sub_co_u32 v1, s33, s38, s40
	s_mul_i32 s25, s35, s7
	s_delay_alu instid0(SALU_CYCLE_1) | instskip(NEXT) | instid1(VALU_DEP_1)
	s_add_i32 s21, s21, s25
	v_sub_co_u32 v2, s38, v1, s34
	s_sub_i32 s25, s39, s21
	s_cmp_lg_u32 s33, 0
	s_subb_u32 s25, s25, s35
	s_cmp_lg_u32 s38, 0
	v_readfirstlane_b32 s38, v2
	s_subb_u32 s25, s25, 0
	s_delay_alu instid0(SALU_CYCLE_1) | instskip(SKIP_1) | instid1(VALU_DEP_1)
	s_cmp_ge_u32 s25, s35
	s_cselect_b32 s40, -1, 0
	s_cmp_ge_u32 s38, s34
	s_cselect_b32 s38, -1, 0
	s_cmp_eq_u32 s25, s35
	s_cselect_b32 s25, s38, s40
	s_add_u32 s38, s7, 1
	s_addc_u32 s40, s17, 0
	s_add_u32 s41, s7, 2
	s_addc_u32 s42, s17, 0
	s_cmp_lg_u32 s25, 0
	s_cselect_b32 s25, s41, s38
	s_cselect_b32 s38, s42, s40
	s_cmp_lg_u32 s33, 0
	v_readfirstlane_b32 s33, v1
	s_subb_u32 s21, s39, s21
	s_delay_alu instid0(SALU_CYCLE_1) | instskip(SKIP_1) | instid1(VALU_DEP_1)
	s_cmp_ge_u32 s21, s35
	s_cselect_b32 s39, -1, 0
	s_cmp_ge_u32 s33, s34
	s_cselect_b32 s33, -1, 0
	s_cmp_eq_u32 s21, s35
	s_cselect_b32 s21, s33, s39
	s_delay_alu instid0(SALU_CYCLE_1) | instskip(SKIP_3) | instid1(SALU_CYCLE_1)
	s_cmp_lg_u32 s21, 0
	s_cselect_b32 s35, s38, s17
	s_cselect_b32 s34, s25, s7
	s_xor_b64 s[22:23], s[36:37], s[22:23]
	s_xor_b64 s[34:35], s[34:35], s[22:23]
	s_delay_alu instid0(SALU_CYCLE_1)
	s_sub_u32 s22, s34, s22
	s_subb_u32 s23, s35, s23
	s_and_not1_b32 vcc_lo, exec_lo, s24
	s_cbranch_vccnz .LBB94_7
.LBB94_6:
	v_cvt_f32_u32_e32 v1, s30
	s_sub_i32 s17, 0, s30
	s_mov_b32 s23, 0
	s_delay_alu instid0(VALU_DEP_1) | instskip(SKIP_2) | instid1(VALU_DEP_1)
	v_rcp_iflag_f32_e32 v1, v1
	s_waitcnt_depctr 0xfff
	v_mul_f32_e32 v1, 0x4f7ffffe, v1
	v_cvt_u32_f32_e32 v1, v1
	s_delay_alu instid0(VALU_DEP_1) | instskip(NEXT) | instid1(VALU_DEP_1)
	v_readfirstlane_b32 s7, v1
	s_mul_i32 s17, s17, s7
	s_delay_alu instid0(SALU_CYCLE_1) | instskip(NEXT) | instid1(SALU_CYCLE_1)
	s_mul_hi_u32 s17, s7, s17
	s_add_i32 s7, s7, s17
	s_delay_alu instid0(SALU_CYCLE_1) | instskip(NEXT) | instid1(SALU_CYCLE_1)
	s_mul_hi_u32 s7, s28, s7
	s_mul_i32 s17, s7, s30
	s_add_i32 s21, s7, 1
	s_sub_i32 s17, s28, s17
	s_delay_alu instid0(SALU_CYCLE_1)
	s_sub_i32 s22, s17, s30
	s_cmp_ge_u32 s17, s30
	s_cselect_b32 s7, s21, s7
	s_cselect_b32 s17, s22, s17
	s_add_i32 s21, s7, 1
	s_cmp_ge_u32 s17, s30
	s_cselect_b32 s22, s21, s7
.LBB94_7:
	s_load_b64 s[24:25], s[0:1], 0x78
	s_mul_i32 s7, s22, s31
	s_mul_hi_u32 s17, s22, s30
	s_mul_i32 s21, s22, s30
	s_add_i32 s7, s17, s7
	s_mul_i32 s17, s23, s30
	s_mul_i32 s30, s23, s4
	s_add_i32 s17, s7, s17
	s_sub_u32 s7, s28, s21
	s_subb_u32 s17, s29, s17
	s_mul_hi_u32 s29, s22, s4
	s_mul_i32 s31, s22, s4
	s_mul_hi_u32 s28, s7, s5
	s_mul_i32 s17, s17, s5
	s_mul_i32 s23, s7, s5
	s_mov_b32 s33, exec_lo
	v_cmpx_gt_i32_e64 s20, v0
	s_cbranch_execz .LBB94_46
; %bb.8:
	s_load_b32 s38, s[0:1], 0x8c
	s_ashr_i32 s36, s4, 31
	s_ashr_i32 s37, s5, 31
	s_mul_i32 s36, s22, s36
	s_mul_i32 s37, s7, s37
	s_add_i32 s36, s29, s36
	s_add_i32 s37, s28, s37
	s_ashr_i32 s21, s20, 31
	s_add_i32 s36, s36, s30
	s_add_i32 s37, s37, s17
	s_add_u32 s42, s31, s23
	s_addc_u32 s43, s36, s37
	s_add_u32 s36, s42, s18
	s_addc_u32 s37, s43, s19
	s_ashr_i32 s44, s6, 31
	s_add_u32 s36, s36, s6
	v_dual_mov_b32 v2, 0 :: v_dual_lshlrev_b32 v1, 1, v0
	s_addc_u32 s37, s37, s44
	s_lshl_b64 s[26:27], s[26:27], 1
	s_waitcnt lgkmcnt(0)
	s_and_b32 s38, s38, 0xffff
	s_add_u32 s2, s2, s26
	s_load_b32 s34, s[24:25], 0x0
	s_addc_u32 s3, s3, s27
	v_add_co_u32 v3, s2, s2, v1
	s_delay_alu instid0(VALU_DEP_1)
	v_add_co_ci_u32_e64 v4, null, s3, 0, s2
	s_mul_i32 s2, s9, s16
	s_mul_hi_u32 s9, s8, s16
	s_mul_i32 s26, s8, s16
	s_add_i32 s27, s9, s2
	v_lshlrev_b32_e32 v1, 2, v0
	s_lshl_b64 s[40:41], s[26:27], 2
	s_lshl_b32 s3, s38, 1
	s_lshl_b64 s[8:9], s[20:21], 1
	s_lshl_b64 s[26:27], s[20:21], 2
	s_add_u32 s2, s12, s40
	s_addc_u32 s12, s13, s41
	v_add_co_u32 v5, s2, s2, v1
	s_lshl_b32 s39, s38, 2
	v_add_co_ci_u32_e64 v6, null, s12, 0, s2
	s_add_u32 s2, s42, s20
	s_addc_u32 s12, s43, s21
	s_add_u32 s2, s2, s6
	s_addc_u32 s12, s12, s44
	s_add_u32 s21, s18, s2
	s_mov_b32 s35, 0
	s_addc_u32 s40, s19, s12
	s_mov_b64 s[12:13], 0
	s_branch .LBB94_10
.LBB94_9:                               ;   in Loop: Header=BB94_10 Depth=1
	s_or_b32 exec_lo, exec_lo, s2
	s_add_u32 s12, s12, s38
	v_add_co_u32 v3, vcc_lo, v3, s3
	v_add_nc_u32_e32 v1, s12, v0
	v_add_co_ci_u32_e32 v4, vcc_lo, 0, v4, vcc_lo
	v_add_co_u32 v5, vcc_lo, v5, s39
	v_add_co_ci_u32_e32 v6, vcc_lo, 0, v6, vcc_lo
	v_add_co_u32 v7, s2, s21, v0
	s_addc_u32 s13, s13, 0
	v_cmp_le_i32_e32 vcc_lo, s20, v1
	s_add_u32 s21, s21, s38
	v_add_co_ci_u32_e64 v8, null, s40, 0, s2
	s_addc_u32 s40, s40, 0
	s_add_u32 s36, s36, s38
	s_addc_u32 s37, s37, 0
	s_or_b32 s35, vcc_lo, s35
	global_store_b8 v[7:8], v9, off
	s_and_not1_b32 exec_lo, exec_lo, s35
	s_cbranch_execz .LBB94_46
.LBB94_10:                              ; =>This Inner Loop Header: Depth=1
	v_add_co_u32 v7, vcc_lo, v3, s8
	v_add_co_ci_u32_e32 v8, vcc_lo, s9, v4, vcc_lo
	v_add_co_u32 v13, vcc_lo, v5, s26
	v_add_co_ci_u32_e32 v14, vcc_lo, s27, v6, vcc_lo
	s_clause 0x1
	global_load_u16 v1, v[7:8], off
	global_load_u16 v7, v[3:4], off
	s_clause 0x1
	global_load_b32 v8, v[13:14], off
	global_load_b32 v10, v[5:6], off
	s_mov_b32 s2, exec_lo
	s_waitcnt vmcnt(3)
	v_lshlrev_b32_e32 v1, 16, v1
	s_waitcnt vmcnt(2)
	v_lshlrev_b32_e32 v17, 16, v7
	s_waitcnt vmcnt(1)
	s_delay_alu instid0(VALU_DEP_2) | instskip(SKIP_1) | instid1(VALU_DEP_1)
	v_mul_f32_e32 v7, v8, v1
	s_waitcnt vmcnt(0)
	v_fma_f32 v18, v10, v17, -v7
	s_delay_alu instid0(VALU_DEP_1) | instskip(SKIP_1) | instid1(VALU_DEP_1)
	v_lshlrev_b32_e32 v7, 16, v18
	s_waitcnt lgkmcnt(0)
	v_div_scale_f32 v9, null, s34, s34, v7
	s_delay_alu instid0(VALU_DEP_1) | instskip(SKIP_2) | instid1(VALU_DEP_1)
	v_rcp_f32_e32 v11, v9
	s_waitcnt_depctr 0xfff
	v_fma_f32 v12, -v9, v11, 1.0
	v_fmac_f32_e32 v11, v12, v11
	v_div_scale_f32 v12, vcc_lo, v7, s34, v7
	s_delay_alu instid0(VALU_DEP_1) | instskip(NEXT) | instid1(VALU_DEP_1)
	v_mul_f32_e32 v15, v12, v11
	v_fma_f32 v16, -v9, v15, v12
	s_delay_alu instid0(VALU_DEP_1) | instskip(NEXT) | instid1(VALU_DEP_1)
	v_dual_fmac_f32 v15, v16, v11 :: v_dual_mov_b32 v16, v2
	v_fma_f32 v9, -v9, v15, v12
	s_delay_alu instid0(VALU_DEP_1) | instskip(SKIP_1) | instid1(VALU_DEP_2)
	v_div_fmas_f32 v9, v9, v11, v15
	v_mul_f32_e32 v11, v10, v1
	v_div_fixup_f32 v7, v9, s34, v7
	s_delay_alu instid0(VALU_DEP_2)
	v_fmac_f32_e32 v11, v8, v17
	s_clause 0x1
	global_store_b32 v[5:6], v18, off
	global_store_b32 v[13:14], v11, off
	v_lshrrev_b32_e32 v9, 24, v7
	v_and_b32_e32 v15, 0x7f800000, v7
	v_and_b32_e32 v1, 0x7fffff, v7
	s_delay_alu instid0(VALU_DEP_3) | instskip(NEXT) | instid1(VALU_DEP_1)
	v_and_b32_e32 v12, 0x80, v9
	v_or_b32_e32 v8, 0x7e, v12
	s_delay_alu instid0(VALU_DEP_4)
	v_cmpx_ne_u64_e32 0x7f800000, v[15:16]
	s_xor_b32 s41, exec_lo, s2
	s_cbranch_execz .LBB94_26
; %bb.11:                               ;   in Loop: Header=BB94_10 Depth=1
	v_dual_mov_b32 v10, v2 :: v_dual_and_b32 v9, 0x7fffffff, v7
	s_mov_b32 s2, exec_lo
	s_delay_alu instid0(VALU_DEP_1)
	v_cmpx_gt_u64_e32 0x43e00001, v[9:10]
	s_xor_b32 s42, exec_lo, s2
	s_cbranch_execz .LBB94_25
; %bb.12:                               ;   in Loop: Header=BB94_10 Depth=1
	v_mov_b32_e32 v8, 0
	s_mov_b32 s43, exec_lo
	v_cmpx_ne_u32_e32 0, v7
	s_cbranch_execz .LBB94_24
; %bb.13:                               ;   in Loop: Header=BB94_10 Depth=1
	v_bfe_u32 v13, v7, 23, 8
	v_or_b32_e32 v9, 0x800000, v1
	s_delay_alu instid0(VALU_DEP_2) | instskip(SKIP_1) | instid1(VALU_DEP_2)
	v_sub_nc_u32_e32 v7, 0x79, v13
	v_cmp_gt_u32_e32 vcc_lo, 0x7a, v13
	v_cndmask_b32_e32 v7, 0, v7, vcc_lo
	v_cmp_eq_u32_e32 vcc_lo, 0, v13
	s_delay_alu instid0(VALU_DEP_2) | instskip(SKIP_1) | instid1(VALU_DEP_2)
	v_cndmask_b32_e64 v14, v7, 0x78, vcc_lo
	v_cndmask_b32_e32 v1, v9, v1, vcc_lo
	v_add_nc_u32_e32 v7, 20, v14
	v_add_nc_u32_e32 v9, 19, v14
	s_delay_alu instid0(VALU_DEP_2) | instskip(NEXT) | instid1(VALU_DEP_2)
	v_lshlrev_b64 v[7:8], v7, -1
	v_lshlrev_b64 v[9:10], v9, 1
	s_delay_alu instid0(VALU_DEP_2) | instskip(NEXT) | instid1(VALU_DEP_3)
	v_not_b32_e32 v8, v8
	v_not_b32_e32 v7, v7
	s_delay_alu instid0(VALU_DEP_2) | instskip(NEXT) | instid1(VALU_DEP_2)
	v_and_b32_e32 v16, 0, v8
	v_and_b32_e32 v15, v1, v7
	v_lshrrev_b64 v[7:8], v14, v[1:2]
	s_delay_alu instid0(VALU_DEP_2) | instskip(NEXT) | instid1(VALU_DEP_2)
	v_cmp_eq_u64_e64 s2, v[15:16], v[9:10]
	v_dual_mov_b32 v10, v8 :: v_dual_mov_b32 v9, v7
	s_delay_alu instid0(VALU_DEP_2)
	s_and_saveexec_b32 s44, s2
; %bb.14:                               ;   in Loop: Header=BB94_10 Depth=1
	v_bfe_u32 v1, v7, 20, 1
	s_delay_alu instid0(VALU_DEP_1) | instskip(NEXT) | instid1(VALU_DEP_1)
	v_add_co_u32 v1, s2, v7, v1
	v_add_co_u32 v9, s2, v1, -1
; %bb.15:                               ;   in Loop: Header=BB94_10 Depth=1
	s_or_b32 exec_lo, exec_lo, s44
	v_add_nc_u32_e32 v1, 0xffffff81, v13
	v_lshrrev_b32_e32 v10, 23, v7
	s_mov_b32 s2, exec_lo
	s_delay_alu instid0(VALU_DEP_2) | instskip(NEXT) | instid1(VALU_DEP_1)
	v_cndmask_b32_e64 v1, v1, 0xffffff82, vcc_lo
	v_add3_u32 v10, v14, v1, v10
	v_and_b32_e32 v1, 0xfffff, v9
	s_delay_alu instid0(VALU_DEP_2) | instskip(NEXT) | instid1(VALU_DEP_2)
	v_add_nc_u32_e32 v9, 6, v10
	v_add_co_u32 v7, vcc_lo, v1, v7
	v_add_co_ci_u32_e32 v8, vcc_lo, 0, v8, vcc_lo
                                        ; implicit-def: $vgpr1
	s_delay_alu instid0(VALU_DEP_3)
	v_cmpx_ne_u32_e32 0, v9
	s_xor_b32 s2, exec_lo, s2
; %bb.16:                               ;   in Loop: Header=BB94_10 Depth=1
	s_delay_alu instid0(VALU_DEP_2) | instskip(SKIP_1) | instid1(VALU_DEP_1)
	v_cmp_lt_u64_e32 vcc_lo, 0xffffff, v[7:8]
	v_add_nc_u32_e32 v1, 7, v10
	v_cndmask_b32_e32 v1, v9, v1, vcc_lo
	v_cndmask_b32_e64 v9, 0, 1, vcc_lo
	s_delay_alu instid0(VALU_DEP_1)
	v_lshrrev_b64 v[7:8], v9, v[7:8]
; %bb.17:                               ;   in Loop: Header=BB94_10 Depth=1
	s_and_not1_saveexec_b32 s2, s2
; %bb.18:                               ;   in Loop: Header=BB94_10 Depth=1
	s_delay_alu instid0(VALU_DEP_1)
	v_bfe_u32 v1, v7, 23, 1
; %bb.19:                               ;   in Loop: Header=BB94_10 Depth=1
	s_or_b32 exec_lo, exec_lo, s2
	s_delay_alu instid0(VALU_DEP_2) | instskip(NEXT) | instid1(VALU_DEP_2)
	v_lshrrev_b64 v[7:8], 20, v[7:8]
	v_cmp_gt_i32_e32 vcc_lo, 16, v1
	v_cmp_ne_u32_e64 s2, 0, v1
	s_delay_alu instid0(VALU_DEP_3) | instskip(NEXT) | instid1(VALU_DEP_1)
	v_dual_cndmask_b32 v8, 0, v8 :: v_dual_cndmask_b32 v7, 7, v7
	v_cmp_ne_u64_e32 vcc_lo, 0, v[7:8]
                                        ; implicit-def: $vgpr8
	s_delay_alu instid0(VALU_DEP_3) | instskip(NEXT) | instid1(SALU_CYCLE_1)
	s_or_b32 s2, s2, vcc_lo
	s_and_saveexec_b32 s44, s2
	s_delay_alu instid0(SALU_CYCLE_1)
	s_xor_b32 s2, exec_lo, s44
; %bb.20:                               ;   in Loop: Header=BB94_10 Depth=1
	v_min_i32_e32 v1, 15, v1
	s_delay_alu instid0(VALU_DEP_1) | instskip(NEXT) | instid1(VALU_DEP_1)
	v_lshl_or_b32 v1, v1, 3, v12
                                        ; implicit-def: $vgpr12
	v_and_or_b32 v8, v7, 7, v1
; %bb.21:                               ;   in Loop: Header=BB94_10 Depth=1
	s_and_not1_saveexec_b32 s2, s2
; %bb.22:                               ;   in Loop: Header=BB94_10 Depth=1
	v_mov_b32_e32 v8, v12
; %bb.23:                               ;   in Loop: Header=BB94_10 Depth=1
	s_or_b32 exec_lo, exec_lo, s2
.LBB94_24:                              ;   in Loop: Header=BB94_10 Depth=1
	s_delay_alu instid0(SALU_CYCLE_1)
	s_or_b32 exec_lo, exec_lo, s43
.LBB94_25:                              ;   in Loop: Header=BB94_10 Depth=1
	s_and_not1_saveexec_b32 s2, s42
	s_delay_alu instid0(SALU_CYCLE_1)
	s_or_b32 exec_lo, exec_lo, s2
                                        ; implicit-def: $vgpr9
.LBB94_26:                              ;   in Loop: Header=BB94_10 Depth=1
	s_and_not1_saveexec_b32 s2, s41
; %bb.27:                               ;   in Loop: Header=BB94_10 Depth=1
	v_cmp_eq_u64_e32 vcc_lo, 0, v[1:2]
	v_or_b32_e32 v7, 0x7f, v9
	s_delay_alu instid0(VALU_DEP_1)
	v_cndmask_b32_e32 v8, v7, v8, vcc_lo
; %bb.28:                               ;   in Loop: Header=BB94_10 Depth=1
	s_or_b32 exec_lo, exec_lo, s2
	v_lshlrev_b32_e32 v1, 16, v11
	v_add_co_u32 v14, s2, s36, v0
	s_delay_alu instid0(VALU_DEP_1) | instskip(NEXT) | instid1(VALU_DEP_3)
	v_add_co_ci_u32_e64 v15, null, s37, 0, s2
	v_div_scale_f32 v7, null, s34, s34, v1
	v_div_scale_f32 v11, vcc_lo, v1, s34, v1
	global_store_b8 v[14:15], v8, off
	v_rcp_f32_e32 v9, v7
	s_mov_b32 s2, exec_lo
	v_mov_b32_e32 v13, v2
	s_waitcnt_depctr 0xfff
	v_fma_f32 v10, -v7, v9, 1.0
	s_delay_alu instid0(VALU_DEP_1) | instskip(NEXT) | instid1(VALU_DEP_1)
	v_fmac_f32_e32 v9, v10, v9
	v_mul_f32_e32 v10, v11, v9
	s_delay_alu instid0(VALU_DEP_1) | instskip(NEXT) | instid1(VALU_DEP_1)
	v_fma_f32 v12, -v7, v10, v11
	v_fmac_f32_e32 v10, v12, v9
	s_delay_alu instid0(VALU_DEP_1) | instskip(NEXT) | instid1(VALU_DEP_1)
	v_fma_f32 v7, -v7, v10, v11
	v_div_fmas_f32 v7, v7, v9, v10
	s_delay_alu instid0(VALU_DEP_1) | instskip(NEXT) | instid1(VALU_DEP_1)
	v_div_fixup_f32 v7, v7, s34, v1
	v_lshrrev_b32_e32 v10, 24, v7
	v_and_b32_e32 v12, 0x7f800000, v7
	v_and_b32_e32 v1, 0x7fffff, v7
	s_delay_alu instid0(VALU_DEP_3) | instskip(NEXT) | instid1(VALU_DEP_1)
	v_and_b32_e32 v11, 0x80, v10
	v_or_b32_e32 v9, 0x7e, v11
	s_delay_alu instid0(VALU_DEP_4)
	v_cmpx_ne_u64_e32 0x7f800000, v[12:13]
	s_xor_b32 s41, exec_lo, s2
	s_cbranch_execz .LBB94_44
; %bb.29:                               ;   in Loop: Header=BB94_10 Depth=1
	v_dual_mov_b32 v13, v2 :: v_dual_and_b32 v12, 0x7fffffff, v7
	s_mov_b32 s2, exec_lo
	s_delay_alu instid0(VALU_DEP_1)
	v_cmpx_gt_u64_e32 0x43e00001, v[12:13]
	s_xor_b32 s42, exec_lo, s2
	s_cbranch_execz .LBB94_43
; %bb.30:                               ;   in Loop: Header=BB94_10 Depth=1
	v_mov_b32_e32 v9, 0
	s_mov_b32 s43, exec_lo
	v_cmpx_ne_u32_e32 0, v7
	s_cbranch_execz .LBB94_42
; %bb.31:                               ;   in Loop: Header=BB94_10 Depth=1
	v_bfe_u32 v12, v7, 23, 8
	v_or_b32_e32 v9, 0x800000, v1
	s_delay_alu instid0(VALU_DEP_2) | instskip(SKIP_1) | instid1(VALU_DEP_2)
	v_sub_nc_u32_e32 v7, 0x79, v12
	v_cmp_gt_u32_e32 vcc_lo, 0x7a, v12
	v_cndmask_b32_e32 v7, 0, v7, vcc_lo
	v_cmp_eq_u32_e32 vcc_lo, 0, v12
	s_delay_alu instid0(VALU_DEP_2) | instskip(SKIP_1) | instid1(VALU_DEP_2)
	v_cndmask_b32_e64 v13, v7, 0x78, vcc_lo
	v_cndmask_b32_e32 v1, v9, v1, vcc_lo
	v_add_nc_u32_e32 v7, 20, v13
	v_add_nc_u32_e32 v9, 19, v13
	s_delay_alu instid0(VALU_DEP_2) | instskip(NEXT) | instid1(VALU_DEP_2)
	v_lshlrev_b64 v[7:8], v7, -1
	v_lshlrev_b64 v[9:10], v9, 1
	s_delay_alu instid0(VALU_DEP_2) | instskip(NEXT) | instid1(VALU_DEP_3)
	v_not_b32_e32 v8, v8
	v_not_b32_e32 v7, v7
	s_delay_alu instid0(VALU_DEP_2) | instskip(NEXT) | instid1(VALU_DEP_2)
	v_and_b32_e32 v15, 0, v8
	v_and_b32_e32 v14, v1, v7
	v_lshrrev_b64 v[7:8], v13, v[1:2]
	s_delay_alu instid0(VALU_DEP_2) | instskip(NEXT) | instid1(VALU_DEP_2)
	v_cmp_eq_u64_e64 s2, v[14:15], v[9:10]
	v_dual_mov_b32 v10, v8 :: v_dual_mov_b32 v9, v7
	s_delay_alu instid0(VALU_DEP_2)
	s_and_saveexec_b32 s44, s2
; %bb.32:                               ;   in Loop: Header=BB94_10 Depth=1
	v_bfe_u32 v1, v7, 20, 1
	s_delay_alu instid0(VALU_DEP_1) | instskip(NEXT) | instid1(VALU_DEP_1)
	v_add_co_u32 v1, s2, v7, v1
	v_add_co_u32 v9, s2, v1, -1
; %bb.33:                               ;   in Loop: Header=BB94_10 Depth=1
	s_or_b32 exec_lo, exec_lo, s44
	v_add_nc_u32_e32 v1, 0xffffff81, v12
	v_lshrrev_b32_e32 v10, 23, v7
	s_mov_b32 s2, exec_lo
	s_delay_alu instid0(VALU_DEP_2) | instskip(NEXT) | instid1(VALU_DEP_1)
	v_cndmask_b32_e64 v1, v1, 0xffffff82, vcc_lo
	v_add3_u32 v10, v13, v1, v10
	v_and_b32_e32 v1, 0xfffff, v9
	s_delay_alu instid0(VALU_DEP_2) | instskip(NEXT) | instid1(VALU_DEP_2)
	v_add_nc_u32_e32 v9, 6, v10
	v_add_co_u32 v7, vcc_lo, v1, v7
	v_add_co_ci_u32_e32 v8, vcc_lo, 0, v8, vcc_lo
                                        ; implicit-def: $vgpr1
	s_delay_alu instid0(VALU_DEP_3)
	v_cmpx_ne_u32_e32 0, v9
	s_xor_b32 s2, exec_lo, s2
; %bb.34:                               ;   in Loop: Header=BB94_10 Depth=1
	s_delay_alu instid0(VALU_DEP_2) | instskip(SKIP_1) | instid1(VALU_DEP_1)
	v_cmp_lt_u64_e32 vcc_lo, 0xffffff, v[7:8]
	v_add_nc_u32_e32 v1, 7, v10
	v_cndmask_b32_e32 v1, v9, v1, vcc_lo
	v_cndmask_b32_e64 v9, 0, 1, vcc_lo
	s_delay_alu instid0(VALU_DEP_1)
	v_lshrrev_b64 v[7:8], v9, v[7:8]
; %bb.35:                               ;   in Loop: Header=BB94_10 Depth=1
	s_and_not1_saveexec_b32 s2, s2
; %bb.36:                               ;   in Loop: Header=BB94_10 Depth=1
	s_delay_alu instid0(VALU_DEP_1)
	v_bfe_u32 v1, v7, 23, 1
; %bb.37:                               ;   in Loop: Header=BB94_10 Depth=1
	s_or_b32 exec_lo, exec_lo, s2
	s_delay_alu instid0(VALU_DEP_2) | instskip(NEXT) | instid1(VALU_DEP_2)
	v_lshrrev_b64 v[7:8], 20, v[7:8]
	v_cmp_gt_i32_e32 vcc_lo, 16, v1
	v_cmp_ne_u32_e64 s2, 0, v1
                                        ; implicit-def: $vgpr9
	s_delay_alu instid0(VALU_DEP_3) | instskip(NEXT) | instid1(VALU_DEP_1)
	v_dual_cndmask_b32 v8, 0, v8 :: v_dual_cndmask_b32 v7, 7, v7
	v_cmp_ne_u64_e32 vcc_lo, 0, v[7:8]
	s_delay_alu instid0(VALU_DEP_3) | instskip(NEXT) | instid1(SALU_CYCLE_1)
	s_or_b32 s2, s2, vcc_lo
	s_and_saveexec_b32 s44, s2
	s_delay_alu instid0(SALU_CYCLE_1)
	s_xor_b32 s2, exec_lo, s44
; %bb.38:                               ;   in Loop: Header=BB94_10 Depth=1
	v_min_i32_e32 v1, 15, v1
	s_delay_alu instid0(VALU_DEP_1) | instskip(NEXT) | instid1(VALU_DEP_1)
	v_lshl_or_b32 v1, v1, 3, v11
                                        ; implicit-def: $vgpr11
	v_and_or_b32 v9, v7, 7, v1
; %bb.39:                               ;   in Loop: Header=BB94_10 Depth=1
	s_and_not1_saveexec_b32 s2, s2
; %bb.40:                               ;   in Loop: Header=BB94_10 Depth=1
	v_mov_b32_e32 v9, v11
; %bb.41:                               ;   in Loop: Header=BB94_10 Depth=1
	s_or_b32 exec_lo, exec_lo, s2
.LBB94_42:                              ;   in Loop: Header=BB94_10 Depth=1
	s_delay_alu instid0(SALU_CYCLE_1)
	s_or_b32 exec_lo, exec_lo, s43
.LBB94_43:                              ;   in Loop: Header=BB94_10 Depth=1
	s_and_not1_saveexec_b32 s2, s42
	s_delay_alu instid0(SALU_CYCLE_1)
	s_or_b32 exec_lo, exec_lo, s2
                                        ; implicit-def: $vgpr10
.LBB94_44:                              ;   in Loop: Header=BB94_10 Depth=1
	s_and_not1_saveexec_b32 s2, s41
	s_cbranch_execz .LBB94_9
; %bb.45:                               ;   in Loop: Header=BB94_10 Depth=1
	v_cmp_eq_u64_e32 vcc_lo, 0, v[1:2]
	v_or_b32_e32 v7, 0x7f, v10
	s_delay_alu instid0(VALU_DEP_1)
	v_cndmask_b32_e32 v9, v7, v9, vcc_lo
	s_branch .LBB94_9
.LBB94_46:
	s_or_b32 exec_lo, exec_lo, s33
	s_delay_alu instid0(SALU_CYCLE_1)
	s_mov_b32 s2, exec_lo
	v_cmpx_gt_i32_e64 s6, v0
	s_cbranch_execz .LBB94_67
; %bb.47:
	s_mul_i32 s3, s16, s11
	s_mul_hi_u32 s8, s16, s10
	s_mul_i32 s2, s16, s10
	s_add_i32 s3, s8, s3
	s_load_b32 s0, s[0:1], 0x8c
	s_lshl_b64 s[2:3], s[2:3], 2
	v_mov_b32_e32 v3, 0
	s_add_u32 s1, s14, s2
	s_addc_u32 s2, s15, s3
	s_waitcnt lgkmcnt(0)
	s_load_b32 s3, s[24:25], 0x0
	s_ashr_i32 s4, s4, 31
	s_delay_alu instid0(SALU_CYCLE_1) | instskip(NEXT) | instid1(SALU_CYCLE_1)
	s_mul_i32 s4, s22, s4
	s_add_i32 s4, s29, s4
	s_delay_alu instid0(SALU_CYCLE_1) | instskip(SKIP_3) | instid1(SALU_CYCLE_1)
	s_add_i32 s4, s4, s30
	s_add_u32 s8, s18, s31
	s_addc_u32 s9, s19, s4
	s_ashr_i32 s4, s5, 31
	s_mul_i32 s7, s7, s4
	s_delay_alu instid0(SALU_CYCLE_1) | instskip(NEXT) | instid1(SALU_CYCLE_1)
	s_add_i32 s4, s28, s7
	s_add_i32 s5, s4, s17
	s_add_u32 s4, s8, s23
	s_addc_u32 s5, s9, s5
	s_and_b32 s7, s0, 0xffff
	s_mov_b32 s8, 0
	s_branch .LBB94_49
.LBB94_48:                              ;   in Loop: Header=BB94_49 Depth=1
	s_or_b32 exec_lo, exec_lo, s0
	v_add_co_u32 v6, vcc_lo, s4, v0
	v_add_nc_u32_e32 v0, s7, v0
	v_add_co_ci_u32_e32 v7, vcc_lo, s5, v1, vcc_lo
	s_delay_alu instid0(VALU_DEP_2) | instskip(SKIP_2) | instid1(SALU_CYCLE_1)
	v_cmp_le_i32_e32 vcc_lo, s6, v0
	global_store_b8 v[6:7], v5, off
	s_or_b32 s8, vcc_lo, s8
	s_and_not1_b32 exec_lo, exec_lo, s8
	s_cbranch_execz .LBB94_67
.LBB94_49:                              ; =>This Inner Loop Header: Depth=1
	v_ashrrev_i32_e32 v1, 31, v0
	s_mov_b32 s0, exec_lo
	v_mov_b32_e32 v10, v3
	s_delay_alu instid0(VALU_DEP_2) | instskip(NEXT) | instid1(VALU_DEP_1)
	v_lshlrev_b64 v[4:5], 2, v[0:1]
	v_add_co_u32 v4, vcc_lo, s1, v4
	s_delay_alu instid0(VALU_DEP_2) | instskip(SKIP_4) | instid1(VALU_DEP_1)
	v_add_co_ci_u32_e32 v5, vcc_lo, s2, v5, vcc_lo
	global_load_u16 v2, v[4:5], off
	s_waitcnt vmcnt(0)
	v_lshlrev_b32_e32 v2, 16, v2
	s_waitcnt lgkmcnt(0)
	v_div_scale_f32 v4, null, s3, s3, v2
	s_delay_alu instid0(VALU_DEP_1) | instskip(SKIP_2) | instid1(VALU_DEP_1)
	v_rcp_f32_e32 v5, v4
	s_waitcnt_depctr 0xfff
	v_fma_f32 v6, -v4, v5, 1.0
	v_fmac_f32_e32 v5, v6, v5
	v_div_scale_f32 v6, vcc_lo, v2, s3, v2
	s_delay_alu instid0(VALU_DEP_1) | instskip(NEXT) | instid1(VALU_DEP_1)
	v_mul_f32_e32 v7, v6, v5
	v_fma_f32 v8, -v4, v7, v6
	s_delay_alu instid0(VALU_DEP_1) | instskip(NEXT) | instid1(VALU_DEP_1)
	v_fmac_f32_e32 v7, v8, v5
	v_fma_f32 v4, -v4, v7, v6
	s_delay_alu instid0(VALU_DEP_1) | instskip(NEXT) | instid1(VALU_DEP_1)
	v_div_fmas_f32 v4, v4, v5, v7
	v_div_fixup_f32 v4, v4, s3, v2
	s_delay_alu instid0(VALU_DEP_1) | instskip(SKIP_2) | instid1(VALU_DEP_3)
	v_lshrrev_b32_e32 v6, 24, v4
	v_and_b32_e32 v9, 0x7f800000, v4
	v_and_b32_e32 v2, 0x7fffff, v4
	v_and_b32_e32 v8, 0x80, v6
	s_delay_alu instid0(VALU_DEP_1) | instskip(NEXT) | instid1(VALU_DEP_4)
	v_or_b32_e32 v5, 0x7e, v8
	v_cmpx_ne_u64_e32 0x7f800000, v[9:10]
	s_xor_b32 s9, exec_lo, s0
	s_cbranch_execz .LBB94_65
; %bb.50:                               ;   in Loop: Header=BB94_49 Depth=1
	v_dual_mov_b32 v7, v3 :: v_dual_and_b32 v6, 0x7fffffff, v4
	s_mov_b32 s0, exec_lo
	s_delay_alu instid0(VALU_DEP_1)
	v_cmpx_gt_u64_e32 0x43e00001, v[6:7]
	s_xor_b32 s10, exec_lo, s0
	s_cbranch_execz .LBB94_64
; %bb.51:                               ;   in Loop: Header=BB94_49 Depth=1
	v_mov_b32_e32 v5, 0
	s_mov_b32 s11, exec_lo
	v_cmpx_ne_u32_e32 0, v4
	s_cbranch_execz .LBB94_63
; %bb.52:                               ;   in Loop: Header=BB94_49 Depth=1
	v_bfe_u32 v9, v4, 23, 8
	v_or_b32_e32 v6, 0x800000, v2
	s_delay_alu instid0(VALU_DEP_2) | instskip(SKIP_1) | instid1(VALU_DEP_2)
	v_sub_nc_u32_e32 v4, 0x79, v9
	v_cmp_gt_u32_e32 vcc_lo, 0x7a, v9
	v_cndmask_b32_e32 v4, 0, v4, vcc_lo
	v_cmp_eq_u32_e32 vcc_lo, 0, v9
	s_delay_alu instid0(VALU_DEP_2) | instskip(SKIP_1) | instid1(VALU_DEP_2)
	v_cndmask_b32_e64 v10, v4, 0x78, vcc_lo
	v_cndmask_b32_e32 v2, v6, v2, vcc_lo
	v_add_nc_u32_e32 v4, 20, v10
	v_add_nc_u32_e32 v6, 19, v10
	s_delay_alu instid0(VALU_DEP_2) | instskip(NEXT) | instid1(VALU_DEP_2)
	v_lshlrev_b64 v[4:5], v4, -1
	v_lshlrev_b64 v[6:7], v6, 1
	s_delay_alu instid0(VALU_DEP_2) | instskip(NEXT) | instid1(VALU_DEP_3)
	v_not_b32_e32 v5, v5
	v_not_b32_e32 v4, v4
	s_delay_alu instid0(VALU_DEP_2) | instskip(NEXT) | instid1(VALU_DEP_2)
	v_and_b32_e32 v12, 0, v5
	v_and_b32_e32 v11, v2, v4
	v_lshrrev_b64 v[4:5], v10, v[2:3]
	s_delay_alu instid0(VALU_DEP_2) | instskip(NEXT) | instid1(VALU_DEP_2)
	v_cmp_eq_u64_e64 s0, v[11:12], v[6:7]
	v_dual_mov_b32 v7, v5 :: v_dual_mov_b32 v6, v4
	s_delay_alu instid0(VALU_DEP_2)
	s_and_saveexec_b32 s12, s0
; %bb.53:                               ;   in Loop: Header=BB94_49 Depth=1
	v_bfe_u32 v2, v4, 20, 1
	s_delay_alu instid0(VALU_DEP_1) | instskip(NEXT) | instid1(VALU_DEP_1)
	v_add_co_u32 v2, s0, v4, v2
	v_add_co_u32 v6, s0, v2, -1
; %bb.54:                               ;   in Loop: Header=BB94_49 Depth=1
	s_or_b32 exec_lo, exec_lo, s12
	v_add_nc_u32_e32 v2, 0xffffff81, v9
	v_lshrrev_b32_e32 v7, 23, v4
	s_mov_b32 s0, exec_lo
	s_delay_alu instid0(VALU_DEP_2) | instskip(NEXT) | instid1(VALU_DEP_1)
	v_cndmask_b32_e64 v2, v2, 0xffffff82, vcc_lo
	v_add3_u32 v7, v10, v2, v7
	v_and_b32_e32 v2, 0xfffff, v6
	s_delay_alu instid0(VALU_DEP_2) | instskip(NEXT) | instid1(VALU_DEP_2)
	v_add_nc_u32_e32 v6, 6, v7
	v_add_co_u32 v4, vcc_lo, v2, v4
	v_add_co_ci_u32_e32 v5, vcc_lo, 0, v5, vcc_lo
                                        ; implicit-def: $vgpr2
	s_delay_alu instid0(VALU_DEP_3)
	v_cmpx_ne_u32_e32 0, v6
	s_xor_b32 s0, exec_lo, s0
; %bb.55:                               ;   in Loop: Header=BB94_49 Depth=1
	s_delay_alu instid0(VALU_DEP_2) | instskip(SKIP_1) | instid1(VALU_DEP_1)
	v_cmp_lt_u64_e32 vcc_lo, 0xffffff, v[4:5]
	v_add_nc_u32_e32 v2, 7, v7
	v_cndmask_b32_e32 v2, v6, v2, vcc_lo
	v_cndmask_b32_e64 v6, 0, 1, vcc_lo
	s_delay_alu instid0(VALU_DEP_1)
	v_lshrrev_b64 v[4:5], v6, v[4:5]
; %bb.56:                               ;   in Loop: Header=BB94_49 Depth=1
	s_and_not1_saveexec_b32 s0, s0
; %bb.57:                               ;   in Loop: Header=BB94_49 Depth=1
	s_delay_alu instid0(VALU_DEP_1)
	v_bfe_u32 v2, v4, 23, 1
; %bb.58:                               ;   in Loop: Header=BB94_49 Depth=1
	s_or_b32 exec_lo, exec_lo, s0
	s_delay_alu instid0(VALU_DEP_2) | instskip(NEXT) | instid1(VALU_DEP_2)
	v_lshrrev_b64 v[4:5], 20, v[4:5]
	v_cmp_gt_i32_e32 vcc_lo, 16, v2
	v_cmp_ne_u32_e64 s0, 0, v2
	s_delay_alu instid0(VALU_DEP_3) | instskip(NEXT) | instid1(VALU_DEP_1)
	v_dual_cndmask_b32 v5, 0, v5 :: v_dual_cndmask_b32 v4, 7, v4
	v_cmp_ne_u64_e32 vcc_lo, 0, v[4:5]
                                        ; implicit-def: $vgpr5
	s_delay_alu instid0(VALU_DEP_3) | instskip(NEXT) | instid1(SALU_CYCLE_1)
	s_or_b32 s0, s0, vcc_lo
	s_and_saveexec_b32 s12, s0
	s_delay_alu instid0(SALU_CYCLE_1)
	s_xor_b32 s0, exec_lo, s12
; %bb.59:                               ;   in Loop: Header=BB94_49 Depth=1
	v_min_i32_e32 v2, 15, v2
	s_delay_alu instid0(VALU_DEP_1) | instskip(NEXT) | instid1(VALU_DEP_1)
	v_lshl_or_b32 v2, v2, 3, v8
                                        ; implicit-def: $vgpr8
	v_and_or_b32 v5, v4, 7, v2
; %bb.60:                               ;   in Loop: Header=BB94_49 Depth=1
	s_and_not1_saveexec_b32 s0, s0
; %bb.61:                               ;   in Loop: Header=BB94_49 Depth=1
	v_mov_b32_e32 v5, v8
; %bb.62:                               ;   in Loop: Header=BB94_49 Depth=1
	s_or_b32 exec_lo, exec_lo, s0
.LBB94_63:                              ;   in Loop: Header=BB94_49 Depth=1
	s_delay_alu instid0(SALU_CYCLE_1)
	s_or_b32 exec_lo, exec_lo, s11
.LBB94_64:                              ;   in Loop: Header=BB94_49 Depth=1
	s_and_not1_saveexec_b32 s0, s10
	s_delay_alu instid0(SALU_CYCLE_1)
	s_or_b32 exec_lo, exec_lo, s0
                                        ; implicit-def: $vgpr6
.LBB94_65:                              ;   in Loop: Header=BB94_49 Depth=1
	s_and_not1_saveexec_b32 s0, s9
	s_cbranch_execz .LBB94_48
; %bb.66:                               ;   in Loop: Header=BB94_49 Depth=1
	v_cmp_eq_u64_e32 vcc_lo, 0, v[2:3]
	v_or_b32_e32 v4, 0x7f, v6
	s_delay_alu instid0(VALU_DEP_1)
	v_cndmask_b32_e32 v5, v4, v5, vcc_lo
	s_branch .LBB94_48
.LBB94_67:
	s_nop 0
	s_sendmsg sendmsg(MSG_DEALLOC_VGPRS)
	s_endpgm
.LBB94_68:
                                        ; implicit-def: $sgpr22_sgpr23
	s_branch .LBB94_6
	.section	.rodata,"a",@progbits
	.p2align	6, 0x0
	.amdhsa_kernel _ZN4vllm38concat_and_cache_mla_rope_fused_kernelIfN3c108BFloat16ELb1E14__hip_bfloat16hLNS_18Fp8KVCacheDataTypeE1EEEvPKlPT_S8_PKS7_PKT0_illlliPT3_S6_iiiiPKf
		.amdhsa_group_segment_fixed_size 0
		.amdhsa_private_segment_fixed_size 0
		.amdhsa_kernarg_size 384
		.amdhsa_user_sgpr_count 15
		.amdhsa_user_sgpr_dispatch_ptr 0
		.amdhsa_user_sgpr_queue_ptr 0
		.amdhsa_user_sgpr_kernarg_segment_ptr 1
		.amdhsa_user_sgpr_dispatch_id 0
		.amdhsa_user_sgpr_private_segment_size 0
		.amdhsa_wavefront_size32 1
		.amdhsa_uses_dynamic_stack 0
		.amdhsa_enable_private_segment 0
		.amdhsa_system_sgpr_workgroup_id_x 1
		.amdhsa_system_sgpr_workgroup_id_y 0
		.amdhsa_system_sgpr_workgroup_id_z 0
		.amdhsa_system_sgpr_workgroup_info 0
		.amdhsa_system_vgpr_workitem_id 0
		.amdhsa_next_free_vgpr 19
		.amdhsa_next_free_sgpr 45
		.amdhsa_reserve_vcc 1
		.amdhsa_float_round_mode_32 0
		.amdhsa_float_round_mode_16_64 0
		.amdhsa_float_denorm_mode_32 3
		.amdhsa_float_denorm_mode_16_64 3
		.amdhsa_dx10_clamp 1
		.amdhsa_ieee_mode 1
		.amdhsa_fp16_overflow 0
		.amdhsa_workgroup_processor_mode 1
		.amdhsa_memory_ordered 1
		.amdhsa_forward_progress 0
		.amdhsa_shared_vgpr_count 0
		.amdhsa_exception_fp_ieee_invalid_op 0
		.amdhsa_exception_fp_denorm_src 0
		.amdhsa_exception_fp_ieee_div_zero 0
		.amdhsa_exception_fp_ieee_overflow 0
		.amdhsa_exception_fp_ieee_underflow 0
		.amdhsa_exception_fp_ieee_inexact 0
		.amdhsa_exception_int_div_zero 0
	.end_amdhsa_kernel
	.section	.text._ZN4vllm38concat_and_cache_mla_rope_fused_kernelIfN3c108BFloat16ELb1E14__hip_bfloat16hLNS_18Fp8KVCacheDataTypeE1EEEvPKlPT_S8_PKS7_PKT0_illlliPT3_S6_iiiiPKf,"axG",@progbits,_ZN4vllm38concat_and_cache_mla_rope_fused_kernelIfN3c108BFloat16ELb1E14__hip_bfloat16hLNS_18Fp8KVCacheDataTypeE1EEEvPKlPT_S8_PKS7_PKT0_illlliPT3_S6_iiiiPKf,comdat
.Lfunc_end94:
	.size	_ZN4vllm38concat_and_cache_mla_rope_fused_kernelIfN3c108BFloat16ELb1E14__hip_bfloat16hLNS_18Fp8KVCacheDataTypeE1EEEvPKlPT_S8_PKS7_PKT0_illlliPT3_S6_iiiiPKf, .Lfunc_end94-_ZN4vllm38concat_and_cache_mla_rope_fused_kernelIfN3c108BFloat16ELb1E14__hip_bfloat16hLNS_18Fp8KVCacheDataTypeE1EEEvPKlPT_S8_PKS7_PKT0_illlliPT3_S6_iiiiPKf
                                        ; -- End function
	.section	.AMDGPU.csdata,"",@progbits
; Kernel info:
; codeLenInByte = 4452
; NumSgprs: 47
; NumVgprs: 19
; ScratchSize: 0
; MemoryBound: 0
; FloatMode: 240
; IeeeMode: 1
; LDSByteSize: 0 bytes/workgroup (compile time only)
; SGPRBlocks: 5
; VGPRBlocks: 2
; NumSGPRsForWavesPerEU: 47
; NumVGPRsForWavesPerEU: 19
; Occupancy: 16
; WaveLimiterHint : 1
; COMPUTE_PGM_RSRC2:SCRATCH_EN: 0
; COMPUTE_PGM_RSRC2:USER_SGPR: 15
; COMPUTE_PGM_RSRC2:TRAP_HANDLER: 0
; COMPUTE_PGM_RSRC2:TGID_X_EN: 1
; COMPUTE_PGM_RSRC2:TGID_Y_EN: 0
; COMPUTE_PGM_RSRC2:TGID_Z_EN: 0
; COMPUTE_PGM_RSRC2:TIDIG_COMP_CNT: 0
	.section	.text._ZN4vllm38concat_and_cache_mla_rope_fused_kernelIfN3c108BFloat16ELb0E14__hip_bfloat16hLNS_18Fp8KVCacheDataTypeE1EEEvPKlPT_S8_PKS7_PKT0_illlliPT3_S6_iiiiPKf,"axG",@progbits,_ZN4vllm38concat_and_cache_mla_rope_fused_kernelIfN3c108BFloat16ELb0E14__hip_bfloat16hLNS_18Fp8KVCacheDataTypeE1EEEvPKlPT_S8_PKS7_PKT0_illlliPT3_S6_iiiiPKf,comdat
	.protected	_ZN4vllm38concat_and_cache_mla_rope_fused_kernelIfN3c108BFloat16ELb0E14__hip_bfloat16hLNS_18Fp8KVCacheDataTypeE1EEEvPKlPT_S8_PKS7_PKT0_illlliPT3_S6_iiiiPKf ; -- Begin function _ZN4vllm38concat_and_cache_mla_rope_fused_kernelIfN3c108BFloat16ELb0E14__hip_bfloat16hLNS_18Fp8KVCacheDataTypeE1EEEvPKlPT_S8_PKS7_PKT0_illlliPT3_S6_iiiiPKf
	.globl	_ZN4vllm38concat_and_cache_mla_rope_fused_kernelIfN3c108BFloat16ELb0E14__hip_bfloat16hLNS_18Fp8KVCacheDataTypeE1EEEvPKlPT_S8_PKS7_PKT0_illlliPT3_S6_iiiiPKf
	.p2align	8
	.type	_ZN4vllm38concat_and_cache_mla_rope_fused_kernelIfN3c108BFloat16ELb0E14__hip_bfloat16hLNS_18Fp8KVCacheDataTypeE1EEEvPKlPT_S8_PKS7_PKT0_illlliPT3_S6_iiiiPKf,@function
_ZN4vllm38concat_and_cache_mla_rope_fused_kernelIfN3c108BFloat16ELb0E14__hip_bfloat16hLNS_18Fp8KVCacheDataTypeE1EEEvPKlPT_S8_PKS7_PKT0_illlliPT3_S6_iiiiPKf: ; @_ZN4vllm38concat_and_cache_mla_rope_fused_kernelIfN3c108BFloat16ELb0E14__hip_bfloat16hLNS_18Fp8KVCacheDataTypeE1EEEvPKlPT_S8_PKS7_PKT0_illlliPT3_S6_iiiiPKf
; %bb.0:
	s_load_b64 s[4:5], s[0:1], 0x60
	s_mov_b32 s16, s15
	s_mov_b32 s17, 0
	s_delay_alu instid0(SALU_CYCLE_1)
	s_lshl_b64 s[2:3], s[16:17], 3
	s_waitcnt lgkmcnt(0)
	s_add_u32 s4, s4, s2
	s_addc_u32 s5, s5, s3
	s_load_b64 s[26:27], s[4:5], 0x0
	s_waitcnt lgkmcnt(0)
	v_cmp_lt_i64_e64 s4, s[26:27], 0
	s_delay_alu instid0(VALU_DEP_1)
	s_and_b32 vcc_lo, exec_lo, s4
	s_cbranch_vccnz .LBB95_67
; %bb.1:
	s_clause 0x3
	s_load_b32 s21, s[0:1], 0x28
	s_load_b64 s[4:5], s[0:1], 0x0
	s_load_b128 s[12:15], s[0:1], 0x10
	s_load_b32 s17, s[0:1], 0x50
	v_lshlrev_b32_e32 v3, 1, v0
	s_waitcnt lgkmcnt(0)
	s_ashr_i32 s24, s21, 31
	s_add_u32 s2, s4, s2
	s_addc_u32 s3, s5, s3
	s_lshr_b32 s20, s21, 31
	s_load_b64 s[22:23], s[2:3], 0x0
	s_clause 0x2
	s_load_b64 s[2:3], s[0:1], 0x20
	s_load_b64 s[18:19], s[0:1], 0x58
	s_load_b256 s[4:11], s[0:1], 0x30
	s_add_i32 s20, s21, s20
	s_delay_alu instid0(SALU_CYCLE_1) | instskip(NEXT) | instid1(SALU_CYCLE_1)
	s_ashr_i32 s20, s20, 1
	s_mul_i32 s17, s20, s17
	s_waitcnt lgkmcnt(0)
	s_mul_i32 s24, s22, s24
	s_mul_hi_u32 s25, s22, s21
	s_mul_i32 s23, s23, s21
	s_add_i32 s24, s25, s24
	s_mul_i32 s28, s22, s21
	s_add_i32 s29, s24, s23
	s_mov_b32 s22, exec_lo
	v_cmpx_gt_i32_e64 s17, v0
	s_cbranch_execz .LBB95_4
; %bb.2:
	s_clause 0x1
	s_load_b64 s[30:31], s[0:1], 0x8
	s_load_b32 s34, s[0:1], 0x8c
	s_lshl_b64 s[24:25], s[28:29], 1
	s_mul_i32 s5, s16, s5
	s_mul_hi_u32 s21, s16, s4
	s_add_u32 s23, s2, s24
	s_mul_i32 s4, s16, s4
	s_addc_u32 s24, s3, s25
	s_add_i32 s5, s21, s5
	s_ashr_i32 s21, s20, 31
	s_lshl_b64 s[4:5], s[4:5], 2
	s_mov_b32 s33, 0
	s_waitcnt lgkmcnt(0)
	s_add_u32 s25, s30, s4
	s_addc_u32 s30, s31, s5
	s_abs_i32 s31, s20
	s_and_b32 s34, s34, 0xffff
	v_cvt_f32_u32_e32 v1, s31
	s_sub_i32 s4, 0, s31
	s_sub_i32 s35, 0, s20
	s_lshl_b32 s37, s34, 1
	s_delay_alu instid0(VALU_DEP_1) | instskip(SKIP_2) | instid1(VALU_DEP_1)
	v_rcp_iflag_f32_e32 v1, v1
	s_waitcnt_depctr 0xfff
	v_mul_f32_e32 v1, 0x4f7ffffe, v1
	v_cvt_u32_f32_e32 v2, v1
	s_delay_alu instid0(VALU_DEP_1) | instskip(SKIP_1) | instid1(SALU_CYCLE_1)
	v_mul_lo_u32 v1, s4, v2
	s_lshl_b32 s4, s20, 1
	s_sub_i32 s36, 0, s4
	s_lshl_b64 s[4:5], s[20:21], 1
	s_delay_alu instid0(VALU_DEP_1) | instskip(NEXT) | instid1(VALU_DEP_1)
	v_mul_hi_u32 v4, v2, v1
	v_dual_mov_b32 v1, v3 :: v_dual_add_nc_u32 v4, v2, v4
	v_mov_b32_e32 v2, v0
.LBB95_3:                               ; =>This Inner Loop Header: Depth=1
	s_delay_alu instid0(VALU_DEP_1) | instskip(SKIP_1) | instid1(VALU_DEP_2)
	v_sub_nc_u32_e32 v5, 0, v2
	v_ashrrev_i32_e32 v6, 31, v2
	v_max_i32_e32 v5, v2, v5
	s_delay_alu instid0(VALU_DEP_2) | instskip(NEXT) | instid1(VALU_DEP_2)
	v_xor_b32_e32 v6, s21, v6
	v_mul_hi_u32 v7, v5, v4
	s_delay_alu instid0(VALU_DEP_1) | instskip(SKIP_1) | instid1(VALU_DEP_2)
	v_mul_lo_u32 v8, v7, s31
	v_add_nc_u32_e32 v9, 1, v7
	v_sub_nc_u32_e32 v5, v5, v8
	s_delay_alu instid0(VALU_DEP_1) | instskip(SKIP_1) | instid1(VALU_DEP_4)
	v_subrev_nc_u32_e32 v8, s31, v5
	v_cmp_le_u32_e32 vcc_lo, s31, v5
	v_cndmask_b32_e32 v7, v7, v9, vcc_lo
	s_delay_alu instid0(VALU_DEP_1) | instskip(NEXT) | instid1(VALU_DEP_1)
	v_dual_cndmask_b32 v5, v5, v8 :: v_dual_add_nc_u32 v8, 1, v7
	v_cmp_le_u32_e32 vcc_lo, s31, v5
	s_delay_alu instid0(VALU_DEP_2) | instskip(NEXT) | instid1(VALU_DEP_1)
	v_cndmask_b32_e32 v5, v7, v8, vcc_lo
	v_xor_b32_e32 v5, v5, v6
	s_delay_alu instid0(VALU_DEP_1) | instskip(NEXT) | instid1(VALU_DEP_1)
	v_sub_nc_u32_e32 v11, v5, v6
	v_mad_u64_u32 v[5:6], null, s35, v11, v[2:3]
	v_ashrrev_i32_e32 v6, 31, v11
	v_mul_lo_u32 v12, v11, s7
	v_mad_u64_u32 v[7:8], null, v11, s6, 0
	v_mad_u64_u32 v[9:10], null, s36, v11, v[1:2]
	s_delay_alu instid0(VALU_DEP_4) | instskip(SKIP_3) | instid1(VALU_DEP_3)
	v_mul_lo_u32 v11, v6, s6
	v_ashrrev_i32_e32 v6, 31, v5
	v_add_nc_u32_e32 v2, s34, v2
	v_add_nc_u32_e32 v1, s37, v1
	v_lshlrev_b64 v[5:6], 1, v[5:6]
	v_ashrrev_i32_e32 v10, 31, v9
	v_add3_u32 v8, v8, v12, v11
	s_delay_alu instid0(VALU_DEP_3) | instskip(NEXT) | instid1(VALU_DEP_2)
	v_add_co_u32 v5, vcc_lo, s23, v5
	v_lshlrev_b64 v[7:8], 2, v[7:8]
	v_add_co_ci_u32_e32 v6, vcc_lo, s24, v6, vcc_lo
	s_delay_alu instid0(VALU_DEP_3) | instskip(SKIP_1) | instid1(VALU_DEP_3)
	v_add_co_u32 v11, vcc_lo, v5, s4
	v_lshlrev_b64 v[9:10], 2, v[9:10]
	v_add_co_ci_u32_e32 v12, vcc_lo, s5, v6, vcc_lo
	v_add_co_u32 v7, vcc_lo, s25, v7
	v_add_co_ci_u32_e32 v8, vcc_lo, s30, v8, vcc_lo
	s_clause 0x1
	global_load_u16 v13, v[5:6], off
	global_load_u16 v11, v[11:12], off
	v_add_co_u32 v5, vcc_lo, v7, v9
	v_add_co_ci_u32_e32 v6, vcc_lo, v8, v10, vcc_lo
	v_cmp_le_i32_e32 vcc_lo, s17, v2
	global_load_b64 v[7:8], v[5:6], off
	s_or_b32 s33, vcc_lo, s33
	s_waitcnt vmcnt(1)
	v_lshlrev_b32_e32 v9, 16, v11
	v_lshlrev_b32_e32 v11, 16, v13
	s_waitcnt vmcnt(0)
	s_delay_alu instid0(VALU_DEP_2) | instskip(SKIP_1) | instid1(VALU_DEP_2)
	v_mul_f32_e32 v12, v8, v9
	v_mul_f32_e32 v10, v7, v9
	v_fma_f32 v9, v7, v11, -v12
	s_delay_alu instid0(VALU_DEP_2)
	v_fmac_f32_e32 v10, v8, v11
	global_store_b64 v[5:6], v[9:10], off
	s_and_not1_b32 exec_lo, exec_lo, s33
	s_cbranch_execnz .LBB95_3
.LBB95_4:
	s_or_b32 exec_lo, exec_lo, s22
	s_load_b128 s[4:7], s[0:1], 0x68
	s_waitcnt lgkmcnt(0)
	s_ashr_i32 s31, s7, 31
	s_mov_b32 s30, s7
	s_delay_alu instid0(SALU_CYCLE_1) | instskip(SKIP_1) | instid1(SALU_CYCLE_1)
	s_or_b64 s[24:25], s[26:27], s[30:31]
	s_mov_b32 s24, 0
	s_cmp_lg_u64 s[24:25], 0
	s_cbranch_scc0 .LBB95_68
; %bb.5:
	s_add_u32 s34, s30, s31
	s_mov_b32 s22, s31
	s_mov_b32 s23, s31
	s_addc_u32 s35, s31, s31
	s_delay_alu instid0(SALU_CYCLE_1) | instskip(NEXT) | instid1(SALU_CYCLE_1)
	s_xor_b64 s[34:35], s[34:35], s[22:23]
	v_cvt_f32_u32_e32 v1, s34
	v_cvt_f32_u32_e32 v2, s35
	s_sub_u32 s21, 0, s34
	s_subb_u32 s25, 0, s35
	s_delay_alu instid0(VALU_DEP_1) | instskip(NEXT) | instid1(VALU_DEP_1)
	v_fmamk_f32 v1, v2, 0x4f800000, v1
	v_rcp_f32_e32 v1, v1
	s_waitcnt_depctr 0xfff
	v_mul_f32_e32 v1, 0x5f7ffffc, v1
	s_delay_alu instid0(VALU_DEP_1) | instskip(NEXT) | instid1(VALU_DEP_1)
	v_mul_f32_e32 v2, 0x2f800000, v1
	v_trunc_f32_e32 v2, v2
	s_delay_alu instid0(VALU_DEP_1) | instskip(SKIP_1) | instid1(VALU_DEP_2)
	v_fmamk_f32 v1, v2, 0xcf800000, v1
	v_cvt_u32_f32_e32 v2, v2
	v_cvt_u32_f32_e32 v1, v1
	s_delay_alu instid0(VALU_DEP_2) | instskip(NEXT) | instid1(VALU_DEP_2)
	v_readfirstlane_b32 s7, v2
	v_readfirstlane_b32 s17, v1
	s_delay_alu instid0(VALU_DEP_2) | instskip(NEXT) | instid1(VALU_DEP_1)
	s_mul_i32 s33, s21, s7
	s_mul_hi_u32 s37, s21, s17
	s_mul_i32 s36, s25, s17
	s_add_i32 s33, s37, s33
	s_mul_i32 s38, s21, s17
	s_add_i32 s33, s33, s36
	s_mul_hi_u32 s37, s17, s38
	s_mul_hi_u32 s39, s7, s38
	s_mul_i32 s36, s7, s38
	s_mul_hi_u32 s38, s17, s33
	s_mul_i32 s17, s17, s33
	s_mul_hi_u32 s40, s7, s33
	s_add_u32 s17, s37, s17
	s_addc_u32 s37, 0, s38
	s_add_u32 s17, s17, s36
	s_mul_i32 s33, s7, s33
	s_addc_u32 s17, s37, s39
	s_addc_u32 s36, s40, 0
	s_add_u32 s17, s17, s33
	s_addc_u32 s33, 0, s36
	v_add_co_u32 v1, s17, v1, s17
	s_delay_alu instid0(VALU_DEP_1) | instskip(SKIP_1) | instid1(VALU_DEP_1)
	s_cmp_lg_u32 s17, 0
	s_addc_u32 s7, s7, s33
	v_readfirstlane_b32 s17, v1
	s_mul_i32 s33, s21, s7
	s_delay_alu instid0(VALU_DEP_1)
	s_mul_hi_u32 s36, s21, s17
	s_mul_i32 s25, s25, s17
	s_add_i32 s33, s36, s33
	s_mul_i32 s21, s21, s17
	s_add_i32 s33, s33, s25
	s_mul_hi_u32 s36, s7, s21
	s_mul_i32 s37, s7, s21
	s_mul_hi_u32 s21, s17, s21
	s_mul_hi_u32 s38, s17, s33
	s_mul_i32 s17, s17, s33
	s_mul_hi_u32 s25, s7, s33
	s_add_u32 s17, s21, s17
	s_addc_u32 s21, 0, s38
	s_add_u32 s17, s17, s37
	s_mul_i32 s33, s7, s33
	s_addc_u32 s17, s21, s36
	s_addc_u32 s21, s25, 0
	s_add_u32 s17, s17, s33
	s_addc_u32 s21, 0, s21
	v_add_co_u32 v1, s17, v1, s17
	s_delay_alu instid0(VALU_DEP_1) | instskip(SKIP_2) | instid1(VALU_DEP_1)
	s_cmp_lg_u32 s17, 0
	s_addc_u32 s7, s7, s21
	s_ashr_i32 s36, s27, 31
	v_readfirstlane_b32 s17, v1
	s_add_u32 s38, s26, s36
	s_mov_b32 s37, s36
	s_addc_u32 s39, s27, s36
	s_delay_alu instid0(SALU_CYCLE_1) | instskip(NEXT) | instid1(SALU_CYCLE_1)
	s_xor_b64 s[38:39], s[38:39], s[36:37]
	s_mul_i32 s25, s38, s7
	s_mul_hi_u32 s33, s38, s17
	s_mul_hi_u32 s21, s38, s7
	;; [unrolled: 1-line block ×3, first 2 shown]
	s_mul_i32 s17, s39, s17
	s_add_u32 s25, s33, s25
	s_addc_u32 s21, 0, s21
	s_mul_hi_u32 s40, s39, s7
	s_add_u32 s17, s25, s17
	s_mul_i32 s7, s39, s7
	s_addc_u32 s17, s21, s41
	s_addc_u32 s21, s40, 0
	s_add_u32 s7, s17, s7
	s_addc_u32 s17, 0, s21
	s_mul_hi_u32 s21, s34, s7
	s_mul_i32 s33, s34, s17
	s_mul_i32 s40, s34, s7
	s_add_i32 s21, s21, s33
	v_sub_co_u32 v1, s33, s38, s40
	s_mul_i32 s25, s35, s7
	s_delay_alu instid0(SALU_CYCLE_1) | instskip(NEXT) | instid1(VALU_DEP_1)
	s_add_i32 s21, s21, s25
	v_sub_co_u32 v2, s38, v1, s34
	s_sub_i32 s25, s39, s21
	s_cmp_lg_u32 s33, 0
	s_subb_u32 s25, s25, s35
	s_cmp_lg_u32 s38, 0
	v_readfirstlane_b32 s38, v2
	s_subb_u32 s25, s25, 0
	s_delay_alu instid0(SALU_CYCLE_1) | instskip(SKIP_1) | instid1(VALU_DEP_1)
	s_cmp_ge_u32 s25, s35
	s_cselect_b32 s40, -1, 0
	s_cmp_ge_u32 s38, s34
	s_cselect_b32 s38, -1, 0
	s_cmp_eq_u32 s25, s35
	s_cselect_b32 s25, s38, s40
	s_add_u32 s38, s7, 1
	s_addc_u32 s40, s17, 0
	s_add_u32 s41, s7, 2
	s_addc_u32 s42, s17, 0
	s_cmp_lg_u32 s25, 0
	s_cselect_b32 s25, s41, s38
	s_cselect_b32 s38, s42, s40
	s_cmp_lg_u32 s33, 0
	v_readfirstlane_b32 s33, v1
	s_subb_u32 s21, s39, s21
	s_delay_alu instid0(SALU_CYCLE_1) | instskip(SKIP_1) | instid1(VALU_DEP_1)
	s_cmp_ge_u32 s21, s35
	s_cselect_b32 s39, -1, 0
	s_cmp_ge_u32 s33, s34
	s_cselect_b32 s33, -1, 0
	s_cmp_eq_u32 s21, s35
	s_cselect_b32 s21, s33, s39
	s_delay_alu instid0(SALU_CYCLE_1) | instskip(SKIP_3) | instid1(SALU_CYCLE_1)
	s_cmp_lg_u32 s21, 0
	s_cselect_b32 s35, s38, s17
	s_cselect_b32 s34, s25, s7
	s_xor_b64 s[22:23], s[36:37], s[22:23]
	s_xor_b64 s[34:35], s[34:35], s[22:23]
	s_delay_alu instid0(SALU_CYCLE_1)
	s_sub_u32 s22, s34, s22
	s_subb_u32 s23, s35, s23
	s_and_not1_b32 vcc_lo, exec_lo, s24
	s_cbranch_vccnz .LBB95_7
.LBB95_6:
	v_cvt_f32_u32_e32 v1, s30
	s_sub_i32 s17, 0, s30
	s_mov_b32 s23, 0
	s_delay_alu instid0(VALU_DEP_1) | instskip(SKIP_2) | instid1(VALU_DEP_1)
	v_rcp_iflag_f32_e32 v1, v1
	s_waitcnt_depctr 0xfff
	v_mul_f32_e32 v1, 0x4f7ffffe, v1
	v_cvt_u32_f32_e32 v1, v1
	s_delay_alu instid0(VALU_DEP_1) | instskip(NEXT) | instid1(VALU_DEP_1)
	v_readfirstlane_b32 s7, v1
	s_mul_i32 s17, s17, s7
	s_delay_alu instid0(SALU_CYCLE_1) | instskip(NEXT) | instid1(SALU_CYCLE_1)
	s_mul_hi_u32 s17, s7, s17
	s_add_i32 s7, s7, s17
	s_delay_alu instid0(SALU_CYCLE_1) | instskip(NEXT) | instid1(SALU_CYCLE_1)
	s_mul_hi_u32 s7, s26, s7
	s_mul_i32 s17, s7, s30
	s_add_i32 s21, s7, 1
	s_sub_i32 s17, s26, s17
	s_delay_alu instid0(SALU_CYCLE_1)
	s_sub_i32 s22, s17, s30
	s_cmp_ge_u32 s17, s30
	s_cselect_b32 s7, s21, s7
	s_cselect_b32 s17, s22, s17
	s_add_i32 s21, s7, 1
	s_cmp_ge_u32 s17, s30
	s_cselect_b32 s22, s21, s7
.LBB95_7:
	s_load_b64 s[24:25], s[0:1], 0x78
	s_mul_i32 s7, s22, s31
	s_mul_hi_u32 s17, s22, s30
	s_mul_i32 s21, s22, s30
	s_add_i32 s7, s17, s7
	s_mul_i32 s17, s23, s30
	s_mul_i32 s30, s23, s4
	s_add_i32 s17, s7, s17
	s_sub_u32 s7, s26, s21
	s_subb_u32 s17, s27, s17
	s_mul_hi_u32 s27, s22, s4
	s_mul_i32 s31, s22, s4
	s_mul_hi_u32 s26, s7, s5
	s_mul_i32 s17, s17, s5
	s_mul_i32 s23, s7, s5
	s_mov_b32 s33, exec_lo
	v_cmpx_gt_i32_e64 s20, v0
	s_cbranch_execz .LBB95_46
; %bb.8:
	s_load_b32 s35, s[0:1], 0x8c
	s_ashr_i32 s38, s4, 31
	s_ashr_i32 s39, s5, 31
	s_lshl_b64 s[36:37], s[28:29], 1
	s_mul_i32 s28, s22, s38
	s_mul_i32 s29, s7, s39
	s_add_i32 s28, s27, s28
	s_add_i32 s29, s26, s29
	s_ashr_i32 s21, s20, 31
	s_ashr_i32 s40, s6, 31
	s_add_i32 s38, s28, s30
	s_add_i32 s29, s29, s17
	s_waitcnt lgkmcnt(0)
	s_load_b32 s34, s[24:25], 0x0
	s_mul_i32 s9, s9, s16
	v_lshlrev_b32_e32 v1, 3, v0
	v_mov_b32_e32 v17, v0
	s_and_b32 s28, s35, 0xffff
	s_add_u32 s2, s2, s36
	s_addc_u32 s35, s3, s37
	s_lshl_b32 s3, s28, 1
	s_lshl_b64 s[36:37], s[20:21], 1
	v_add_co_u32 v11, s2, s2, v3
	s_add_u32 s21, s31, s23
	v_add_co_ci_u32_e64 v12, null, s35, 0, s2
	s_addc_u32 s2, s38, s29
	s_add_u32 s29, s18, s6
	s_addc_u32 s35, s19, s40
	s_add_u32 s21, s29, s21
	s_mul_hi_u32 s29, s8, s16
	s_addc_u32 s2, s35, s2
	s_add_i32 s9, s29, s9
	s_mul_i32 s8, s8, s16
	v_add_co_u32 v2, s21, s21, v3
	s_lshl_b64 s[8:9], s[8:9], 2
	v_add_co_ci_u32_e64 v3, null, s2, 0, s21
	s_add_u32 s2, s12, s8
	v_add_co_u32 v13, vcc_lo, v11, s36
	s_addc_u32 s8, s13, s9
	v_add_co_u32 v1, s2, s2, v1
	v_add_co_ci_u32_e32 v14, vcc_lo, s37, v12, vcc_lo
	v_add_co_ci_u32_e64 v4, null, s8, 0, s2
	v_add_co_u32 v15, vcc_lo, v2, 1
	v_add_co_ci_u32_e32 v16, vcc_lo, 0, v3, vcc_lo
	v_add_co_u32 v1, vcc_lo, v1, 4
	s_delay_alu instid0(VALU_DEP_4)
	v_add_co_ci_u32_e32 v2, vcc_lo, 0, v4, vcc_lo
	v_mov_b32_e32 v4, 0
	s_mov_b32 s12, 0
	s_lshl_b32 s13, s28, 3
	s_mov_b64 s[8:9], 0
	s_branch .LBB95_10
.LBB95_9:                               ;   in Loop: Header=BB95_10 Depth=1
	s_or_b32 exec_lo, exec_lo, s2
	v_add_nc_u32_e32 v17, s28, v17
	v_add_co_u32 v1, s2, v1, s13
	s_delay_alu instid0(VALU_DEP_1) | instskip(NEXT) | instid1(VALU_DEP_3)
	v_add_co_ci_u32_e64 v2, s2, 0, v2, s2
	v_cmp_le_i32_e32 vcc_lo, s20, v17
	s_add_u32 s8, s8, s3
	s_addc_u32 s9, s9, 0
	global_store_b8 v[5:6], v9, off
	s_or_b32 s12, vcc_lo, s12
	s_delay_alu instid0(SALU_CYCLE_1)
	s_and_not1_b32 exec_lo, exec_lo, s12
	s_cbranch_execz .LBB95_46
.LBB95_10:                              ; =>This Inner Loop Header: Depth=1
	v_add_co_u32 v5, vcc_lo, v13, s8
	v_add_co_ci_u32_e32 v6, vcc_lo, s9, v14, vcc_lo
	v_add_co_u32 v7, vcc_lo, v11, s8
	v_add_co_ci_u32_e32 v8, vcc_lo, s9, v12, vcc_lo
	s_mov_b32 s2, exec_lo
	s_clause 0x1
	global_load_u16 v3, v[5:6], off
	global_load_u16 v5, v[7:8], off
	global_load_b64 v[18:19], v[1:2], off offset:-4
	s_waitcnt vmcnt(2)
	v_lshlrev_b32_e32 v3, 16, v3
	s_waitcnt vmcnt(0)
	s_delay_alu instid0(VALU_DEP_1) | instskip(NEXT) | instid1(VALU_DEP_1)
	v_dual_mul_f32 v5, v19, v3 :: v_dual_lshlrev_b32 v8, 16, v5
	v_fma_f32 v5, v18, v8, -v5
	s_delay_alu instid0(VALU_DEP_1) | instskip(SKIP_1) | instid1(VALU_DEP_1)
	v_lshlrev_b32_e32 v6, 16, v5
	s_waitcnt lgkmcnt(0)
	v_div_scale_f32 v7, null, s34, s34, v6
	s_delay_alu instid0(VALU_DEP_1) | instskip(SKIP_2) | instid1(VALU_DEP_1)
	v_rcp_f32_e32 v9, v7
	s_waitcnt_depctr 0xfff
	v_fma_f32 v10, -v7, v9, 1.0
	v_fmac_f32_e32 v9, v10, v9
	v_div_scale_f32 v10, vcc_lo, v6, s34, v6
	s_delay_alu instid0(VALU_DEP_1) | instskip(NEXT) | instid1(VALU_DEP_1)
	v_mul_f32_e32 v20, v10, v9
	v_fma_f32 v21, -v7, v20, v10
	s_delay_alu instid0(VALU_DEP_1) | instskip(NEXT) | instid1(VALU_DEP_1)
	v_dual_fmac_f32 v20, v21, v9 :: v_dual_mov_b32 v21, v4
	v_fma_f32 v7, -v7, v20, v10
	s_delay_alu instid0(VALU_DEP_1) | instskip(NEXT) | instid1(VALU_DEP_1)
	v_div_fmas_f32 v7, v7, v9, v20
	v_div_fixup_f32 v7, v7, s34, v6
	v_mul_f32_e32 v6, v18, v3
	s_delay_alu instid0(VALU_DEP_2) | instskip(SKIP_2) | instid1(VALU_DEP_4)
	v_and_b32_e32 v3, 0x7fffff, v7
	v_lshrrev_b32_e32 v9, 24, v7
	v_and_b32_e32 v20, 0x7f800000, v7
	v_fmac_f32_e32 v6, v19, v8
	s_delay_alu instid0(VALU_DEP_3)
	v_and_b32_e32 v18, 0x80, v9
	global_store_b64 v[1:2], v[5:6], off offset:-4
	v_or_b32_e32 v8, 0x7e, v18
	v_cmpx_ne_u64_e32 0x7f800000, v[20:21]
	s_xor_b32 s21, exec_lo, s2
	s_cbranch_execz .LBB95_26
; %bb.11:                               ;   in Loop: Header=BB95_10 Depth=1
	v_dual_mov_b32 v10, v4 :: v_dual_and_b32 v9, 0x7fffffff, v7
	s_mov_b32 s2, exec_lo
	s_delay_alu instid0(VALU_DEP_1)
	v_cmpx_gt_u64_e32 0x43e00001, v[9:10]
	s_xor_b32 s29, exec_lo, s2
	s_cbranch_execz .LBB95_25
; %bb.12:                               ;   in Loop: Header=BB95_10 Depth=1
	v_mov_b32_e32 v8, 0
	s_mov_b32 s35, exec_lo
	v_cmpx_ne_u32_e32 0, v7
	s_cbranch_execz .LBB95_24
; %bb.13:                               ;   in Loop: Header=BB95_10 Depth=1
	v_bfe_u32 v5, v7, 23, 8
	v_or_b32_e32 v9, 0x800000, v3
	s_delay_alu instid0(VALU_DEP_2) | instskip(SKIP_1) | instid1(VALU_DEP_2)
	v_sub_nc_u32_e32 v7, 0x79, v5
	v_cmp_gt_u32_e32 vcc_lo, 0x7a, v5
	v_cndmask_b32_e32 v7, 0, v7, vcc_lo
	v_cmp_eq_u32_e32 vcc_lo, 0, v5
	s_delay_alu instid0(VALU_DEP_2) | instskip(SKIP_1) | instid1(VALU_DEP_2)
	v_cndmask_b32_e64 v19, v7, 0x78, vcc_lo
	v_cndmask_b32_e32 v3, v9, v3, vcc_lo
	v_add_nc_u32_e32 v7, 20, v19
	v_add_nc_u32_e32 v9, 19, v19
	s_delay_alu instid0(VALU_DEP_2) | instskip(NEXT) | instid1(VALU_DEP_2)
	v_lshlrev_b64 v[7:8], v7, -1
	v_lshlrev_b64 v[9:10], v9, 1
	s_delay_alu instid0(VALU_DEP_2) | instskip(NEXT) | instid1(VALU_DEP_3)
	v_not_b32_e32 v8, v8
	v_not_b32_e32 v7, v7
	s_delay_alu instid0(VALU_DEP_2) | instskip(NEXT) | instid1(VALU_DEP_2)
	v_and_b32_e32 v21, 0, v8
	v_and_b32_e32 v20, v3, v7
	v_lshrrev_b64 v[7:8], v19, v[3:4]
	s_delay_alu instid0(VALU_DEP_2) | instskip(NEXT) | instid1(VALU_DEP_2)
	v_cmp_eq_u64_e64 s2, v[20:21], v[9:10]
	v_dual_mov_b32 v10, v8 :: v_dual_mov_b32 v9, v7
	s_delay_alu instid0(VALU_DEP_2)
	s_and_saveexec_b32 s36, s2
; %bb.14:                               ;   in Loop: Header=BB95_10 Depth=1
	v_bfe_u32 v3, v7, 20, 1
	s_delay_alu instid0(VALU_DEP_1) | instskip(NEXT) | instid1(VALU_DEP_1)
	v_add_co_u32 v3, s2, v7, v3
	v_add_co_u32 v9, s2, v3, -1
; %bb.15:                               ;   in Loop: Header=BB95_10 Depth=1
	s_or_b32 exec_lo, exec_lo, s36
	v_add_nc_u32_e32 v3, 0xffffff81, v5
	v_lshrrev_b32_e32 v5, 23, v7
	s_mov_b32 s2, exec_lo
	s_delay_alu instid0(VALU_DEP_2) | instskip(NEXT) | instid1(VALU_DEP_1)
	v_cndmask_b32_e64 v3, v3, 0xffffff82, vcc_lo
	v_add3_u32 v5, v19, v3, v5
	v_and_b32_e32 v3, 0xfffff, v9
	s_delay_alu instid0(VALU_DEP_2) | instskip(NEXT) | instid1(VALU_DEP_2)
	v_add_nc_u32_e32 v9, 6, v5
	v_add_co_u32 v7, vcc_lo, v3, v7
	v_add_co_ci_u32_e32 v8, vcc_lo, 0, v8, vcc_lo
                                        ; implicit-def: $vgpr3
	s_delay_alu instid0(VALU_DEP_3)
	v_cmpx_ne_u32_e32 0, v9
	s_xor_b32 s2, exec_lo, s2
; %bb.16:                               ;   in Loop: Header=BB95_10 Depth=1
	s_delay_alu instid0(VALU_DEP_2) | instskip(SKIP_2) | instid1(VALU_DEP_2)
	v_cmp_lt_u64_e32 vcc_lo, 0xffffff, v[7:8]
	v_add_nc_u32_e32 v3, 7, v5
	v_cndmask_b32_e64 v5, 0, 1, vcc_lo
	v_cndmask_b32_e32 v3, v9, v3, vcc_lo
	s_delay_alu instid0(VALU_DEP_2)
	v_lshrrev_b64 v[7:8], v5, v[7:8]
; %bb.17:                               ;   in Loop: Header=BB95_10 Depth=1
	s_and_not1_saveexec_b32 s2, s2
; %bb.18:                               ;   in Loop: Header=BB95_10 Depth=1
	s_delay_alu instid0(VALU_DEP_1)
	v_bfe_u32 v3, v7, 23, 1
; %bb.19:                               ;   in Loop: Header=BB95_10 Depth=1
	s_or_b32 exec_lo, exec_lo, s2
	s_delay_alu instid0(VALU_DEP_2) | instskip(NEXT) | instid1(VALU_DEP_2)
	v_lshrrev_b64 v[7:8], 20, v[7:8]
	v_cmp_gt_i32_e32 vcc_lo, 16, v3
	v_cmp_ne_u32_e64 s2, 0, v3
	s_delay_alu instid0(VALU_DEP_3) | instskip(NEXT) | instid1(VALU_DEP_1)
	v_dual_cndmask_b32 v8, 0, v8 :: v_dual_cndmask_b32 v7, 7, v7
	v_cmp_ne_u64_e32 vcc_lo, 0, v[7:8]
                                        ; implicit-def: $vgpr8
	s_delay_alu instid0(VALU_DEP_3) | instskip(NEXT) | instid1(SALU_CYCLE_1)
	s_or_b32 s2, s2, vcc_lo
	s_and_saveexec_b32 s36, s2
	s_delay_alu instid0(SALU_CYCLE_1)
	s_xor_b32 s2, exec_lo, s36
; %bb.20:                               ;   in Loop: Header=BB95_10 Depth=1
	v_min_i32_e32 v3, 15, v3
	s_delay_alu instid0(VALU_DEP_1) | instskip(NEXT) | instid1(VALU_DEP_1)
	v_lshl_or_b32 v3, v3, 3, v18
                                        ; implicit-def: $vgpr18
	v_and_or_b32 v8, v7, 7, v3
; %bb.21:                               ;   in Loop: Header=BB95_10 Depth=1
	s_and_not1_saveexec_b32 s2, s2
; %bb.22:                               ;   in Loop: Header=BB95_10 Depth=1
	v_mov_b32_e32 v8, v18
; %bb.23:                               ;   in Loop: Header=BB95_10 Depth=1
	s_or_b32 exec_lo, exec_lo, s2
.LBB95_24:                              ;   in Loop: Header=BB95_10 Depth=1
	s_delay_alu instid0(SALU_CYCLE_1)
	s_or_b32 exec_lo, exec_lo, s35
.LBB95_25:                              ;   in Loop: Header=BB95_10 Depth=1
	s_and_not1_saveexec_b32 s2, s29
	s_delay_alu instid0(SALU_CYCLE_1)
	s_or_b32 exec_lo, exec_lo, s2
                                        ; implicit-def: $vgpr9
.LBB95_26:                              ;   in Loop: Header=BB95_10 Depth=1
	s_and_not1_saveexec_b32 s2, s21
; %bb.27:                               ;   in Loop: Header=BB95_10 Depth=1
	v_cmp_eq_u64_e32 vcc_lo, 0, v[3:4]
	v_or_b32_e32 v5, 0x7f, v9
	s_delay_alu instid0(VALU_DEP_1)
	v_cndmask_b32_e32 v8, v5, v8, vcc_lo
; %bb.28:                               ;   in Loop: Header=BB95_10 Depth=1
	s_or_b32 exec_lo, exec_lo, s2
	v_dual_mov_b32 v20, v4 :: v_dual_lshlrev_b32 v3, 16, v6
	s_mov_b32 s2, exec_lo
	s_delay_alu instid0(VALU_DEP_1) | instskip(SKIP_1) | instid1(VALU_DEP_2)
	v_div_scale_f32 v5, null, s34, s34, v3
	v_div_scale_f32 v9, vcc_lo, v3, s34, v3
	v_rcp_f32_e32 v6, v5
	s_waitcnt_depctr 0xfff
	v_fma_f32 v7, -v5, v6, 1.0
	s_delay_alu instid0(VALU_DEP_1) | instskip(NEXT) | instid1(VALU_DEP_1)
	v_fmac_f32_e32 v6, v7, v6
	v_mul_f32_e32 v7, v9, v6
	s_delay_alu instid0(VALU_DEP_1) | instskip(NEXT) | instid1(VALU_DEP_1)
	v_fma_f32 v10, -v5, v7, v9
	v_fmac_f32_e32 v7, v10, v6
	s_delay_alu instid0(VALU_DEP_1) | instskip(NEXT) | instid1(VALU_DEP_1)
	v_fma_f32 v5, -v5, v7, v9
	v_div_fmas_f32 v5, v5, v6, v7
	s_delay_alu instid0(VALU_DEP_1) | instskip(SKIP_2) | instid1(VALU_DEP_3)
	v_div_fixup_f32 v7, v5, s34, v3
	v_add_co_u32 v5, vcc_lo, v15, s8
	v_add_co_ci_u32_e32 v6, vcc_lo, s9, v16, vcc_lo
	v_and_b32_e32 v19, 0x7f800000, v7
	v_lshrrev_b32_e32 v10, 24, v7
	v_and_b32_e32 v3, 0x7fffff, v7
	global_store_b8 v[5:6], v8, off offset:-1
	v_and_b32_e32 v18, 0x80, v10
	s_delay_alu instid0(VALU_DEP_1)
	v_or_b32_e32 v9, 0x7e, v18
	v_cmpx_ne_u64_e32 0x7f800000, v[19:20]
	s_xor_b32 s21, exec_lo, s2
	s_cbranch_execz .LBB95_44
; %bb.29:                               ;   in Loop: Header=BB95_10 Depth=1
	v_dual_mov_b32 v20, v4 :: v_dual_and_b32 v19, 0x7fffffff, v7
	s_mov_b32 s2, exec_lo
	s_delay_alu instid0(VALU_DEP_1)
	v_cmpx_gt_u64_e32 0x43e00001, v[19:20]
	s_xor_b32 s29, exec_lo, s2
	s_cbranch_execz .LBB95_43
; %bb.30:                               ;   in Loop: Header=BB95_10 Depth=1
	v_mov_b32_e32 v9, 0
	s_mov_b32 s35, exec_lo
	v_cmpx_ne_u32_e32 0, v7
	s_cbranch_execz .LBB95_42
; %bb.31:                               ;   in Loop: Header=BB95_10 Depth=1
	v_bfe_u32 v19, v7, 23, 8
	v_or_b32_e32 v9, 0x800000, v3
	s_delay_alu instid0(VALU_DEP_2) | instskip(SKIP_1) | instid1(VALU_DEP_2)
	v_sub_nc_u32_e32 v7, 0x79, v19
	v_cmp_gt_u32_e32 vcc_lo, 0x7a, v19
	v_cndmask_b32_e32 v7, 0, v7, vcc_lo
	v_cmp_eq_u32_e32 vcc_lo, 0, v19
	s_delay_alu instid0(VALU_DEP_2) | instskip(SKIP_1) | instid1(VALU_DEP_2)
	v_cndmask_b32_e64 v20, v7, 0x78, vcc_lo
	v_cndmask_b32_e32 v3, v9, v3, vcc_lo
	v_add_nc_u32_e32 v7, 20, v20
	v_add_nc_u32_e32 v9, 19, v20
	s_delay_alu instid0(VALU_DEP_2) | instskip(NEXT) | instid1(VALU_DEP_2)
	v_lshlrev_b64 v[7:8], v7, -1
	v_lshlrev_b64 v[9:10], v9, 1
	s_delay_alu instid0(VALU_DEP_2) | instskip(NEXT) | instid1(VALU_DEP_3)
	v_not_b32_e32 v8, v8
	v_not_b32_e32 v7, v7
	s_delay_alu instid0(VALU_DEP_2) | instskip(NEXT) | instid1(VALU_DEP_2)
	v_and_b32_e32 v22, 0, v8
	v_and_b32_e32 v21, v3, v7
	v_lshrrev_b64 v[7:8], v20, v[3:4]
	s_delay_alu instid0(VALU_DEP_2) | instskip(NEXT) | instid1(VALU_DEP_2)
	v_cmp_eq_u64_e64 s2, v[21:22], v[9:10]
	v_dual_mov_b32 v10, v8 :: v_dual_mov_b32 v9, v7
	s_delay_alu instid0(VALU_DEP_2)
	s_and_saveexec_b32 s36, s2
; %bb.32:                               ;   in Loop: Header=BB95_10 Depth=1
	v_bfe_u32 v3, v7, 20, 1
	s_delay_alu instid0(VALU_DEP_1) | instskip(NEXT) | instid1(VALU_DEP_1)
	v_add_co_u32 v3, s2, v7, v3
	v_add_co_u32 v9, s2, v3, -1
; %bb.33:                               ;   in Loop: Header=BB95_10 Depth=1
	s_or_b32 exec_lo, exec_lo, s36
	v_add_nc_u32_e32 v3, 0xffffff81, v19
	v_lshrrev_b32_e32 v10, 23, v7
	s_mov_b32 s2, exec_lo
	s_delay_alu instid0(VALU_DEP_2) | instskip(NEXT) | instid1(VALU_DEP_1)
	v_cndmask_b32_e64 v3, v3, 0xffffff82, vcc_lo
	v_add3_u32 v10, v20, v3, v10
	v_and_b32_e32 v3, 0xfffff, v9
	s_delay_alu instid0(VALU_DEP_2) | instskip(NEXT) | instid1(VALU_DEP_2)
	v_add_nc_u32_e32 v9, 6, v10
	v_add_co_u32 v7, vcc_lo, v3, v7
	v_add_co_ci_u32_e32 v8, vcc_lo, 0, v8, vcc_lo
                                        ; implicit-def: $vgpr3
	s_delay_alu instid0(VALU_DEP_3)
	v_cmpx_ne_u32_e32 0, v9
	s_xor_b32 s2, exec_lo, s2
; %bb.34:                               ;   in Loop: Header=BB95_10 Depth=1
	s_delay_alu instid0(VALU_DEP_2) | instskip(SKIP_1) | instid1(VALU_DEP_1)
	v_cmp_lt_u64_e32 vcc_lo, 0xffffff, v[7:8]
	v_add_nc_u32_e32 v3, 7, v10
	v_cndmask_b32_e32 v3, v9, v3, vcc_lo
	v_cndmask_b32_e64 v9, 0, 1, vcc_lo
	s_delay_alu instid0(VALU_DEP_1)
	v_lshrrev_b64 v[7:8], v9, v[7:8]
; %bb.35:                               ;   in Loop: Header=BB95_10 Depth=1
	s_and_not1_saveexec_b32 s2, s2
; %bb.36:                               ;   in Loop: Header=BB95_10 Depth=1
	s_delay_alu instid0(VALU_DEP_1)
	v_bfe_u32 v3, v7, 23, 1
; %bb.37:                               ;   in Loop: Header=BB95_10 Depth=1
	s_or_b32 exec_lo, exec_lo, s2
	s_delay_alu instid0(VALU_DEP_2) | instskip(NEXT) | instid1(VALU_DEP_2)
	v_lshrrev_b64 v[7:8], 20, v[7:8]
	v_cmp_gt_i32_e32 vcc_lo, 16, v3
	v_cmp_ne_u32_e64 s2, 0, v3
                                        ; implicit-def: $vgpr9
	s_delay_alu instid0(VALU_DEP_3) | instskip(NEXT) | instid1(VALU_DEP_1)
	v_dual_cndmask_b32 v8, 0, v8 :: v_dual_cndmask_b32 v7, 7, v7
	v_cmp_ne_u64_e32 vcc_lo, 0, v[7:8]
	s_delay_alu instid0(VALU_DEP_3) | instskip(NEXT) | instid1(SALU_CYCLE_1)
	s_or_b32 s2, s2, vcc_lo
	s_and_saveexec_b32 s36, s2
	s_delay_alu instid0(SALU_CYCLE_1)
	s_xor_b32 s2, exec_lo, s36
; %bb.38:                               ;   in Loop: Header=BB95_10 Depth=1
	v_min_i32_e32 v3, 15, v3
	s_delay_alu instid0(VALU_DEP_1) | instskip(NEXT) | instid1(VALU_DEP_1)
	v_lshl_or_b32 v3, v3, 3, v18
                                        ; implicit-def: $vgpr18
	v_and_or_b32 v9, v7, 7, v3
; %bb.39:                               ;   in Loop: Header=BB95_10 Depth=1
	s_and_not1_saveexec_b32 s2, s2
; %bb.40:                               ;   in Loop: Header=BB95_10 Depth=1
	v_mov_b32_e32 v9, v18
; %bb.41:                               ;   in Loop: Header=BB95_10 Depth=1
	s_or_b32 exec_lo, exec_lo, s2
.LBB95_42:                              ;   in Loop: Header=BB95_10 Depth=1
	s_delay_alu instid0(SALU_CYCLE_1)
	s_or_b32 exec_lo, exec_lo, s35
.LBB95_43:                              ;   in Loop: Header=BB95_10 Depth=1
	s_and_not1_saveexec_b32 s2, s29
	s_delay_alu instid0(SALU_CYCLE_1)
	s_or_b32 exec_lo, exec_lo, s2
                                        ; implicit-def: $vgpr10
.LBB95_44:                              ;   in Loop: Header=BB95_10 Depth=1
	s_and_not1_saveexec_b32 s2, s21
	s_cbranch_execz .LBB95_9
; %bb.45:                               ;   in Loop: Header=BB95_10 Depth=1
	v_cmp_eq_u64_e32 vcc_lo, 0, v[3:4]
	v_or_b32_e32 v7, 0x7f, v10
	s_delay_alu instid0(VALU_DEP_1)
	v_cndmask_b32_e32 v9, v7, v9, vcc_lo
	s_branch .LBB95_9
.LBB95_46:
	s_or_b32 exec_lo, exec_lo, s33
	s_delay_alu instid0(SALU_CYCLE_1)
	s_mov_b32 s2, exec_lo
	v_cmpx_gt_i32_e64 s6, v0
	s_cbranch_execz .LBB95_67
; %bb.47:
	s_mul_i32 s3, s16, s11
	s_mul_hi_u32 s8, s16, s10
	s_mul_i32 s2, s16, s10
	s_add_i32 s3, s8, s3
	s_load_b32 s0, s[0:1], 0x8c
	s_lshl_b64 s[2:3], s[2:3], 2
	v_mov_b32_e32 v3, 0
	s_add_u32 s1, s14, s2
	s_addc_u32 s2, s15, s3
	s_waitcnt lgkmcnt(0)
	s_load_b32 s3, s[24:25], 0x0
	s_ashr_i32 s4, s4, 31
	s_delay_alu instid0(SALU_CYCLE_1) | instskip(NEXT) | instid1(SALU_CYCLE_1)
	s_mul_i32 s4, s22, s4
	s_add_i32 s4, s27, s4
	s_delay_alu instid0(SALU_CYCLE_1) | instskip(SKIP_3) | instid1(SALU_CYCLE_1)
	s_add_i32 s4, s4, s30
	s_add_u32 s8, s18, s31
	s_addc_u32 s9, s19, s4
	s_ashr_i32 s4, s5, 31
	s_mul_i32 s7, s7, s4
	s_delay_alu instid0(SALU_CYCLE_1) | instskip(NEXT) | instid1(SALU_CYCLE_1)
	s_add_i32 s4, s26, s7
	s_add_i32 s5, s4, s17
	s_add_u32 s4, s8, s23
	s_addc_u32 s5, s9, s5
	s_and_b32 s7, s0, 0xffff
	s_mov_b32 s8, 0
	s_branch .LBB95_49
.LBB95_48:                              ;   in Loop: Header=BB95_49 Depth=1
	s_or_b32 exec_lo, exec_lo, s0
	v_add_co_u32 v6, vcc_lo, s4, v0
	v_add_nc_u32_e32 v0, s7, v0
	v_add_co_ci_u32_e32 v7, vcc_lo, s5, v1, vcc_lo
	s_delay_alu instid0(VALU_DEP_2) | instskip(SKIP_2) | instid1(SALU_CYCLE_1)
	v_cmp_le_i32_e32 vcc_lo, s6, v0
	global_store_b8 v[6:7], v5, off
	s_or_b32 s8, vcc_lo, s8
	s_and_not1_b32 exec_lo, exec_lo, s8
	s_cbranch_execz .LBB95_67
.LBB95_49:                              ; =>This Inner Loop Header: Depth=1
	v_ashrrev_i32_e32 v1, 31, v0
	s_mov_b32 s0, exec_lo
	v_mov_b32_e32 v10, v3
	s_delay_alu instid0(VALU_DEP_2) | instskip(NEXT) | instid1(VALU_DEP_1)
	v_lshlrev_b64 v[4:5], 2, v[0:1]
	v_add_co_u32 v4, vcc_lo, s1, v4
	s_delay_alu instid0(VALU_DEP_2) | instskip(SKIP_4) | instid1(VALU_DEP_1)
	v_add_co_ci_u32_e32 v5, vcc_lo, s2, v5, vcc_lo
	global_load_u16 v2, v[4:5], off
	s_waitcnt vmcnt(0)
	v_lshlrev_b32_e32 v2, 16, v2
	s_waitcnt lgkmcnt(0)
	v_div_scale_f32 v4, null, s3, s3, v2
	s_delay_alu instid0(VALU_DEP_1) | instskip(SKIP_2) | instid1(VALU_DEP_1)
	v_rcp_f32_e32 v5, v4
	s_waitcnt_depctr 0xfff
	v_fma_f32 v6, -v4, v5, 1.0
	v_fmac_f32_e32 v5, v6, v5
	v_div_scale_f32 v6, vcc_lo, v2, s3, v2
	s_delay_alu instid0(VALU_DEP_1) | instskip(NEXT) | instid1(VALU_DEP_1)
	v_mul_f32_e32 v7, v6, v5
	v_fma_f32 v8, -v4, v7, v6
	s_delay_alu instid0(VALU_DEP_1) | instskip(NEXT) | instid1(VALU_DEP_1)
	v_fmac_f32_e32 v7, v8, v5
	v_fma_f32 v4, -v4, v7, v6
	s_delay_alu instid0(VALU_DEP_1) | instskip(NEXT) | instid1(VALU_DEP_1)
	v_div_fmas_f32 v4, v4, v5, v7
	v_div_fixup_f32 v4, v4, s3, v2
	s_delay_alu instid0(VALU_DEP_1) | instskip(SKIP_2) | instid1(VALU_DEP_3)
	v_lshrrev_b32_e32 v6, 24, v4
	v_and_b32_e32 v9, 0x7f800000, v4
	v_and_b32_e32 v2, 0x7fffff, v4
	v_and_b32_e32 v8, 0x80, v6
	s_delay_alu instid0(VALU_DEP_1) | instskip(NEXT) | instid1(VALU_DEP_4)
	v_or_b32_e32 v5, 0x7e, v8
	v_cmpx_ne_u64_e32 0x7f800000, v[9:10]
	s_xor_b32 s9, exec_lo, s0
	s_cbranch_execz .LBB95_65
; %bb.50:                               ;   in Loop: Header=BB95_49 Depth=1
	v_dual_mov_b32 v7, v3 :: v_dual_and_b32 v6, 0x7fffffff, v4
	s_mov_b32 s0, exec_lo
	s_delay_alu instid0(VALU_DEP_1)
	v_cmpx_gt_u64_e32 0x43e00001, v[6:7]
	s_xor_b32 s10, exec_lo, s0
	s_cbranch_execz .LBB95_64
; %bb.51:                               ;   in Loop: Header=BB95_49 Depth=1
	v_mov_b32_e32 v5, 0
	s_mov_b32 s11, exec_lo
	v_cmpx_ne_u32_e32 0, v4
	s_cbranch_execz .LBB95_63
; %bb.52:                               ;   in Loop: Header=BB95_49 Depth=1
	v_bfe_u32 v9, v4, 23, 8
	v_or_b32_e32 v6, 0x800000, v2
	s_delay_alu instid0(VALU_DEP_2) | instskip(SKIP_1) | instid1(VALU_DEP_2)
	v_sub_nc_u32_e32 v4, 0x79, v9
	v_cmp_gt_u32_e32 vcc_lo, 0x7a, v9
	v_cndmask_b32_e32 v4, 0, v4, vcc_lo
	v_cmp_eq_u32_e32 vcc_lo, 0, v9
	s_delay_alu instid0(VALU_DEP_2) | instskip(SKIP_1) | instid1(VALU_DEP_2)
	v_cndmask_b32_e64 v10, v4, 0x78, vcc_lo
	v_cndmask_b32_e32 v2, v6, v2, vcc_lo
	v_add_nc_u32_e32 v4, 20, v10
	v_add_nc_u32_e32 v6, 19, v10
	s_delay_alu instid0(VALU_DEP_2) | instskip(NEXT) | instid1(VALU_DEP_2)
	v_lshlrev_b64 v[4:5], v4, -1
	v_lshlrev_b64 v[6:7], v6, 1
	s_delay_alu instid0(VALU_DEP_2) | instskip(NEXT) | instid1(VALU_DEP_3)
	v_not_b32_e32 v5, v5
	v_not_b32_e32 v4, v4
	s_delay_alu instid0(VALU_DEP_2) | instskip(NEXT) | instid1(VALU_DEP_2)
	v_and_b32_e32 v12, 0, v5
	v_and_b32_e32 v11, v2, v4
	v_lshrrev_b64 v[4:5], v10, v[2:3]
	s_delay_alu instid0(VALU_DEP_2) | instskip(NEXT) | instid1(VALU_DEP_2)
	v_cmp_eq_u64_e64 s0, v[11:12], v[6:7]
	v_dual_mov_b32 v7, v5 :: v_dual_mov_b32 v6, v4
	s_delay_alu instid0(VALU_DEP_2)
	s_and_saveexec_b32 s12, s0
; %bb.53:                               ;   in Loop: Header=BB95_49 Depth=1
	v_bfe_u32 v2, v4, 20, 1
	s_delay_alu instid0(VALU_DEP_1) | instskip(NEXT) | instid1(VALU_DEP_1)
	v_add_co_u32 v2, s0, v4, v2
	v_add_co_u32 v6, s0, v2, -1
; %bb.54:                               ;   in Loop: Header=BB95_49 Depth=1
	s_or_b32 exec_lo, exec_lo, s12
	v_add_nc_u32_e32 v2, 0xffffff81, v9
	v_lshrrev_b32_e32 v7, 23, v4
	s_mov_b32 s0, exec_lo
	s_delay_alu instid0(VALU_DEP_2) | instskip(NEXT) | instid1(VALU_DEP_1)
	v_cndmask_b32_e64 v2, v2, 0xffffff82, vcc_lo
	v_add3_u32 v7, v10, v2, v7
	v_and_b32_e32 v2, 0xfffff, v6
	s_delay_alu instid0(VALU_DEP_2) | instskip(NEXT) | instid1(VALU_DEP_2)
	v_add_nc_u32_e32 v6, 6, v7
	v_add_co_u32 v4, vcc_lo, v2, v4
	v_add_co_ci_u32_e32 v5, vcc_lo, 0, v5, vcc_lo
                                        ; implicit-def: $vgpr2
	s_delay_alu instid0(VALU_DEP_3)
	v_cmpx_ne_u32_e32 0, v6
	s_xor_b32 s0, exec_lo, s0
; %bb.55:                               ;   in Loop: Header=BB95_49 Depth=1
	s_delay_alu instid0(VALU_DEP_2) | instskip(SKIP_1) | instid1(VALU_DEP_1)
	v_cmp_lt_u64_e32 vcc_lo, 0xffffff, v[4:5]
	v_add_nc_u32_e32 v2, 7, v7
	v_cndmask_b32_e32 v2, v6, v2, vcc_lo
	v_cndmask_b32_e64 v6, 0, 1, vcc_lo
	s_delay_alu instid0(VALU_DEP_1)
	v_lshrrev_b64 v[4:5], v6, v[4:5]
; %bb.56:                               ;   in Loop: Header=BB95_49 Depth=1
	s_and_not1_saveexec_b32 s0, s0
; %bb.57:                               ;   in Loop: Header=BB95_49 Depth=1
	s_delay_alu instid0(VALU_DEP_1)
	v_bfe_u32 v2, v4, 23, 1
; %bb.58:                               ;   in Loop: Header=BB95_49 Depth=1
	s_or_b32 exec_lo, exec_lo, s0
	s_delay_alu instid0(VALU_DEP_2) | instskip(NEXT) | instid1(VALU_DEP_2)
	v_lshrrev_b64 v[4:5], 20, v[4:5]
	v_cmp_gt_i32_e32 vcc_lo, 16, v2
	v_cmp_ne_u32_e64 s0, 0, v2
	s_delay_alu instid0(VALU_DEP_3) | instskip(NEXT) | instid1(VALU_DEP_1)
	v_dual_cndmask_b32 v5, 0, v5 :: v_dual_cndmask_b32 v4, 7, v4
	v_cmp_ne_u64_e32 vcc_lo, 0, v[4:5]
                                        ; implicit-def: $vgpr5
	s_delay_alu instid0(VALU_DEP_3) | instskip(NEXT) | instid1(SALU_CYCLE_1)
	s_or_b32 s0, s0, vcc_lo
	s_and_saveexec_b32 s12, s0
	s_delay_alu instid0(SALU_CYCLE_1)
	s_xor_b32 s0, exec_lo, s12
; %bb.59:                               ;   in Loop: Header=BB95_49 Depth=1
	v_min_i32_e32 v2, 15, v2
	s_delay_alu instid0(VALU_DEP_1) | instskip(NEXT) | instid1(VALU_DEP_1)
	v_lshl_or_b32 v2, v2, 3, v8
                                        ; implicit-def: $vgpr8
	v_and_or_b32 v5, v4, 7, v2
; %bb.60:                               ;   in Loop: Header=BB95_49 Depth=1
	s_and_not1_saveexec_b32 s0, s0
; %bb.61:                               ;   in Loop: Header=BB95_49 Depth=1
	v_mov_b32_e32 v5, v8
; %bb.62:                               ;   in Loop: Header=BB95_49 Depth=1
	s_or_b32 exec_lo, exec_lo, s0
.LBB95_63:                              ;   in Loop: Header=BB95_49 Depth=1
	s_delay_alu instid0(SALU_CYCLE_1)
	s_or_b32 exec_lo, exec_lo, s11
.LBB95_64:                              ;   in Loop: Header=BB95_49 Depth=1
	s_and_not1_saveexec_b32 s0, s10
	s_delay_alu instid0(SALU_CYCLE_1)
	s_or_b32 exec_lo, exec_lo, s0
                                        ; implicit-def: $vgpr6
.LBB95_65:                              ;   in Loop: Header=BB95_49 Depth=1
	s_and_not1_saveexec_b32 s0, s9
	s_cbranch_execz .LBB95_48
; %bb.66:                               ;   in Loop: Header=BB95_49 Depth=1
	v_cmp_eq_u64_e32 vcc_lo, 0, v[2:3]
	v_or_b32_e32 v4, 0x7f, v6
	s_delay_alu instid0(VALU_DEP_1)
	v_cndmask_b32_e32 v5, v4, v5, vcc_lo
	s_branch .LBB95_48
.LBB95_67:
	s_nop 0
	s_sendmsg sendmsg(MSG_DEALLOC_VGPRS)
	s_endpgm
.LBB95_68:
                                        ; implicit-def: $sgpr22_sgpr23
	s_branch .LBB95_6
	.section	.rodata,"a",@progbits
	.p2align	6, 0x0
	.amdhsa_kernel _ZN4vllm38concat_and_cache_mla_rope_fused_kernelIfN3c108BFloat16ELb0E14__hip_bfloat16hLNS_18Fp8KVCacheDataTypeE1EEEvPKlPT_S8_PKS7_PKT0_illlliPT3_S6_iiiiPKf
		.amdhsa_group_segment_fixed_size 0
		.amdhsa_private_segment_fixed_size 0
		.amdhsa_kernarg_size 384
		.amdhsa_user_sgpr_count 15
		.amdhsa_user_sgpr_dispatch_ptr 0
		.amdhsa_user_sgpr_queue_ptr 0
		.amdhsa_user_sgpr_kernarg_segment_ptr 1
		.amdhsa_user_sgpr_dispatch_id 0
		.amdhsa_user_sgpr_private_segment_size 0
		.amdhsa_wavefront_size32 1
		.amdhsa_uses_dynamic_stack 0
		.amdhsa_enable_private_segment 0
		.amdhsa_system_sgpr_workgroup_id_x 1
		.amdhsa_system_sgpr_workgroup_id_y 0
		.amdhsa_system_sgpr_workgroup_id_z 0
		.amdhsa_system_sgpr_workgroup_info 0
		.amdhsa_system_vgpr_workitem_id 0
		.amdhsa_next_free_vgpr 23
		.amdhsa_next_free_sgpr 43
		.amdhsa_reserve_vcc 1
		.amdhsa_float_round_mode_32 0
		.amdhsa_float_round_mode_16_64 0
		.amdhsa_float_denorm_mode_32 3
		.amdhsa_float_denorm_mode_16_64 3
		.amdhsa_dx10_clamp 1
		.amdhsa_ieee_mode 1
		.amdhsa_fp16_overflow 0
		.amdhsa_workgroup_processor_mode 1
		.amdhsa_memory_ordered 1
		.amdhsa_forward_progress 0
		.amdhsa_shared_vgpr_count 0
		.amdhsa_exception_fp_ieee_invalid_op 0
		.amdhsa_exception_fp_denorm_src 0
		.amdhsa_exception_fp_ieee_div_zero 0
		.amdhsa_exception_fp_ieee_overflow 0
		.amdhsa_exception_fp_ieee_underflow 0
		.amdhsa_exception_fp_ieee_inexact 0
		.amdhsa_exception_int_div_zero 0
	.end_amdhsa_kernel
	.section	.text._ZN4vllm38concat_and_cache_mla_rope_fused_kernelIfN3c108BFloat16ELb0E14__hip_bfloat16hLNS_18Fp8KVCacheDataTypeE1EEEvPKlPT_S8_PKS7_PKT0_illlliPT3_S6_iiiiPKf,"axG",@progbits,_ZN4vllm38concat_and_cache_mla_rope_fused_kernelIfN3c108BFloat16ELb0E14__hip_bfloat16hLNS_18Fp8KVCacheDataTypeE1EEEvPKlPT_S8_PKS7_PKT0_illlliPT3_S6_iiiiPKf,comdat
.Lfunc_end95:
	.size	_ZN4vllm38concat_and_cache_mla_rope_fused_kernelIfN3c108BFloat16ELb0E14__hip_bfloat16hLNS_18Fp8KVCacheDataTypeE1EEEvPKlPT_S8_PKS7_PKT0_illlliPT3_S6_iiiiPKf, .Lfunc_end95-_ZN4vllm38concat_and_cache_mla_rope_fused_kernelIfN3c108BFloat16ELb0E14__hip_bfloat16hLNS_18Fp8KVCacheDataTypeE1EEEvPKlPT_S8_PKS7_PKT0_illlliPT3_S6_iiiiPKf
                                        ; -- End function
	.section	.AMDGPU.csdata,"",@progbits
; Kernel info:
; codeLenInByte = 4376
; NumSgprs: 45
; NumVgprs: 23
; ScratchSize: 0
; MemoryBound: 0
; FloatMode: 240
; IeeeMode: 1
; LDSByteSize: 0 bytes/workgroup (compile time only)
; SGPRBlocks: 5
; VGPRBlocks: 2
; NumSGPRsForWavesPerEU: 45
; NumVGPRsForWavesPerEU: 23
; Occupancy: 16
; WaveLimiterHint : 1
; COMPUTE_PGM_RSRC2:SCRATCH_EN: 0
; COMPUTE_PGM_RSRC2:USER_SGPR: 15
; COMPUTE_PGM_RSRC2:TRAP_HANDLER: 0
; COMPUTE_PGM_RSRC2:TGID_X_EN: 1
; COMPUTE_PGM_RSRC2:TGID_Y_EN: 0
; COMPUTE_PGM_RSRC2:TGID_Z_EN: 0
; COMPUTE_PGM_RSRC2:TIDIG_COMP_CNT: 0
	.section	.text._ZN4vllm38concat_and_cache_mla_rope_fused_kernelIN3c104HalfEfLb1E14__hip_bfloat16hLNS_18Fp8KVCacheDataTypeE1EEEvPKlPT_S8_PKS7_PKT0_illlliPT3_S6_iiiiPKf,"axG",@progbits,_ZN4vllm38concat_and_cache_mla_rope_fused_kernelIN3c104HalfEfLb1E14__hip_bfloat16hLNS_18Fp8KVCacheDataTypeE1EEEvPKlPT_S8_PKS7_PKT0_illlliPT3_S6_iiiiPKf,comdat
	.protected	_ZN4vllm38concat_and_cache_mla_rope_fused_kernelIN3c104HalfEfLb1E14__hip_bfloat16hLNS_18Fp8KVCacheDataTypeE1EEEvPKlPT_S8_PKS7_PKT0_illlliPT3_S6_iiiiPKf ; -- Begin function _ZN4vllm38concat_and_cache_mla_rope_fused_kernelIN3c104HalfEfLb1E14__hip_bfloat16hLNS_18Fp8KVCacheDataTypeE1EEEvPKlPT_S8_PKS7_PKT0_illlliPT3_S6_iiiiPKf
	.globl	_ZN4vllm38concat_and_cache_mla_rope_fused_kernelIN3c104HalfEfLb1E14__hip_bfloat16hLNS_18Fp8KVCacheDataTypeE1EEEvPKlPT_S8_PKS7_PKT0_illlliPT3_S6_iiiiPKf
	.p2align	8
	.type	_ZN4vllm38concat_and_cache_mla_rope_fused_kernelIN3c104HalfEfLb1E14__hip_bfloat16hLNS_18Fp8KVCacheDataTypeE1EEEvPKlPT_S8_PKS7_PKT0_illlliPT3_S6_iiiiPKf,@function
_ZN4vllm38concat_and_cache_mla_rope_fused_kernelIN3c104HalfEfLb1E14__hip_bfloat16hLNS_18Fp8KVCacheDataTypeE1EEEvPKlPT_S8_PKS7_PKT0_illlliPT3_S6_iiiiPKf: ; @_ZN4vllm38concat_and_cache_mla_rope_fused_kernelIN3c104HalfEfLb1E14__hip_bfloat16hLNS_18Fp8KVCacheDataTypeE1EEEvPKlPT_S8_PKS7_PKT0_illlliPT3_S6_iiiiPKf
; %bb.0:
	s_load_b64 s[4:5], s[0:1], 0x60
	s_mov_b32 s16, s15
	s_mov_b32 s17, 0
	s_delay_alu instid0(SALU_CYCLE_1)
	s_lshl_b64 s[2:3], s[16:17], 3
	s_waitcnt lgkmcnt(0)
	s_add_u32 s4, s4, s2
	s_addc_u32 s5, s5, s3
	s_load_b64 s[28:29], s[4:5], 0x0
	s_waitcnt lgkmcnt(0)
	v_cmp_lt_i64_e64 s4, s[28:29], 0
	s_delay_alu instid0(VALU_DEP_1)
	s_and_b32 vcc_lo, exec_lo, s4
	s_cbranch_vccnz .LBB96_67
; %bb.1:
	s_clause 0x3
	s_load_b32 s21, s[0:1], 0x28
	s_load_b64 s[4:5], s[0:1], 0x0
	s_load_b128 s[12:15], s[0:1], 0x10
	s_load_b32 s17, s[0:1], 0x50
	s_waitcnt lgkmcnt(0)
	s_ashr_i32 s24, s21, 31
	s_add_u32 s2, s4, s2
	s_addc_u32 s3, s5, s3
	s_lshr_b32 s20, s21, 31
	s_load_b64 s[22:23], s[2:3], 0x0
	s_clause 0x2
	s_load_b64 s[2:3], s[0:1], 0x20
	s_load_b64 s[18:19], s[0:1], 0x58
	s_load_b256 s[4:11], s[0:1], 0x30
	s_add_i32 s20, s21, s20
	s_delay_alu instid0(SALU_CYCLE_1) | instskip(NEXT) | instid1(SALU_CYCLE_1)
	s_ashr_i32 s20, s20, 1
	s_mul_i32 s17, s20, s17
	s_waitcnt lgkmcnt(0)
	s_mul_i32 s24, s22, s24
	s_mul_hi_u32 s25, s22, s21
	s_mul_i32 s23, s23, s21
	s_add_i32 s24, s25, s24
	s_mul_i32 s26, s22, s21
	s_add_i32 s27, s24, s23
	s_mov_b32 s24, exec_lo
	v_cmpx_gt_i32_e64 s17, v0
	s_cbranch_execz .LBB96_4
; %bb.2:
	s_clause 0x1
	s_load_b64 s[22:23], s[0:1], 0x8
	s_load_b32 s36, s[0:1], 0x8c
	s_lshl_b64 s[30:31], s[26:27], 2
	s_mul_i32 s5, s16, s5
	s_mul_hi_u32 s21, s16, s4
	s_add_u32 s25, s2, s30
	s_mul_i32 s4, s16, s4
	s_addc_u32 s30, s3, s31
	s_add_i32 s5, s21, s5
	s_ashr_i32 s21, s20, 31
	s_lshl_b64 s[4:5], s[4:5], 1
	s_mov_b32 s35, 0
	s_waitcnt lgkmcnt(0)
	s_add_u32 s31, s22, s4
	s_addc_u32 s33, s23, s5
	s_abs_i32 s34, s20
	s_and_b32 s36, s36, 0xffff
	v_cvt_f32_u32_e32 v1, s34
	s_sub_i32 s4, 0, s34
	s_sub_i32 s37, 0, s20
	s_lshl_b64 s[22:23], s[20:21], 1
	s_delay_alu instid0(VALU_DEP_1) | instskip(SKIP_2) | instid1(VALU_DEP_1)
	v_rcp_iflag_f32_e32 v1, v1
	s_waitcnt_depctr 0xfff
	v_mul_f32_e32 v1, 0x4f7ffffe, v1
	v_cvt_u32_f32_e32 v1, v1
	s_delay_alu instid0(VALU_DEP_1) | instskip(SKIP_1) | instid1(VALU_DEP_1)
	v_mul_lo_u32 v2, s4, v1
	s_lshl_b64 s[4:5], s[20:21], 2
	v_mul_hi_u32 v2, v1, v2
	s_delay_alu instid0(VALU_DEP_1)
	v_dual_mov_b32 v1, v0 :: v_dual_add_nc_u32 v2, v1, v2
.LBB96_3:                               ; =>This Inner Loop Header: Depth=1
	s_delay_alu instid0(VALU_DEP_1) | instskip(SKIP_1) | instid1(VALU_DEP_2)
	v_sub_nc_u32_e32 v3, 0, v1
	v_ashrrev_i32_e32 v4, 31, v1
	v_max_i32_e32 v3, v1, v3
	s_delay_alu instid0(VALU_DEP_2) | instskip(NEXT) | instid1(VALU_DEP_2)
	v_xor_b32_e32 v4, s21, v4
	v_mul_hi_u32 v5, v3, v2
	s_delay_alu instid0(VALU_DEP_1) | instskip(SKIP_1) | instid1(VALU_DEP_2)
	v_mul_lo_u32 v6, v5, s34
	v_add_nc_u32_e32 v7, 1, v5
	v_sub_nc_u32_e32 v3, v3, v6
	s_delay_alu instid0(VALU_DEP_1) | instskip(SKIP_1) | instid1(VALU_DEP_4)
	v_subrev_nc_u32_e32 v6, s34, v3
	v_cmp_le_u32_e32 vcc_lo, s34, v3
	v_cndmask_b32_e32 v5, v5, v7, vcc_lo
	s_delay_alu instid0(VALU_DEP_1) | instskip(NEXT) | instid1(VALU_DEP_1)
	v_dual_cndmask_b32 v3, v3, v6 :: v_dual_add_nc_u32 v6, 1, v5
	v_cmp_le_u32_e32 vcc_lo, s34, v3
	s_delay_alu instid0(VALU_DEP_2) | instskip(NEXT) | instid1(VALU_DEP_1)
	v_cndmask_b32_e32 v3, v5, v6, vcc_lo
	v_xor_b32_e32 v3, v3, v4
	s_delay_alu instid0(VALU_DEP_1) | instskip(NEXT) | instid1(VALU_DEP_1)
	v_sub_nc_u32_e32 v7, v3, v4
	v_ashrrev_i32_e32 v8, 31, v7
	v_mad_u64_u32 v[3:4], null, s37, v7, v[1:2]
	v_mul_lo_u32 v9, v7, s7
	v_mad_u64_u32 v[5:6], null, v7, s6, 0
	s_delay_alu instid0(VALU_DEP_4) | instskip(SKIP_2) | instid1(VALU_DEP_3)
	v_mul_lo_u32 v7, v8, s6
	v_add_nc_u32_e32 v1, s36, v1
	v_ashrrev_i32_e32 v4, 31, v3
	v_add3_u32 v6, v6, v9, v7
	s_delay_alu instid0(VALU_DEP_2) | instskip(SKIP_1) | instid1(VALU_DEP_3)
	v_lshlrev_b64 v[7:8], 2, v[3:4]
	v_lshlrev_b64 v[3:4], 1, v[3:4]
	;; [unrolled: 1-line block ×3, first 2 shown]
	s_delay_alu instid0(VALU_DEP_3) | instskip(NEXT) | instid1(VALU_DEP_4)
	v_add_co_u32 v7, vcc_lo, s25, v7
	v_add_co_ci_u32_e32 v8, vcc_lo, s30, v8, vcc_lo
	s_delay_alu instid0(VALU_DEP_3) | instskip(NEXT) | instid1(VALU_DEP_4)
	v_add_co_u32 v10, vcc_lo, s31, v5
	v_add_co_ci_u32_e32 v11, vcc_lo, s33, v6, vcc_lo
	s_delay_alu instid0(VALU_DEP_4) | instskip(NEXT) | instid1(VALU_DEP_4)
	v_add_co_u32 v5, vcc_lo, v7, s4
	v_add_co_ci_u32_e32 v6, vcc_lo, s5, v8, vcc_lo
	s_delay_alu instid0(VALU_DEP_4) | instskip(NEXT) | instid1(VALU_DEP_4)
	v_add_co_u32 v3, vcc_lo, v10, v3
	v_add_co_ci_u32_e32 v4, vcc_lo, v11, v4, vcc_lo
	s_clause 0x1
	global_load_b32 v9, v[7:8], off
	global_load_b32 v7, v[5:6], off
	v_add_co_u32 v5, vcc_lo, v3, s22
	v_add_co_ci_u32_e32 v6, vcc_lo, s23, v4, vcc_lo
	s_clause 0x1
	global_load_u16 v8, v[3:4], off
	global_load_u16 v10, v[5:6], off
	v_cmp_le_i32_e32 vcc_lo, s17, v1
	s_or_b32 s35, vcc_lo, s35
	s_waitcnt vmcnt(3)
	v_cvt_f16_f32_e32 v9, v9
	s_waitcnt vmcnt(2)
	v_cvt_f16_f32_e32 v7, v7
	s_waitcnt vmcnt(0)
	s_delay_alu instid0(VALU_DEP_1) | instskip(SKIP_1) | instid1(VALU_DEP_2)
	v_mul_f16_e32 v11, v10, v7
	v_mul_f16_e32 v10, v10, v9
	v_fma_f16 v9, v8, v9, -v11
	s_delay_alu instid0(VALU_DEP_2)
	v_fmac_f16_e32 v10, v8, v7
	s_clause 0x1
	global_store_b16 v[3:4], v9, off
	global_store_b16 v[5:6], v10, off
	s_and_not1_b32 exec_lo, exec_lo, s35
	s_cbranch_execnz .LBB96_3
.LBB96_4:
	s_or_b32 exec_lo, exec_lo, s24
	s_load_b128 s[4:7], s[0:1], 0x68
	s_waitcnt lgkmcnt(0)
	s_ashr_i32 s31, s7, 31
	s_mov_b32 s30, s7
	s_delay_alu instid0(SALU_CYCLE_1) | instskip(SKIP_1) | instid1(SALU_CYCLE_1)
	s_or_b64 s[24:25], s[28:29], s[30:31]
	s_mov_b32 s24, 0
	s_cmp_lg_u64 s[24:25], 0
	s_cbranch_scc0 .LBB96_68
; %bb.5:
	s_add_u32 s34, s30, s31
	s_mov_b32 s22, s31
	s_mov_b32 s23, s31
	s_addc_u32 s35, s31, s31
	s_delay_alu instid0(SALU_CYCLE_1) | instskip(NEXT) | instid1(SALU_CYCLE_1)
	s_xor_b64 s[34:35], s[34:35], s[22:23]
	v_cvt_f32_u32_e32 v1, s34
	v_cvt_f32_u32_e32 v2, s35
	s_sub_u32 s21, 0, s34
	s_subb_u32 s25, 0, s35
	s_delay_alu instid0(VALU_DEP_1) | instskip(NEXT) | instid1(VALU_DEP_1)
	v_fmamk_f32 v1, v2, 0x4f800000, v1
	v_rcp_f32_e32 v1, v1
	s_waitcnt_depctr 0xfff
	v_mul_f32_e32 v1, 0x5f7ffffc, v1
	s_delay_alu instid0(VALU_DEP_1) | instskip(NEXT) | instid1(VALU_DEP_1)
	v_mul_f32_e32 v2, 0x2f800000, v1
	v_trunc_f32_e32 v2, v2
	s_delay_alu instid0(VALU_DEP_1) | instskip(SKIP_1) | instid1(VALU_DEP_2)
	v_fmamk_f32 v1, v2, 0xcf800000, v1
	v_cvt_u32_f32_e32 v2, v2
	v_cvt_u32_f32_e32 v1, v1
	s_delay_alu instid0(VALU_DEP_2) | instskip(NEXT) | instid1(VALU_DEP_2)
	v_readfirstlane_b32 s7, v2
	v_readfirstlane_b32 s17, v1
	s_delay_alu instid0(VALU_DEP_2) | instskip(NEXT) | instid1(VALU_DEP_1)
	s_mul_i32 s33, s21, s7
	s_mul_hi_u32 s37, s21, s17
	s_mul_i32 s36, s25, s17
	s_add_i32 s33, s37, s33
	s_mul_i32 s38, s21, s17
	s_add_i32 s33, s33, s36
	s_mul_hi_u32 s37, s17, s38
	s_mul_hi_u32 s39, s7, s38
	s_mul_i32 s36, s7, s38
	s_mul_hi_u32 s38, s17, s33
	s_mul_i32 s17, s17, s33
	s_mul_hi_u32 s40, s7, s33
	s_add_u32 s17, s37, s17
	s_addc_u32 s37, 0, s38
	s_add_u32 s17, s17, s36
	s_mul_i32 s33, s7, s33
	s_addc_u32 s17, s37, s39
	s_addc_u32 s36, s40, 0
	s_add_u32 s17, s17, s33
	s_addc_u32 s33, 0, s36
	v_add_co_u32 v1, s17, v1, s17
	s_delay_alu instid0(VALU_DEP_1) | instskip(SKIP_1) | instid1(VALU_DEP_1)
	s_cmp_lg_u32 s17, 0
	s_addc_u32 s7, s7, s33
	v_readfirstlane_b32 s17, v1
	s_mul_i32 s33, s21, s7
	s_delay_alu instid0(VALU_DEP_1)
	s_mul_hi_u32 s36, s21, s17
	s_mul_i32 s25, s25, s17
	s_add_i32 s33, s36, s33
	s_mul_i32 s21, s21, s17
	s_add_i32 s33, s33, s25
	s_mul_hi_u32 s36, s7, s21
	s_mul_i32 s37, s7, s21
	s_mul_hi_u32 s21, s17, s21
	s_mul_hi_u32 s38, s17, s33
	s_mul_i32 s17, s17, s33
	s_mul_hi_u32 s25, s7, s33
	s_add_u32 s17, s21, s17
	s_addc_u32 s21, 0, s38
	s_add_u32 s17, s17, s37
	s_mul_i32 s33, s7, s33
	s_addc_u32 s17, s21, s36
	s_addc_u32 s21, s25, 0
	s_add_u32 s17, s17, s33
	s_addc_u32 s21, 0, s21
	v_add_co_u32 v1, s17, v1, s17
	s_delay_alu instid0(VALU_DEP_1) | instskip(SKIP_2) | instid1(VALU_DEP_1)
	s_cmp_lg_u32 s17, 0
	s_addc_u32 s7, s7, s21
	s_ashr_i32 s36, s29, 31
	v_readfirstlane_b32 s17, v1
	s_add_u32 s38, s28, s36
	s_mov_b32 s37, s36
	s_addc_u32 s39, s29, s36
	s_delay_alu instid0(SALU_CYCLE_1) | instskip(NEXT) | instid1(SALU_CYCLE_1)
	s_xor_b64 s[38:39], s[38:39], s[36:37]
	s_mul_i32 s25, s38, s7
	s_mul_hi_u32 s33, s38, s17
	s_mul_hi_u32 s21, s38, s7
	;; [unrolled: 1-line block ×3, first 2 shown]
	s_mul_i32 s17, s39, s17
	s_add_u32 s25, s33, s25
	s_addc_u32 s21, 0, s21
	s_mul_hi_u32 s40, s39, s7
	s_add_u32 s17, s25, s17
	s_mul_i32 s7, s39, s7
	s_addc_u32 s17, s21, s41
	s_addc_u32 s21, s40, 0
	s_add_u32 s7, s17, s7
	s_addc_u32 s17, 0, s21
	s_mul_hi_u32 s21, s34, s7
	s_mul_i32 s33, s34, s17
	s_mul_i32 s40, s34, s7
	s_add_i32 s21, s21, s33
	v_sub_co_u32 v1, s33, s38, s40
	s_mul_i32 s25, s35, s7
	s_delay_alu instid0(SALU_CYCLE_1) | instskip(NEXT) | instid1(VALU_DEP_1)
	s_add_i32 s21, s21, s25
	v_sub_co_u32 v2, s38, v1, s34
	s_sub_i32 s25, s39, s21
	s_cmp_lg_u32 s33, 0
	s_subb_u32 s25, s25, s35
	s_cmp_lg_u32 s38, 0
	v_readfirstlane_b32 s38, v2
	s_subb_u32 s25, s25, 0
	s_delay_alu instid0(SALU_CYCLE_1) | instskip(SKIP_1) | instid1(VALU_DEP_1)
	s_cmp_ge_u32 s25, s35
	s_cselect_b32 s40, -1, 0
	s_cmp_ge_u32 s38, s34
	s_cselect_b32 s38, -1, 0
	s_cmp_eq_u32 s25, s35
	s_cselect_b32 s25, s38, s40
	s_add_u32 s38, s7, 1
	s_addc_u32 s40, s17, 0
	s_add_u32 s41, s7, 2
	s_addc_u32 s42, s17, 0
	s_cmp_lg_u32 s25, 0
	s_cselect_b32 s25, s41, s38
	s_cselect_b32 s38, s42, s40
	s_cmp_lg_u32 s33, 0
	v_readfirstlane_b32 s33, v1
	s_subb_u32 s21, s39, s21
	s_delay_alu instid0(SALU_CYCLE_1) | instskip(SKIP_1) | instid1(VALU_DEP_1)
	s_cmp_ge_u32 s21, s35
	s_cselect_b32 s39, -1, 0
	s_cmp_ge_u32 s33, s34
	s_cselect_b32 s33, -1, 0
	s_cmp_eq_u32 s21, s35
	s_cselect_b32 s21, s33, s39
	s_delay_alu instid0(SALU_CYCLE_1) | instskip(SKIP_3) | instid1(SALU_CYCLE_1)
	s_cmp_lg_u32 s21, 0
	s_cselect_b32 s35, s38, s17
	s_cselect_b32 s34, s25, s7
	s_xor_b64 s[22:23], s[36:37], s[22:23]
	s_xor_b64 s[34:35], s[34:35], s[22:23]
	s_delay_alu instid0(SALU_CYCLE_1)
	s_sub_u32 s22, s34, s22
	s_subb_u32 s23, s35, s23
	s_and_not1_b32 vcc_lo, exec_lo, s24
	s_cbranch_vccnz .LBB96_7
.LBB96_6:
	v_cvt_f32_u32_e32 v1, s30
	s_sub_i32 s17, 0, s30
	s_mov_b32 s23, 0
	s_delay_alu instid0(VALU_DEP_1) | instskip(SKIP_2) | instid1(VALU_DEP_1)
	v_rcp_iflag_f32_e32 v1, v1
	s_waitcnt_depctr 0xfff
	v_mul_f32_e32 v1, 0x4f7ffffe, v1
	v_cvt_u32_f32_e32 v1, v1
	s_delay_alu instid0(VALU_DEP_1) | instskip(NEXT) | instid1(VALU_DEP_1)
	v_readfirstlane_b32 s7, v1
	s_mul_i32 s17, s17, s7
	s_delay_alu instid0(SALU_CYCLE_1) | instskip(NEXT) | instid1(SALU_CYCLE_1)
	s_mul_hi_u32 s17, s7, s17
	s_add_i32 s7, s7, s17
	s_delay_alu instid0(SALU_CYCLE_1) | instskip(NEXT) | instid1(SALU_CYCLE_1)
	s_mul_hi_u32 s7, s28, s7
	s_mul_i32 s17, s7, s30
	s_add_i32 s21, s7, 1
	s_sub_i32 s17, s28, s17
	s_delay_alu instid0(SALU_CYCLE_1)
	s_sub_i32 s22, s17, s30
	s_cmp_ge_u32 s17, s30
	s_cselect_b32 s7, s21, s7
	s_cselect_b32 s17, s22, s17
	s_add_i32 s21, s7, 1
	s_cmp_ge_u32 s17, s30
	s_cselect_b32 s22, s21, s7
.LBB96_7:
	s_load_b64 s[24:25], s[0:1], 0x78
	s_mul_i32 s7, s22, s31
	s_mul_hi_u32 s17, s22, s30
	s_mul_i32 s21, s22, s30
	s_add_i32 s7, s17, s7
	s_mul_i32 s17, s23, s30
	s_mul_i32 s30, s23, s4
	s_add_i32 s17, s7, s17
	s_sub_u32 s7, s28, s21
	s_subb_u32 s17, s29, s17
	s_mul_hi_u32 s29, s22, s4
	s_mul_i32 s31, s22, s4
	s_mul_hi_u32 s28, s7, s5
	s_mul_i32 s17, s17, s5
	s_mul_i32 s23, s7, s5
	s_mov_b32 s33, exec_lo
	v_cmpx_gt_i32_e64 s20, v0
	s_cbranch_execz .LBB96_46
; %bb.8:
	s_load_b32 s38, s[0:1], 0x8c
	s_ashr_i32 s36, s4, 31
	s_ashr_i32 s37, s5, 31
	s_mul_i32 s36, s22, s36
	s_mul_i32 s37, s7, s37
	s_add_i32 s36, s29, s36
	s_add_i32 s37, s28, s37
	s_ashr_i32 s21, s20, 31
	s_add_i32 s36, s36, s30
	s_add_i32 s37, s37, s17
	s_add_u32 s42, s31, s23
	s_addc_u32 s43, s36, s37
	s_add_u32 s36, s42, s18
	s_addc_u32 s37, s43, s19
	s_ashr_i32 s44, s6, 31
	s_add_u32 s36, s36, s6
	v_dual_mov_b32 v2, 0 :: v_dual_lshlrev_b32 v1, 2, v0
	s_addc_u32 s37, s37, s44
	s_lshl_b64 s[26:27], s[26:27], 2
	s_waitcnt lgkmcnt(0)
	s_and_b32 s38, s38, 0xffff
	s_add_u32 s2, s2, s26
	s_load_b32 s34, s[24:25], 0x0
	s_addc_u32 s3, s3, s27
	v_add_co_u32 v3, s2, s2, v1
	s_delay_alu instid0(VALU_DEP_1)
	v_add_co_ci_u32_e64 v4, null, s3, 0, s2
	s_mul_i32 s2, s9, s16
	s_mul_hi_u32 s9, s8, s16
	s_mul_i32 s26, s8, s16
	s_add_i32 s27, s9, s2
	v_lshlrev_b32_e32 v1, 1, v0
	s_lshl_b64 s[40:41], s[26:27], 1
	s_lshl_b32 s3, s38, 2
	s_lshl_b64 s[8:9], s[20:21], 2
	s_lshl_b64 s[26:27], s[20:21], 1
	s_add_u32 s2, s12, s40
	s_addc_u32 s12, s13, s41
	v_add_co_u32 v5, s2, s2, v1
	s_lshl_b32 s39, s38, 1
	v_add_co_ci_u32_e64 v6, null, s12, 0, s2
	s_add_u32 s2, s42, s20
	s_addc_u32 s12, s43, s21
	s_add_u32 s2, s2, s6
	s_addc_u32 s12, s12, s44
	s_add_u32 s21, s18, s2
	s_mov_b32 s35, 0
	s_addc_u32 s40, s19, s12
	s_mov_b64 s[12:13], 0
	s_branch .LBB96_10
.LBB96_9:                               ;   in Loop: Header=BB96_10 Depth=1
	s_or_b32 exec_lo, exec_lo, s2
	s_add_u32 s12, s12, s38
	v_add_co_u32 v3, vcc_lo, v3, s3
	v_add_nc_u32_e32 v1, s12, v0
	v_add_co_ci_u32_e32 v4, vcc_lo, 0, v4, vcc_lo
	v_add_co_u32 v5, vcc_lo, v5, s39
	v_add_co_ci_u32_e32 v6, vcc_lo, 0, v6, vcc_lo
	v_add_co_u32 v7, s2, s21, v0
	s_addc_u32 s13, s13, 0
	v_cmp_le_i32_e32 vcc_lo, s20, v1
	s_add_u32 s21, s21, s38
	v_add_co_ci_u32_e64 v8, null, s40, 0, s2
	s_addc_u32 s40, s40, 0
	s_add_u32 s36, s36, s38
	s_addc_u32 s37, s37, 0
	s_or_b32 s35, vcc_lo, s35
	global_store_b8 v[7:8], v9, off
	s_and_not1_b32 exec_lo, exec_lo, s35
	s_cbranch_execz .LBB96_46
.LBB96_10:                              ; =>This Inner Loop Header: Depth=1
	v_add_co_u32 v7, vcc_lo, v3, s8
	v_add_co_ci_u32_e32 v8, vcc_lo, s9, v4, vcc_lo
	v_add_co_u32 v13, vcc_lo, v5, s26
	v_add_co_ci_u32_e32 v14, vcc_lo, s27, v6, vcc_lo
	s_clause 0x1
	global_load_b32 v1, v[7:8], off
	global_load_b32 v7, v[3:4], off
	s_clause 0x1
	global_load_u16 v8, v[13:14], off
	global_load_u16 v10, v[5:6], off
	s_mov_b32 s2, exec_lo
	s_waitcnt vmcnt(3)
	v_cvt_f16_f32_e32 v1, v1
	s_waitcnt vmcnt(2)
	v_cvt_f16_f32_e32 v11, v7
	s_waitcnt vmcnt(1)
	s_delay_alu instid0(VALU_DEP_2) | instskip(SKIP_1) | instid1(VALU_DEP_1)
	v_mul_f16_e32 v7, v8, v1
	s_waitcnt vmcnt(0)
	v_fma_f16 v17, v10, v11, -v7
	v_mul_f16_e32 v11, v8, v11
	s_delay_alu instid0(VALU_DEP_2) | instskip(NEXT) | instid1(VALU_DEP_2)
	v_lshlrev_b32_e32 v7, 16, v17
	v_fmac_f16_e32 v11, v10, v1
	s_clause 0x1
	global_store_b16 v[5:6], v17, off
	global_store_b16 v[13:14], v11, off
	s_waitcnt lgkmcnt(0)
	v_div_scale_f32 v9, null, s34, s34, v7
	s_delay_alu instid0(VALU_DEP_1) | instskip(SKIP_2) | instid1(VALU_DEP_1)
	v_rcp_f32_e32 v12, v9
	s_waitcnt_depctr 0xfff
	v_fma_f32 v15, -v9, v12, 1.0
	v_fmac_f32_e32 v12, v15, v12
	v_div_scale_f32 v15, vcc_lo, v7, s34, v7
	s_delay_alu instid0(VALU_DEP_1) | instskip(NEXT) | instid1(VALU_DEP_1)
	v_mul_f32_e32 v16, v15, v12
	v_fma_f32 v18, -v9, v16, v15
	s_delay_alu instid0(VALU_DEP_1) | instskip(NEXT) | instid1(VALU_DEP_1)
	v_fmac_f32_e32 v16, v18, v12
	v_fma_f32 v9, -v9, v16, v15
	s_delay_alu instid0(VALU_DEP_1) | instskip(SKIP_1) | instid1(VALU_DEP_2)
	v_div_fmas_f32 v9, v9, v12, v16
	v_mov_b32_e32 v16, v2
	v_div_fixup_f32 v7, v9, s34, v7
	s_delay_alu instid0(VALU_DEP_1) | instskip(SKIP_2) | instid1(VALU_DEP_2)
	v_and_b32_e32 v1, 0x7fffff, v7
	v_lshrrev_b32_e32 v9, 24, v7
	v_and_b32_e32 v15, 0x7f800000, v7
	v_and_b32_e32 v12, 0x80, v9
	s_delay_alu instid0(VALU_DEP_1) | instskip(NEXT) | instid1(VALU_DEP_3)
	v_or_b32_e32 v8, 0x7e, v12
	v_cmpx_ne_u64_e32 0x7f800000, v[15:16]
	s_xor_b32 s41, exec_lo, s2
	s_cbranch_execz .LBB96_26
; %bb.11:                               ;   in Loop: Header=BB96_10 Depth=1
	v_dual_mov_b32 v10, v2 :: v_dual_and_b32 v9, 0x7fffffff, v7
	s_mov_b32 s2, exec_lo
	s_delay_alu instid0(VALU_DEP_1)
	v_cmpx_gt_u64_e32 0x43e00001, v[9:10]
	s_xor_b32 s42, exec_lo, s2
	s_cbranch_execz .LBB96_25
; %bb.12:                               ;   in Loop: Header=BB96_10 Depth=1
	v_mov_b32_e32 v8, 0
	s_mov_b32 s43, exec_lo
	v_cmpx_ne_u32_e32 0, v7
	s_cbranch_execz .LBB96_24
; %bb.13:                               ;   in Loop: Header=BB96_10 Depth=1
	v_bfe_u32 v13, v7, 23, 8
	v_or_b32_e32 v9, 0x800000, v1
	s_delay_alu instid0(VALU_DEP_2) | instskip(SKIP_1) | instid1(VALU_DEP_2)
	v_sub_nc_u32_e32 v7, 0x79, v13
	v_cmp_gt_u32_e32 vcc_lo, 0x7a, v13
	v_cndmask_b32_e32 v7, 0, v7, vcc_lo
	v_cmp_eq_u32_e32 vcc_lo, 0, v13
	s_delay_alu instid0(VALU_DEP_2) | instskip(SKIP_1) | instid1(VALU_DEP_2)
	v_cndmask_b32_e64 v14, v7, 0x78, vcc_lo
	v_cndmask_b32_e32 v1, v9, v1, vcc_lo
	v_add_nc_u32_e32 v7, 20, v14
	v_add_nc_u32_e32 v9, 19, v14
	s_delay_alu instid0(VALU_DEP_2) | instskip(NEXT) | instid1(VALU_DEP_2)
	v_lshlrev_b64 v[7:8], v7, -1
	v_lshlrev_b64 v[9:10], v9, 1
	s_delay_alu instid0(VALU_DEP_2) | instskip(NEXT) | instid1(VALU_DEP_3)
	v_not_b32_e32 v8, v8
	v_not_b32_e32 v7, v7
	s_delay_alu instid0(VALU_DEP_2) | instskip(NEXT) | instid1(VALU_DEP_2)
	v_and_b32_e32 v16, 0, v8
	v_and_b32_e32 v15, v1, v7
	v_lshrrev_b64 v[7:8], v14, v[1:2]
	s_delay_alu instid0(VALU_DEP_2) | instskip(NEXT) | instid1(VALU_DEP_2)
	v_cmp_eq_u64_e64 s2, v[15:16], v[9:10]
	v_dual_mov_b32 v10, v8 :: v_dual_mov_b32 v9, v7
	s_delay_alu instid0(VALU_DEP_2)
	s_and_saveexec_b32 s44, s2
; %bb.14:                               ;   in Loop: Header=BB96_10 Depth=1
	v_bfe_u32 v1, v7, 20, 1
	s_delay_alu instid0(VALU_DEP_1) | instskip(NEXT) | instid1(VALU_DEP_1)
	v_add_co_u32 v1, s2, v7, v1
	v_add_co_u32 v9, s2, v1, -1
; %bb.15:                               ;   in Loop: Header=BB96_10 Depth=1
	s_or_b32 exec_lo, exec_lo, s44
	v_add_nc_u32_e32 v1, 0xffffff81, v13
	v_lshrrev_b32_e32 v10, 23, v7
	s_mov_b32 s2, exec_lo
	s_delay_alu instid0(VALU_DEP_2) | instskip(NEXT) | instid1(VALU_DEP_1)
	v_cndmask_b32_e64 v1, v1, 0xffffff82, vcc_lo
	v_add3_u32 v10, v14, v1, v10
	v_and_b32_e32 v1, 0xfffff, v9
	s_delay_alu instid0(VALU_DEP_2) | instskip(NEXT) | instid1(VALU_DEP_2)
	v_add_nc_u32_e32 v9, 6, v10
	v_add_co_u32 v7, vcc_lo, v1, v7
	v_add_co_ci_u32_e32 v8, vcc_lo, 0, v8, vcc_lo
                                        ; implicit-def: $vgpr1
	s_delay_alu instid0(VALU_DEP_3)
	v_cmpx_ne_u32_e32 0, v9
	s_xor_b32 s2, exec_lo, s2
; %bb.16:                               ;   in Loop: Header=BB96_10 Depth=1
	s_delay_alu instid0(VALU_DEP_2) | instskip(SKIP_1) | instid1(VALU_DEP_1)
	v_cmp_lt_u64_e32 vcc_lo, 0xffffff, v[7:8]
	v_add_nc_u32_e32 v1, 7, v10
	v_cndmask_b32_e32 v1, v9, v1, vcc_lo
	v_cndmask_b32_e64 v9, 0, 1, vcc_lo
	s_delay_alu instid0(VALU_DEP_1)
	v_lshrrev_b64 v[7:8], v9, v[7:8]
; %bb.17:                               ;   in Loop: Header=BB96_10 Depth=1
	s_and_not1_saveexec_b32 s2, s2
; %bb.18:                               ;   in Loop: Header=BB96_10 Depth=1
	s_delay_alu instid0(VALU_DEP_1)
	v_bfe_u32 v1, v7, 23, 1
; %bb.19:                               ;   in Loop: Header=BB96_10 Depth=1
	s_or_b32 exec_lo, exec_lo, s2
	s_delay_alu instid0(VALU_DEP_2) | instskip(NEXT) | instid1(VALU_DEP_2)
	v_lshrrev_b64 v[7:8], 20, v[7:8]
	v_cmp_gt_i32_e32 vcc_lo, 16, v1
	v_cmp_ne_u32_e64 s2, 0, v1
	s_delay_alu instid0(VALU_DEP_3) | instskip(NEXT) | instid1(VALU_DEP_1)
	v_dual_cndmask_b32 v8, 0, v8 :: v_dual_cndmask_b32 v7, 7, v7
	v_cmp_ne_u64_e32 vcc_lo, 0, v[7:8]
                                        ; implicit-def: $vgpr8
	s_delay_alu instid0(VALU_DEP_3) | instskip(NEXT) | instid1(SALU_CYCLE_1)
	s_or_b32 s2, s2, vcc_lo
	s_and_saveexec_b32 s44, s2
	s_delay_alu instid0(SALU_CYCLE_1)
	s_xor_b32 s2, exec_lo, s44
; %bb.20:                               ;   in Loop: Header=BB96_10 Depth=1
	v_min_i32_e32 v1, 15, v1
	s_delay_alu instid0(VALU_DEP_1) | instskip(NEXT) | instid1(VALU_DEP_1)
	v_lshl_or_b32 v1, v1, 3, v12
                                        ; implicit-def: $vgpr12
	v_and_or_b32 v8, v7, 7, v1
; %bb.21:                               ;   in Loop: Header=BB96_10 Depth=1
	s_and_not1_saveexec_b32 s2, s2
; %bb.22:                               ;   in Loop: Header=BB96_10 Depth=1
	v_mov_b32_e32 v8, v12
; %bb.23:                               ;   in Loop: Header=BB96_10 Depth=1
	s_or_b32 exec_lo, exec_lo, s2
.LBB96_24:                              ;   in Loop: Header=BB96_10 Depth=1
	s_delay_alu instid0(SALU_CYCLE_1)
	s_or_b32 exec_lo, exec_lo, s43
.LBB96_25:                              ;   in Loop: Header=BB96_10 Depth=1
	s_and_not1_saveexec_b32 s2, s42
	s_delay_alu instid0(SALU_CYCLE_1)
	s_or_b32 exec_lo, exec_lo, s2
                                        ; implicit-def: $vgpr9
.LBB96_26:                              ;   in Loop: Header=BB96_10 Depth=1
	s_and_not1_saveexec_b32 s2, s41
; %bb.27:                               ;   in Loop: Header=BB96_10 Depth=1
	v_cmp_eq_u64_e32 vcc_lo, 0, v[1:2]
	v_or_b32_e32 v7, 0x7f, v9
	s_delay_alu instid0(VALU_DEP_1)
	v_cndmask_b32_e32 v8, v7, v8, vcc_lo
; %bb.28:                               ;   in Loop: Header=BB96_10 Depth=1
	s_or_b32 exec_lo, exec_lo, s2
	v_lshlrev_b32_e32 v1, 16, v11
	v_add_co_u32 v14, s2, s36, v0
	s_delay_alu instid0(VALU_DEP_1) | instskip(NEXT) | instid1(VALU_DEP_3)
	v_add_co_ci_u32_e64 v15, null, s37, 0, s2
	v_div_scale_f32 v7, null, s34, s34, v1
	v_div_scale_f32 v11, vcc_lo, v1, s34, v1
	global_store_b8 v[14:15], v8, off
	v_rcp_f32_e32 v9, v7
	s_mov_b32 s2, exec_lo
	v_mov_b32_e32 v13, v2
	s_waitcnt_depctr 0xfff
	v_fma_f32 v10, -v7, v9, 1.0
	s_delay_alu instid0(VALU_DEP_1) | instskip(NEXT) | instid1(VALU_DEP_1)
	v_fmac_f32_e32 v9, v10, v9
	v_mul_f32_e32 v10, v11, v9
	s_delay_alu instid0(VALU_DEP_1) | instskip(NEXT) | instid1(VALU_DEP_1)
	v_fma_f32 v12, -v7, v10, v11
	v_fmac_f32_e32 v10, v12, v9
	s_delay_alu instid0(VALU_DEP_1) | instskip(NEXT) | instid1(VALU_DEP_1)
	v_fma_f32 v7, -v7, v10, v11
	v_div_fmas_f32 v7, v7, v9, v10
	s_delay_alu instid0(VALU_DEP_1) | instskip(NEXT) | instid1(VALU_DEP_1)
	v_div_fixup_f32 v7, v7, s34, v1
	v_lshrrev_b32_e32 v10, 24, v7
	v_and_b32_e32 v12, 0x7f800000, v7
	v_and_b32_e32 v1, 0x7fffff, v7
	s_delay_alu instid0(VALU_DEP_3) | instskip(NEXT) | instid1(VALU_DEP_1)
	v_and_b32_e32 v11, 0x80, v10
	v_or_b32_e32 v9, 0x7e, v11
	s_delay_alu instid0(VALU_DEP_4)
	v_cmpx_ne_u64_e32 0x7f800000, v[12:13]
	s_xor_b32 s41, exec_lo, s2
	s_cbranch_execz .LBB96_44
; %bb.29:                               ;   in Loop: Header=BB96_10 Depth=1
	v_dual_mov_b32 v13, v2 :: v_dual_and_b32 v12, 0x7fffffff, v7
	s_mov_b32 s2, exec_lo
	s_delay_alu instid0(VALU_DEP_1)
	v_cmpx_gt_u64_e32 0x43e00001, v[12:13]
	s_xor_b32 s42, exec_lo, s2
	s_cbranch_execz .LBB96_43
; %bb.30:                               ;   in Loop: Header=BB96_10 Depth=1
	v_mov_b32_e32 v9, 0
	s_mov_b32 s43, exec_lo
	v_cmpx_ne_u32_e32 0, v7
	s_cbranch_execz .LBB96_42
; %bb.31:                               ;   in Loop: Header=BB96_10 Depth=1
	v_bfe_u32 v12, v7, 23, 8
	v_or_b32_e32 v9, 0x800000, v1
	s_delay_alu instid0(VALU_DEP_2) | instskip(SKIP_1) | instid1(VALU_DEP_2)
	v_sub_nc_u32_e32 v7, 0x79, v12
	v_cmp_gt_u32_e32 vcc_lo, 0x7a, v12
	v_cndmask_b32_e32 v7, 0, v7, vcc_lo
	v_cmp_eq_u32_e32 vcc_lo, 0, v12
	s_delay_alu instid0(VALU_DEP_2) | instskip(SKIP_1) | instid1(VALU_DEP_2)
	v_cndmask_b32_e64 v13, v7, 0x78, vcc_lo
	v_cndmask_b32_e32 v1, v9, v1, vcc_lo
	v_add_nc_u32_e32 v7, 20, v13
	v_add_nc_u32_e32 v9, 19, v13
	s_delay_alu instid0(VALU_DEP_2) | instskip(NEXT) | instid1(VALU_DEP_2)
	v_lshlrev_b64 v[7:8], v7, -1
	v_lshlrev_b64 v[9:10], v9, 1
	s_delay_alu instid0(VALU_DEP_2) | instskip(NEXT) | instid1(VALU_DEP_3)
	v_not_b32_e32 v8, v8
	v_not_b32_e32 v7, v7
	s_delay_alu instid0(VALU_DEP_2) | instskip(NEXT) | instid1(VALU_DEP_2)
	v_and_b32_e32 v15, 0, v8
	v_and_b32_e32 v14, v1, v7
	v_lshrrev_b64 v[7:8], v13, v[1:2]
	s_delay_alu instid0(VALU_DEP_2) | instskip(NEXT) | instid1(VALU_DEP_2)
	v_cmp_eq_u64_e64 s2, v[14:15], v[9:10]
	v_dual_mov_b32 v10, v8 :: v_dual_mov_b32 v9, v7
	s_delay_alu instid0(VALU_DEP_2)
	s_and_saveexec_b32 s44, s2
; %bb.32:                               ;   in Loop: Header=BB96_10 Depth=1
	v_bfe_u32 v1, v7, 20, 1
	s_delay_alu instid0(VALU_DEP_1) | instskip(NEXT) | instid1(VALU_DEP_1)
	v_add_co_u32 v1, s2, v7, v1
	v_add_co_u32 v9, s2, v1, -1
; %bb.33:                               ;   in Loop: Header=BB96_10 Depth=1
	s_or_b32 exec_lo, exec_lo, s44
	v_add_nc_u32_e32 v1, 0xffffff81, v12
	v_lshrrev_b32_e32 v10, 23, v7
	s_mov_b32 s2, exec_lo
	s_delay_alu instid0(VALU_DEP_2) | instskip(NEXT) | instid1(VALU_DEP_1)
	v_cndmask_b32_e64 v1, v1, 0xffffff82, vcc_lo
	v_add3_u32 v10, v13, v1, v10
	v_and_b32_e32 v1, 0xfffff, v9
	s_delay_alu instid0(VALU_DEP_2) | instskip(NEXT) | instid1(VALU_DEP_2)
	v_add_nc_u32_e32 v9, 6, v10
	v_add_co_u32 v7, vcc_lo, v1, v7
	v_add_co_ci_u32_e32 v8, vcc_lo, 0, v8, vcc_lo
                                        ; implicit-def: $vgpr1
	s_delay_alu instid0(VALU_DEP_3)
	v_cmpx_ne_u32_e32 0, v9
	s_xor_b32 s2, exec_lo, s2
; %bb.34:                               ;   in Loop: Header=BB96_10 Depth=1
	s_delay_alu instid0(VALU_DEP_2) | instskip(SKIP_1) | instid1(VALU_DEP_1)
	v_cmp_lt_u64_e32 vcc_lo, 0xffffff, v[7:8]
	v_add_nc_u32_e32 v1, 7, v10
	v_cndmask_b32_e32 v1, v9, v1, vcc_lo
	v_cndmask_b32_e64 v9, 0, 1, vcc_lo
	s_delay_alu instid0(VALU_DEP_1)
	v_lshrrev_b64 v[7:8], v9, v[7:8]
; %bb.35:                               ;   in Loop: Header=BB96_10 Depth=1
	s_and_not1_saveexec_b32 s2, s2
; %bb.36:                               ;   in Loop: Header=BB96_10 Depth=1
	s_delay_alu instid0(VALU_DEP_1)
	v_bfe_u32 v1, v7, 23, 1
; %bb.37:                               ;   in Loop: Header=BB96_10 Depth=1
	s_or_b32 exec_lo, exec_lo, s2
	s_delay_alu instid0(VALU_DEP_2) | instskip(NEXT) | instid1(VALU_DEP_2)
	v_lshrrev_b64 v[7:8], 20, v[7:8]
	v_cmp_gt_i32_e32 vcc_lo, 16, v1
	v_cmp_ne_u32_e64 s2, 0, v1
                                        ; implicit-def: $vgpr9
	s_delay_alu instid0(VALU_DEP_3) | instskip(NEXT) | instid1(VALU_DEP_1)
	v_dual_cndmask_b32 v8, 0, v8 :: v_dual_cndmask_b32 v7, 7, v7
	v_cmp_ne_u64_e32 vcc_lo, 0, v[7:8]
	s_delay_alu instid0(VALU_DEP_3) | instskip(NEXT) | instid1(SALU_CYCLE_1)
	s_or_b32 s2, s2, vcc_lo
	s_and_saveexec_b32 s44, s2
	s_delay_alu instid0(SALU_CYCLE_1)
	s_xor_b32 s2, exec_lo, s44
; %bb.38:                               ;   in Loop: Header=BB96_10 Depth=1
	v_min_i32_e32 v1, 15, v1
	s_delay_alu instid0(VALU_DEP_1) | instskip(NEXT) | instid1(VALU_DEP_1)
	v_lshl_or_b32 v1, v1, 3, v11
                                        ; implicit-def: $vgpr11
	v_and_or_b32 v9, v7, 7, v1
; %bb.39:                               ;   in Loop: Header=BB96_10 Depth=1
	s_and_not1_saveexec_b32 s2, s2
; %bb.40:                               ;   in Loop: Header=BB96_10 Depth=1
	v_mov_b32_e32 v9, v11
; %bb.41:                               ;   in Loop: Header=BB96_10 Depth=1
	s_or_b32 exec_lo, exec_lo, s2
.LBB96_42:                              ;   in Loop: Header=BB96_10 Depth=1
	s_delay_alu instid0(SALU_CYCLE_1)
	s_or_b32 exec_lo, exec_lo, s43
.LBB96_43:                              ;   in Loop: Header=BB96_10 Depth=1
	s_and_not1_saveexec_b32 s2, s42
	s_delay_alu instid0(SALU_CYCLE_1)
	s_or_b32 exec_lo, exec_lo, s2
                                        ; implicit-def: $vgpr10
.LBB96_44:                              ;   in Loop: Header=BB96_10 Depth=1
	s_and_not1_saveexec_b32 s2, s41
	s_cbranch_execz .LBB96_9
; %bb.45:                               ;   in Loop: Header=BB96_10 Depth=1
	v_cmp_eq_u64_e32 vcc_lo, 0, v[1:2]
	v_or_b32_e32 v7, 0x7f, v10
	s_delay_alu instid0(VALU_DEP_1)
	v_cndmask_b32_e32 v9, v7, v9, vcc_lo
	s_branch .LBB96_9
.LBB96_46:
	s_or_b32 exec_lo, exec_lo, s33
	s_delay_alu instid0(SALU_CYCLE_1)
	s_mov_b32 s2, exec_lo
	v_cmpx_gt_i32_e64 s6, v0
	s_cbranch_execz .LBB96_67
; %bb.47:
	s_mul_i32 s3, s16, s11
	s_mul_hi_u32 s8, s16, s10
	s_mul_i32 s2, s16, s10
	s_add_i32 s3, s8, s3
	s_load_b32 s0, s[0:1], 0x8c
	s_lshl_b64 s[2:3], s[2:3], 1
	v_mov_b32_e32 v3, 0
	s_add_u32 s1, s14, s2
	s_addc_u32 s2, s15, s3
	s_waitcnt lgkmcnt(0)
	s_load_b32 s3, s[24:25], 0x0
	s_ashr_i32 s4, s4, 31
	s_delay_alu instid0(SALU_CYCLE_1) | instskip(NEXT) | instid1(SALU_CYCLE_1)
	s_mul_i32 s4, s22, s4
	s_add_i32 s4, s29, s4
	s_delay_alu instid0(SALU_CYCLE_1) | instskip(SKIP_3) | instid1(SALU_CYCLE_1)
	s_add_i32 s4, s4, s30
	s_add_u32 s8, s18, s31
	s_addc_u32 s9, s19, s4
	s_ashr_i32 s4, s5, 31
	s_mul_i32 s7, s7, s4
	s_delay_alu instid0(SALU_CYCLE_1) | instskip(NEXT) | instid1(SALU_CYCLE_1)
	s_add_i32 s4, s28, s7
	s_add_i32 s5, s4, s17
	s_add_u32 s4, s8, s23
	s_addc_u32 s5, s9, s5
	s_and_b32 s7, s0, 0xffff
	s_mov_b32 s8, 0
	s_branch .LBB96_49
.LBB96_48:                              ;   in Loop: Header=BB96_49 Depth=1
	s_or_b32 exec_lo, exec_lo, s0
	v_add_co_u32 v6, vcc_lo, s4, v0
	v_add_nc_u32_e32 v0, s7, v0
	v_add_co_ci_u32_e32 v7, vcc_lo, s5, v1, vcc_lo
	s_delay_alu instid0(VALU_DEP_2) | instskip(SKIP_2) | instid1(SALU_CYCLE_1)
	v_cmp_le_i32_e32 vcc_lo, s6, v0
	global_store_b8 v[6:7], v5, off
	s_or_b32 s8, vcc_lo, s8
	s_and_not1_b32 exec_lo, exec_lo, s8
	s_cbranch_execz .LBB96_67
.LBB96_49:                              ; =>This Inner Loop Header: Depth=1
	v_ashrrev_i32_e32 v1, 31, v0
	s_mov_b32 s0, exec_lo
	v_mov_b32_e32 v10, v3
	s_delay_alu instid0(VALU_DEP_2) | instskip(NEXT) | instid1(VALU_DEP_1)
	v_lshlrev_b64 v[4:5], 1, v[0:1]
	v_add_co_u32 v4, vcc_lo, s1, v4
	s_delay_alu instid0(VALU_DEP_2) | instskip(SKIP_4) | instid1(VALU_DEP_1)
	v_add_co_ci_u32_e32 v5, vcc_lo, s2, v5, vcc_lo
	global_load_u16 v2, v[4:5], off
	s_waitcnt vmcnt(0)
	v_lshlrev_b32_e32 v2, 16, v2
	s_waitcnt lgkmcnt(0)
	v_div_scale_f32 v4, null, s3, s3, v2
	s_delay_alu instid0(VALU_DEP_1) | instskip(SKIP_2) | instid1(VALU_DEP_1)
	v_rcp_f32_e32 v5, v4
	s_waitcnt_depctr 0xfff
	v_fma_f32 v6, -v4, v5, 1.0
	v_fmac_f32_e32 v5, v6, v5
	v_div_scale_f32 v6, vcc_lo, v2, s3, v2
	s_delay_alu instid0(VALU_DEP_1) | instskip(NEXT) | instid1(VALU_DEP_1)
	v_mul_f32_e32 v7, v6, v5
	v_fma_f32 v8, -v4, v7, v6
	s_delay_alu instid0(VALU_DEP_1) | instskip(NEXT) | instid1(VALU_DEP_1)
	v_fmac_f32_e32 v7, v8, v5
	v_fma_f32 v4, -v4, v7, v6
	s_delay_alu instid0(VALU_DEP_1) | instskip(NEXT) | instid1(VALU_DEP_1)
	v_div_fmas_f32 v4, v4, v5, v7
	v_div_fixup_f32 v4, v4, s3, v2
	s_delay_alu instid0(VALU_DEP_1) | instskip(SKIP_2) | instid1(VALU_DEP_3)
	v_lshrrev_b32_e32 v6, 24, v4
	v_and_b32_e32 v9, 0x7f800000, v4
	v_and_b32_e32 v2, 0x7fffff, v4
	v_and_b32_e32 v8, 0x80, v6
	s_delay_alu instid0(VALU_DEP_1) | instskip(NEXT) | instid1(VALU_DEP_4)
	v_or_b32_e32 v5, 0x7e, v8
	v_cmpx_ne_u64_e32 0x7f800000, v[9:10]
	s_xor_b32 s9, exec_lo, s0
	s_cbranch_execz .LBB96_65
; %bb.50:                               ;   in Loop: Header=BB96_49 Depth=1
	v_dual_mov_b32 v7, v3 :: v_dual_and_b32 v6, 0x7fffffff, v4
	s_mov_b32 s0, exec_lo
	s_delay_alu instid0(VALU_DEP_1)
	v_cmpx_gt_u64_e32 0x43e00001, v[6:7]
	s_xor_b32 s10, exec_lo, s0
	s_cbranch_execz .LBB96_64
; %bb.51:                               ;   in Loop: Header=BB96_49 Depth=1
	v_mov_b32_e32 v5, 0
	s_mov_b32 s11, exec_lo
	v_cmpx_ne_u32_e32 0, v4
	s_cbranch_execz .LBB96_63
; %bb.52:                               ;   in Loop: Header=BB96_49 Depth=1
	v_bfe_u32 v9, v4, 23, 8
	v_or_b32_e32 v6, 0x800000, v2
	s_delay_alu instid0(VALU_DEP_2) | instskip(SKIP_1) | instid1(VALU_DEP_2)
	v_sub_nc_u32_e32 v4, 0x79, v9
	v_cmp_gt_u32_e32 vcc_lo, 0x7a, v9
	v_cndmask_b32_e32 v4, 0, v4, vcc_lo
	v_cmp_eq_u32_e32 vcc_lo, 0, v9
	s_delay_alu instid0(VALU_DEP_2) | instskip(SKIP_1) | instid1(VALU_DEP_2)
	v_cndmask_b32_e64 v10, v4, 0x78, vcc_lo
	v_cndmask_b32_e32 v2, v6, v2, vcc_lo
	v_add_nc_u32_e32 v4, 20, v10
	v_add_nc_u32_e32 v6, 19, v10
	s_delay_alu instid0(VALU_DEP_2) | instskip(NEXT) | instid1(VALU_DEP_2)
	v_lshlrev_b64 v[4:5], v4, -1
	v_lshlrev_b64 v[6:7], v6, 1
	s_delay_alu instid0(VALU_DEP_2) | instskip(NEXT) | instid1(VALU_DEP_3)
	v_not_b32_e32 v5, v5
	v_not_b32_e32 v4, v4
	s_delay_alu instid0(VALU_DEP_2) | instskip(NEXT) | instid1(VALU_DEP_2)
	v_and_b32_e32 v12, 0, v5
	v_and_b32_e32 v11, v2, v4
	v_lshrrev_b64 v[4:5], v10, v[2:3]
	s_delay_alu instid0(VALU_DEP_2) | instskip(NEXT) | instid1(VALU_DEP_2)
	v_cmp_eq_u64_e64 s0, v[11:12], v[6:7]
	v_dual_mov_b32 v7, v5 :: v_dual_mov_b32 v6, v4
	s_delay_alu instid0(VALU_DEP_2)
	s_and_saveexec_b32 s12, s0
; %bb.53:                               ;   in Loop: Header=BB96_49 Depth=1
	v_bfe_u32 v2, v4, 20, 1
	s_delay_alu instid0(VALU_DEP_1) | instskip(NEXT) | instid1(VALU_DEP_1)
	v_add_co_u32 v2, s0, v4, v2
	v_add_co_u32 v6, s0, v2, -1
; %bb.54:                               ;   in Loop: Header=BB96_49 Depth=1
	s_or_b32 exec_lo, exec_lo, s12
	v_add_nc_u32_e32 v2, 0xffffff81, v9
	v_lshrrev_b32_e32 v7, 23, v4
	s_mov_b32 s0, exec_lo
	s_delay_alu instid0(VALU_DEP_2) | instskip(NEXT) | instid1(VALU_DEP_1)
	v_cndmask_b32_e64 v2, v2, 0xffffff82, vcc_lo
	v_add3_u32 v7, v10, v2, v7
	v_and_b32_e32 v2, 0xfffff, v6
	s_delay_alu instid0(VALU_DEP_2) | instskip(NEXT) | instid1(VALU_DEP_2)
	v_add_nc_u32_e32 v6, 6, v7
	v_add_co_u32 v4, vcc_lo, v2, v4
	v_add_co_ci_u32_e32 v5, vcc_lo, 0, v5, vcc_lo
                                        ; implicit-def: $vgpr2
	s_delay_alu instid0(VALU_DEP_3)
	v_cmpx_ne_u32_e32 0, v6
	s_xor_b32 s0, exec_lo, s0
; %bb.55:                               ;   in Loop: Header=BB96_49 Depth=1
	s_delay_alu instid0(VALU_DEP_2) | instskip(SKIP_1) | instid1(VALU_DEP_1)
	v_cmp_lt_u64_e32 vcc_lo, 0xffffff, v[4:5]
	v_add_nc_u32_e32 v2, 7, v7
	v_cndmask_b32_e32 v2, v6, v2, vcc_lo
	v_cndmask_b32_e64 v6, 0, 1, vcc_lo
	s_delay_alu instid0(VALU_DEP_1)
	v_lshrrev_b64 v[4:5], v6, v[4:5]
; %bb.56:                               ;   in Loop: Header=BB96_49 Depth=1
	s_and_not1_saveexec_b32 s0, s0
; %bb.57:                               ;   in Loop: Header=BB96_49 Depth=1
	s_delay_alu instid0(VALU_DEP_1)
	v_bfe_u32 v2, v4, 23, 1
; %bb.58:                               ;   in Loop: Header=BB96_49 Depth=1
	s_or_b32 exec_lo, exec_lo, s0
	s_delay_alu instid0(VALU_DEP_2) | instskip(NEXT) | instid1(VALU_DEP_2)
	v_lshrrev_b64 v[4:5], 20, v[4:5]
	v_cmp_gt_i32_e32 vcc_lo, 16, v2
	v_cmp_ne_u32_e64 s0, 0, v2
	s_delay_alu instid0(VALU_DEP_3) | instskip(NEXT) | instid1(VALU_DEP_1)
	v_dual_cndmask_b32 v5, 0, v5 :: v_dual_cndmask_b32 v4, 7, v4
	v_cmp_ne_u64_e32 vcc_lo, 0, v[4:5]
                                        ; implicit-def: $vgpr5
	s_delay_alu instid0(VALU_DEP_3) | instskip(NEXT) | instid1(SALU_CYCLE_1)
	s_or_b32 s0, s0, vcc_lo
	s_and_saveexec_b32 s12, s0
	s_delay_alu instid0(SALU_CYCLE_1)
	s_xor_b32 s0, exec_lo, s12
; %bb.59:                               ;   in Loop: Header=BB96_49 Depth=1
	v_min_i32_e32 v2, 15, v2
	s_delay_alu instid0(VALU_DEP_1) | instskip(NEXT) | instid1(VALU_DEP_1)
	v_lshl_or_b32 v2, v2, 3, v8
                                        ; implicit-def: $vgpr8
	v_and_or_b32 v5, v4, 7, v2
; %bb.60:                               ;   in Loop: Header=BB96_49 Depth=1
	s_and_not1_saveexec_b32 s0, s0
; %bb.61:                               ;   in Loop: Header=BB96_49 Depth=1
	v_mov_b32_e32 v5, v8
; %bb.62:                               ;   in Loop: Header=BB96_49 Depth=1
	s_or_b32 exec_lo, exec_lo, s0
.LBB96_63:                              ;   in Loop: Header=BB96_49 Depth=1
	s_delay_alu instid0(SALU_CYCLE_1)
	s_or_b32 exec_lo, exec_lo, s11
.LBB96_64:                              ;   in Loop: Header=BB96_49 Depth=1
	s_and_not1_saveexec_b32 s0, s10
	s_delay_alu instid0(SALU_CYCLE_1)
	s_or_b32 exec_lo, exec_lo, s0
                                        ; implicit-def: $vgpr6
.LBB96_65:                              ;   in Loop: Header=BB96_49 Depth=1
	s_and_not1_saveexec_b32 s0, s9
	s_cbranch_execz .LBB96_48
; %bb.66:                               ;   in Loop: Header=BB96_49 Depth=1
	v_cmp_eq_u64_e32 vcc_lo, 0, v[2:3]
	v_or_b32_e32 v4, 0x7f, v6
	s_delay_alu instid0(VALU_DEP_1)
	v_cndmask_b32_e32 v5, v4, v5, vcc_lo
	s_branch .LBB96_48
.LBB96_67:
	s_nop 0
	s_sendmsg sendmsg(MSG_DEALLOC_VGPRS)
	s_endpgm
.LBB96_68:
                                        ; implicit-def: $sgpr22_sgpr23
	s_branch .LBB96_6
	.section	.rodata,"a",@progbits
	.p2align	6, 0x0
	.amdhsa_kernel _ZN4vllm38concat_and_cache_mla_rope_fused_kernelIN3c104HalfEfLb1E14__hip_bfloat16hLNS_18Fp8KVCacheDataTypeE1EEEvPKlPT_S8_PKS7_PKT0_illlliPT3_S6_iiiiPKf
		.amdhsa_group_segment_fixed_size 0
		.amdhsa_private_segment_fixed_size 0
		.amdhsa_kernarg_size 384
		.amdhsa_user_sgpr_count 15
		.amdhsa_user_sgpr_dispatch_ptr 0
		.amdhsa_user_sgpr_queue_ptr 0
		.amdhsa_user_sgpr_kernarg_segment_ptr 1
		.amdhsa_user_sgpr_dispatch_id 0
		.amdhsa_user_sgpr_private_segment_size 0
		.amdhsa_wavefront_size32 1
		.amdhsa_uses_dynamic_stack 0
		.amdhsa_enable_private_segment 0
		.amdhsa_system_sgpr_workgroup_id_x 1
		.amdhsa_system_sgpr_workgroup_id_y 0
		.amdhsa_system_sgpr_workgroup_id_z 0
		.amdhsa_system_sgpr_workgroup_info 0
		.amdhsa_system_vgpr_workitem_id 0
		.amdhsa_next_free_vgpr 19
		.amdhsa_next_free_sgpr 45
		.amdhsa_reserve_vcc 1
		.amdhsa_float_round_mode_32 0
		.amdhsa_float_round_mode_16_64 0
		.amdhsa_float_denorm_mode_32 3
		.amdhsa_float_denorm_mode_16_64 3
		.amdhsa_dx10_clamp 1
		.amdhsa_ieee_mode 1
		.amdhsa_fp16_overflow 0
		.amdhsa_workgroup_processor_mode 1
		.amdhsa_memory_ordered 1
		.amdhsa_forward_progress 0
		.amdhsa_shared_vgpr_count 0
		.amdhsa_exception_fp_ieee_invalid_op 0
		.amdhsa_exception_fp_denorm_src 0
		.amdhsa_exception_fp_ieee_div_zero 0
		.amdhsa_exception_fp_ieee_overflow 0
		.amdhsa_exception_fp_ieee_underflow 0
		.amdhsa_exception_fp_ieee_inexact 0
		.amdhsa_exception_int_div_zero 0
	.end_amdhsa_kernel
	.section	.text._ZN4vllm38concat_and_cache_mla_rope_fused_kernelIN3c104HalfEfLb1E14__hip_bfloat16hLNS_18Fp8KVCacheDataTypeE1EEEvPKlPT_S8_PKS7_PKT0_illlliPT3_S6_iiiiPKf,"axG",@progbits,_ZN4vllm38concat_and_cache_mla_rope_fused_kernelIN3c104HalfEfLb1E14__hip_bfloat16hLNS_18Fp8KVCacheDataTypeE1EEEvPKlPT_S8_PKS7_PKT0_illlliPT3_S6_iiiiPKf,comdat
.Lfunc_end96:
	.size	_ZN4vllm38concat_and_cache_mla_rope_fused_kernelIN3c104HalfEfLb1E14__hip_bfloat16hLNS_18Fp8KVCacheDataTypeE1EEEvPKlPT_S8_PKS7_PKT0_illlliPT3_S6_iiiiPKf, .Lfunc_end96-_ZN4vllm38concat_and_cache_mla_rope_fused_kernelIN3c104HalfEfLb1E14__hip_bfloat16hLNS_18Fp8KVCacheDataTypeE1EEEvPKlPT_S8_PKS7_PKT0_illlliPT3_S6_iiiiPKf
                                        ; -- End function
	.section	.AMDGPU.csdata,"",@progbits
; Kernel info:
; codeLenInByte = 4444
; NumSgprs: 47
; NumVgprs: 19
; ScratchSize: 0
; MemoryBound: 0
; FloatMode: 240
; IeeeMode: 1
; LDSByteSize: 0 bytes/workgroup (compile time only)
; SGPRBlocks: 5
; VGPRBlocks: 2
; NumSGPRsForWavesPerEU: 47
; NumVGPRsForWavesPerEU: 19
; Occupancy: 16
; WaveLimiterHint : 1
; COMPUTE_PGM_RSRC2:SCRATCH_EN: 0
; COMPUTE_PGM_RSRC2:USER_SGPR: 15
; COMPUTE_PGM_RSRC2:TRAP_HANDLER: 0
; COMPUTE_PGM_RSRC2:TGID_X_EN: 1
; COMPUTE_PGM_RSRC2:TGID_Y_EN: 0
; COMPUTE_PGM_RSRC2:TGID_Z_EN: 0
; COMPUTE_PGM_RSRC2:TIDIG_COMP_CNT: 0
	.section	.text._ZN4vllm38concat_and_cache_mla_rope_fused_kernelIN3c104HalfEfLb0E14__hip_bfloat16hLNS_18Fp8KVCacheDataTypeE1EEEvPKlPT_S8_PKS7_PKT0_illlliPT3_S6_iiiiPKf,"axG",@progbits,_ZN4vllm38concat_and_cache_mla_rope_fused_kernelIN3c104HalfEfLb0E14__hip_bfloat16hLNS_18Fp8KVCacheDataTypeE1EEEvPKlPT_S8_PKS7_PKT0_illlliPT3_S6_iiiiPKf,comdat
	.protected	_ZN4vllm38concat_and_cache_mla_rope_fused_kernelIN3c104HalfEfLb0E14__hip_bfloat16hLNS_18Fp8KVCacheDataTypeE1EEEvPKlPT_S8_PKS7_PKT0_illlliPT3_S6_iiiiPKf ; -- Begin function _ZN4vllm38concat_and_cache_mla_rope_fused_kernelIN3c104HalfEfLb0E14__hip_bfloat16hLNS_18Fp8KVCacheDataTypeE1EEEvPKlPT_S8_PKS7_PKT0_illlliPT3_S6_iiiiPKf
	.globl	_ZN4vllm38concat_and_cache_mla_rope_fused_kernelIN3c104HalfEfLb0E14__hip_bfloat16hLNS_18Fp8KVCacheDataTypeE1EEEvPKlPT_S8_PKS7_PKT0_illlliPT3_S6_iiiiPKf
	.p2align	8
	.type	_ZN4vllm38concat_and_cache_mla_rope_fused_kernelIN3c104HalfEfLb0E14__hip_bfloat16hLNS_18Fp8KVCacheDataTypeE1EEEvPKlPT_S8_PKS7_PKT0_illlliPT3_S6_iiiiPKf,@function
_ZN4vllm38concat_and_cache_mla_rope_fused_kernelIN3c104HalfEfLb0E14__hip_bfloat16hLNS_18Fp8KVCacheDataTypeE1EEEvPKlPT_S8_PKS7_PKT0_illlliPT3_S6_iiiiPKf: ; @_ZN4vllm38concat_and_cache_mla_rope_fused_kernelIN3c104HalfEfLb0E14__hip_bfloat16hLNS_18Fp8KVCacheDataTypeE1EEEvPKlPT_S8_PKS7_PKT0_illlliPT3_S6_iiiiPKf
; %bb.0:
	s_load_b64 s[4:5], s[0:1], 0x60
	s_mov_b32 s16, s15
	s_mov_b32 s17, 0
	s_delay_alu instid0(SALU_CYCLE_1)
	s_lshl_b64 s[2:3], s[16:17], 3
	s_waitcnt lgkmcnt(0)
	s_add_u32 s4, s4, s2
	s_addc_u32 s5, s5, s3
	s_load_b64 s[26:27], s[4:5], 0x0
	s_waitcnt lgkmcnt(0)
	v_cmp_lt_i64_e64 s4, s[26:27], 0
	s_delay_alu instid0(VALU_DEP_1)
	s_and_b32 vcc_lo, exec_lo, s4
	s_cbranch_vccnz .LBB97_67
; %bb.1:
	s_clause 0x3
	s_load_b32 s21, s[0:1], 0x28
	s_load_b64 s[4:5], s[0:1], 0x0
	s_load_b128 s[12:15], s[0:1], 0x10
	s_load_b32 s17, s[0:1], 0x50
	v_lshlrev_b32_e32 v3, 1, v0
	s_waitcnt lgkmcnt(0)
	s_ashr_i32 s24, s21, 31
	s_add_u32 s2, s4, s2
	s_addc_u32 s3, s5, s3
	s_lshr_b32 s20, s21, 31
	s_load_b64 s[22:23], s[2:3], 0x0
	s_clause 0x2
	s_load_b64 s[2:3], s[0:1], 0x20
	s_load_b64 s[18:19], s[0:1], 0x58
	s_load_b256 s[4:11], s[0:1], 0x30
	s_add_i32 s20, s21, s20
	s_delay_alu instid0(SALU_CYCLE_1) | instskip(NEXT) | instid1(SALU_CYCLE_1)
	s_ashr_i32 s20, s20, 1
	s_mul_i32 s17, s20, s17
	s_waitcnt lgkmcnt(0)
	s_mul_i32 s24, s22, s24
	s_mul_hi_u32 s25, s22, s21
	s_mul_i32 s23, s23, s21
	s_add_i32 s24, s25, s24
	s_mul_i32 s28, s22, s21
	s_add_i32 s29, s24, s23
	s_mov_b32 s22, exec_lo
	v_cmpx_gt_i32_e64 s17, v0
	s_cbranch_execz .LBB97_4
; %bb.2:
	s_clause 0x1
	s_load_b64 s[30:31], s[0:1], 0x8
	s_load_b32 s34, s[0:1], 0x8c
	s_lshl_b64 s[24:25], s[28:29], 2
	s_mul_i32 s5, s16, s5
	s_mul_hi_u32 s21, s16, s4
	s_add_u32 s23, s2, s24
	s_mul_i32 s4, s16, s4
	s_addc_u32 s24, s3, s25
	s_add_i32 s5, s21, s5
	s_ashr_i32 s21, s20, 31
	s_lshl_b64 s[4:5], s[4:5], 1
	s_mov_b32 s33, 0
	s_waitcnt lgkmcnt(0)
	s_add_u32 s25, s30, s4
	s_addc_u32 s30, s31, s5
	s_abs_i32 s31, s20
	s_and_b32 s34, s34, 0xffff
	v_cvt_f32_u32_e32 v1, s31
	s_sub_i32 s4, 0, s31
	s_sub_i32 s35, 0, s20
	s_lshl_b32 s37, s34, 1
	s_delay_alu instid0(VALU_DEP_1) | instskip(SKIP_2) | instid1(VALU_DEP_1)
	v_rcp_iflag_f32_e32 v1, v1
	s_waitcnt_depctr 0xfff
	v_mul_f32_e32 v1, 0x4f7ffffe, v1
	v_cvt_u32_f32_e32 v2, v1
	s_delay_alu instid0(VALU_DEP_1) | instskip(SKIP_1) | instid1(SALU_CYCLE_1)
	v_mul_lo_u32 v1, s4, v2
	s_lshl_b32 s4, s20, 1
	s_sub_i32 s36, 0, s4
	s_lshl_b64 s[4:5], s[20:21], 2
	s_delay_alu instid0(VALU_DEP_1) | instskip(NEXT) | instid1(VALU_DEP_1)
	v_mul_hi_u32 v4, v2, v1
	v_dual_mov_b32 v1, v3 :: v_dual_add_nc_u32 v4, v2, v4
	v_mov_b32_e32 v2, v0
.LBB97_3:                               ; =>This Inner Loop Header: Depth=1
	s_delay_alu instid0(VALU_DEP_1) | instskip(SKIP_1) | instid1(VALU_DEP_2)
	v_sub_nc_u32_e32 v5, 0, v2
	v_ashrrev_i32_e32 v6, 31, v2
	v_max_i32_e32 v5, v2, v5
	s_delay_alu instid0(VALU_DEP_2) | instskip(NEXT) | instid1(VALU_DEP_2)
	v_xor_b32_e32 v6, s21, v6
	v_mul_hi_u32 v7, v5, v4
	s_delay_alu instid0(VALU_DEP_1) | instskip(SKIP_1) | instid1(VALU_DEP_2)
	v_mul_lo_u32 v8, v7, s31
	v_add_nc_u32_e32 v9, 1, v7
	v_sub_nc_u32_e32 v5, v5, v8
	s_delay_alu instid0(VALU_DEP_1) | instskip(SKIP_1) | instid1(VALU_DEP_4)
	v_subrev_nc_u32_e32 v8, s31, v5
	v_cmp_le_u32_e32 vcc_lo, s31, v5
	v_cndmask_b32_e32 v7, v7, v9, vcc_lo
	s_delay_alu instid0(VALU_DEP_1) | instskip(NEXT) | instid1(VALU_DEP_1)
	v_dual_cndmask_b32 v5, v5, v8 :: v_dual_add_nc_u32 v8, 1, v7
	v_cmp_le_u32_e32 vcc_lo, s31, v5
	s_delay_alu instid0(VALU_DEP_2) | instskip(NEXT) | instid1(VALU_DEP_1)
	v_cndmask_b32_e32 v5, v7, v8, vcc_lo
	v_xor_b32_e32 v5, v5, v6
	s_delay_alu instid0(VALU_DEP_1) | instskip(NEXT) | instid1(VALU_DEP_1)
	v_sub_nc_u32_e32 v11, v5, v6
	v_mad_u64_u32 v[5:6], null, s35, v11, v[2:3]
	v_ashrrev_i32_e32 v6, 31, v11
	v_mul_lo_u32 v12, v11, s7
	v_mad_u64_u32 v[7:8], null, v11, s6, 0
	v_mad_u64_u32 v[9:10], null, s36, v11, v[1:2]
	s_delay_alu instid0(VALU_DEP_4) | instskip(SKIP_3) | instid1(VALU_DEP_3)
	v_mul_lo_u32 v11, v6, s6
	v_ashrrev_i32_e32 v6, 31, v5
	v_add_nc_u32_e32 v2, s34, v2
	v_add_nc_u32_e32 v1, s37, v1
	v_lshlrev_b64 v[5:6], 2, v[5:6]
	v_ashrrev_i32_e32 v10, 31, v9
	v_add3_u32 v8, v8, v12, v11
	s_delay_alu instid0(VALU_DEP_3) | instskip(NEXT) | instid1(VALU_DEP_2)
	v_add_co_u32 v5, vcc_lo, s23, v5
	v_lshlrev_b64 v[7:8], 1, v[7:8]
	v_add_co_ci_u32_e32 v6, vcc_lo, s24, v6, vcc_lo
	v_lshlrev_b64 v[9:10], 1, v[9:10]
	s_delay_alu instid0(VALU_DEP_3) | instskip(NEXT) | instid1(VALU_DEP_4)
	v_add_co_u32 v11, vcc_lo, s25, v7
	v_add_co_ci_u32_e32 v12, vcc_lo, s30, v8, vcc_lo
	v_add_co_u32 v7, vcc_lo, v5, s4
	v_add_co_ci_u32_e32 v8, vcc_lo, s5, v6, vcc_lo
	s_delay_alu instid0(VALU_DEP_4) | instskip(NEXT) | instid1(VALU_DEP_4)
	v_add_co_u32 v9, vcc_lo, v11, v9
	v_add_co_ci_u32_e32 v10, vcc_lo, v12, v10, vcc_lo
	s_clause 0x1
	global_load_b32 v5, v[5:6], off
	global_load_b32 v6, v[7:8], off
	;; [unrolled: 1-line block ×3, first 2 shown]
	v_cmp_le_i32_e32 vcc_lo, s17, v2
	s_or_b32 s33, vcc_lo, s33
	s_waitcnt vmcnt(2)
	v_cvt_f16_f32_e32 v5, v5
	s_waitcnt vmcnt(1)
	v_cvt_f16_f32_e32 v6, v6
	s_waitcnt vmcnt(0)
	v_lshrrev_b32_e32 v8, 16, v7
	s_delay_alu instid0(VALU_DEP_1) | instskip(SKIP_1) | instid1(VALU_DEP_2)
	v_mul_f16_e32 v11, v8, v6
	v_mul_f16_e32 v8, v8, v5
	v_fma_f16 v5, v7, v5, -v11
	s_delay_alu instid0(VALU_DEP_2) | instskip(NEXT) | instid1(VALU_DEP_1)
	v_fmac_f16_e32 v8, v7, v6
	v_pack_b32_f16 v5, v5, v8
	global_store_b32 v[9:10], v5, off
	s_and_not1_b32 exec_lo, exec_lo, s33
	s_cbranch_execnz .LBB97_3
.LBB97_4:
	s_or_b32 exec_lo, exec_lo, s22
	s_load_b128 s[4:7], s[0:1], 0x68
	s_waitcnt lgkmcnt(0)
	s_ashr_i32 s31, s7, 31
	s_mov_b32 s30, s7
	s_delay_alu instid0(SALU_CYCLE_1) | instskip(SKIP_1) | instid1(SALU_CYCLE_1)
	s_or_b64 s[24:25], s[26:27], s[30:31]
	s_mov_b32 s24, 0
	s_cmp_lg_u64 s[24:25], 0
	s_cbranch_scc0 .LBB97_68
; %bb.5:
	s_add_u32 s34, s30, s31
	s_mov_b32 s22, s31
	s_mov_b32 s23, s31
	s_addc_u32 s35, s31, s31
	s_delay_alu instid0(SALU_CYCLE_1) | instskip(NEXT) | instid1(SALU_CYCLE_1)
	s_xor_b64 s[34:35], s[34:35], s[22:23]
	v_cvt_f32_u32_e32 v1, s34
	v_cvt_f32_u32_e32 v2, s35
	s_sub_u32 s21, 0, s34
	s_subb_u32 s25, 0, s35
	s_delay_alu instid0(VALU_DEP_1) | instskip(NEXT) | instid1(VALU_DEP_1)
	v_fmamk_f32 v1, v2, 0x4f800000, v1
	v_rcp_f32_e32 v1, v1
	s_waitcnt_depctr 0xfff
	v_mul_f32_e32 v1, 0x5f7ffffc, v1
	s_delay_alu instid0(VALU_DEP_1) | instskip(NEXT) | instid1(VALU_DEP_1)
	v_mul_f32_e32 v2, 0x2f800000, v1
	v_trunc_f32_e32 v2, v2
	s_delay_alu instid0(VALU_DEP_1) | instskip(SKIP_1) | instid1(VALU_DEP_2)
	v_fmamk_f32 v1, v2, 0xcf800000, v1
	v_cvt_u32_f32_e32 v2, v2
	v_cvt_u32_f32_e32 v1, v1
	s_delay_alu instid0(VALU_DEP_2) | instskip(NEXT) | instid1(VALU_DEP_2)
	v_readfirstlane_b32 s7, v2
	v_readfirstlane_b32 s17, v1
	s_delay_alu instid0(VALU_DEP_2) | instskip(NEXT) | instid1(VALU_DEP_1)
	s_mul_i32 s33, s21, s7
	s_mul_hi_u32 s37, s21, s17
	s_mul_i32 s36, s25, s17
	s_add_i32 s33, s37, s33
	s_mul_i32 s38, s21, s17
	s_add_i32 s33, s33, s36
	s_mul_hi_u32 s37, s17, s38
	s_mul_hi_u32 s39, s7, s38
	s_mul_i32 s36, s7, s38
	s_mul_hi_u32 s38, s17, s33
	s_mul_i32 s17, s17, s33
	s_mul_hi_u32 s40, s7, s33
	s_add_u32 s17, s37, s17
	s_addc_u32 s37, 0, s38
	s_add_u32 s17, s17, s36
	s_mul_i32 s33, s7, s33
	s_addc_u32 s17, s37, s39
	s_addc_u32 s36, s40, 0
	s_add_u32 s17, s17, s33
	s_addc_u32 s33, 0, s36
	v_add_co_u32 v1, s17, v1, s17
	s_delay_alu instid0(VALU_DEP_1) | instskip(SKIP_1) | instid1(VALU_DEP_1)
	s_cmp_lg_u32 s17, 0
	s_addc_u32 s7, s7, s33
	v_readfirstlane_b32 s17, v1
	s_mul_i32 s33, s21, s7
	s_delay_alu instid0(VALU_DEP_1)
	s_mul_hi_u32 s36, s21, s17
	s_mul_i32 s25, s25, s17
	s_add_i32 s33, s36, s33
	s_mul_i32 s21, s21, s17
	s_add_i32 s33, s33, s25
	s_mul_hi_u32 s36, s7, s21
	s_mul_i32 s37, s7, s21
	s_mul_hi_u32 s21, s17, s21
	s_mul_hi_u32 s38, s17, s33
	s_mul_i32 s17, s17, s33
	s_mul_hi_u32 s25, s7, s33
	s_add_u32 s17, s21, s17
	s_addc_u32 s21, 0, s38
	s_add_u32 s17, s17, s37
	s_mul_i32 s33, s7, s33
	s_addc_u32 s17, s21, s36
	s_addc_u32 s21, s25, 0
	s_add_u32 s17, s17, s33
	s_addc_u32 s21, 0, s21
	v_add_co_u32 v1, s17, v1, s17
	s_delay_alu instid0(VALU_DEP_1) | instskip(SKIP_2) | instid1(VALU_DEP_1)
	s_cmp_lg_u32 s17, 0
	s_addc_u32 s7, s7, s21
	s_ashr_i32 s36, s27, 31
	v_readfirstlane_b32 s17, v1
	s_add_u32 s38, s26, s36
	s_mov_b32 s37, s36
	s_addc_u32 s39, s27, s36
	s_delay_alu instid0(SALU_CYCLE_1) | instskip(NEXT) | instid1(SALU_CYCLE_1)
	s_xor_b64 s[38:39], s[38:39], s[36:37]
	s_mul_i32 s25, s38, s7
	s_mul_hi_u32 s33, s38, s17
	s_mul_hi_u32 s21, s38, s7
	;; [unrolled: 1-line block ×3, first 2 shown]
	s_mul_i32 s17, s39, s17
	s_add_u32 s25, s33, s25
	s_addc_u32 s21, 0, s21
	s_mul_hi_u32 s40, s39, s7
	s_add_u32 s17, s25, s17
	s_mul_i32 s7, s39, s7
	s_addc_u32 s17, s21, s41
	s_addc_u32 s21, s40, 0
	s_add_u32 s7, s17, s7
	s_addc_u32 s17, 0, s21
	s_mul_hi_u32 s21, s34, s7
	s_mul_i32 s33, s34, s17
	s_mul_i32 s40, s34, s7
	s_add_i32 s21, s21, s33
	v_sub_co_u32 v1, s33, s38, s40
	s_mul_i32 s25, s35, s7
	s_delay_alu instid0(SALU_CYCLE_1) | instskip(NEXT) | instid1(VALU_DEP_1)
	s_add_i32 s21, s21, s25
	v_sub_co_u32 v2, s38, v1, s34
	s_sub_i32 s25, s39, s21
	s_cmp_lg_u32 s33, 0
	s_subb_u32 s25, s25, s35
	s_cmp_lg_u32 s38, 0
	v_readfirstlane_b32 s38, v2
	s_subb_u32 s25, s25, 0
	s_delay_alu instid0(SALU_CYCLE_1) | instskip(SKIP_1) | instid1(VALU_DEP_1)
	s_cmp_ge_u32 s25, s35
	s_cselect_b32 s40, -1, 0
	s_cmp_ge_u32 s38, s34
	s_cselect_b32 s38, -1, 0
	s_cmp_eq_u32 s25, s35
	s_cselect_b32 s25, s38, s40
	s_add_u32 s38, s7, 1
	s_addc_u32 s40, s17, 0
	s_add_u32 s41, s7, 2
	s_addc_u32 s42, s17, 0
	s_cmp_lg_u32 s25, 0
	s_cselect_b32 s25, s41, s38
	s_cselect_b32 s38, s42, s40
	s_cmp_lg_u32 s33, 0
	v_readfirstlane_b32 s33, v1
	s_subb_u32 s21, s39, s21
	s_delay_alu instid0(SALU_CYCLE_1) | instskip(SKIP_1) | instid1(VALU_DEP_1)
	s_cmp_ge_u32 s21, s35
	s_cselect_b32 s39, -1, 0
	s_cmp_ge_u32 s33, s34
	s_cselect_b32 s33, -1, 0
	s_cmp_eq_u32 s21, s35
	s_cselect_b32 s21, s33, s39
	s_delay_alu instid0(SALU_CYCLE_1) | instskip(SKIP_3) | instid1(SALU_CYCLE_1)
	s_cmp_lg_u32 s21, 0
	s_cselect_b32 s35, s38, s17
	s_cselect_b32 s34, s25, s7
	s_xor_b64 s[22:23], s[36:37], s[22:23]
	s_xor_b64 s[34:35], s[34:35], s[22:23]
	s_delay_alu instid0(SALU_CYCLE_1)
	s_sub_u32 s22, s34, s22
	s_subb_u32 s23, s35, s23
	s_and_not1_b32 vcc_lo, exec_lo, s24
	s_cbranch_vccnz .LBB97_7
.LBB97_6:
	v_cvt_f32_u32_e32 v1, s30
	s_sub_i32 s17, 0, s30
	s_mov_b32 s23, 0
	s_delay_alu instid0(VALU_DEP_1) | instskip(SKIP_2) | instid1(VALU_DEP_1)
	v_rcp_iflag_f32_e32 v1, v1
	s_waitcnt_depctr 0xfff
	v_mul_f32_e32 v1, 0x4f7ffffe, v1
	v_cvt_u32_f32_e32 v1, v1
	s_delay_alu instid0(VALU_DEP_1) | instskip(NEXT) | instid1(VALU_DEP_1)
	v_readfirstlane_b32 s7, v1
	s_mul_i32 s17, s17, s7
	s_delay_alu instid0(SALU_CYCLE_1) | instskip(NEXT) | instid1(SALU_CYCLE_1)
	s_mul_hi_u32 s17, s7, s17
	s_add_i32 s7, s7, s17
	s_delay_alu instid0(SALU_CYCLE_1) | instskip(NEXT) | instid1(SALU_CYCLE_1)
	s_mul_hi_u32 s7, s26, s7
	s_mul_i32 s17, s7, s30
	s_add_i32 s21, s7, 1
	s_sub_i32 s17, s26, s17
	s_delay_alu instid0(SALU_CYCLE_1)
	s_sub_i32 s22, s17, s30
	s_cmp_ge_u32 s17, s30
	s_cselect_b32 s7, s21, s7
	s_cselect_b32 s17, s22, s17
	s_add_i32 s21, s7, 1
	s_cmp_ge_u32 s17, s30
	s_cselect_b32 s22, s21, s7
.LBB97_7:
	s_load_b64 s[24:25], s[0:1], 0x78
	s_mul_i32 s7, s22, s31
	s_mul_hi_u32 s17, s22, s30
	s_mul_i32 s21, s22, s30
	s_add_i32 s7, s17, s7
	s_mul_i32 s17, s23, s30
	s_mul_i32 s30, s23, s4
	s_add_i32 s17, s7, s17
	s_sub_u32 s7, s26, s21
	s_subb_u32 s17, s27, s17
	s_mul_hi_u32 s27, s22, s4
	s_mul_i32 s31, s22, s4
	s_mul_hi_u32 s26, s7, s5
	s_mul_i32 s17, s17, s5
	s_mul_i32 s23, s7, s5
	s_mov_b32 s33, exec_lo
	v_cmpx_gt_i32_e64 s20, v0
	s_cbranch_execz .LBB97_46
; %bb.8:
	s_load_b32 s35, s[0:1], 0x8c
	s_ashr_i32 s38, s4, 31
	s_ashr_i32 s39, s5, 31
	s_lshl_b64 s[36:37], s[28:29], 2
	s_mul_i32 s28, s22, s38
	s_mul_i32 s29, s7, s39
	v_dual_mov_b32 v15, v0 :: v_dual_lshlrev_b32 v4, 2, v0
	s_add_i32 s28, s27, s28
	s_add_i32 s29, s26, s29
	s_ashr_i32 s21, s20, 31
	s_ashr_i32 s40, s6, 31
	s_add_i32 s38, s28, s30
	s_add_i32 s29, s29, s17
	s_waitcnt lgkmcnt(0)
	s_load_b32 s34, s[24:25], 0x0
	s_mul_i32 s9, s9, s16
	s_and_b32 s28, s35, 0xffff
	s_add_u32 s2, s2, s36
	s_addc_u32 s35, s3, s37
	s_lshl_b32 s3, s28, 2
	s_lshl_b64 s[36:37], s[20:21], 2
	v_add_co_u32 v9, s2, s2, v4
	s_add_u32 s21, s31, s23
	v_add_co_ci_u32_e64 v10, null, s35, 0, s2
	s_addc_u32 s2, s38, s29
	s_add_u32 s29, s18, s6
	s_addc_u32 s35, s19, s40
	s_add_u32 s21, s29, s21
	s_mul_hi_u32 s29, s8, s16
	s_addc_u32 s2, s35, s2
	s_add_i32 s9, s29, s9
	s_mul_i32 s8, s8, s16
	v_add_co_u32 v1, s21, s21, v3
	s_lshl_b64 s[8:9], s[8:9], 1
	v_add_co_u32 v11, vcc_lo, v9, s36
	v_add_co_ci_u32_e64 v2, null, s2, 0, s21
	s_lshl_b32 s21, s28, 1
	s_add_u32 s2, s12, s8
	v_add_co_ci_u32_e32 v12, vcc_lo, s37, v10, vcc_lo
	v_add_co_u32 v1, vcc_lo, v1, 1
	s_addc_u32 s8, s13, s9
	v_add_co_u32 v13, s2, s2, v4
	v_add_co_ci_u32_e32 v2, vcc_lo, 0, v2, vcc_lo
	v_add_co_ci_u32_e64 v14, null, s8, 0, s2
	v_mov_b32_e32 v4, 0
	s_mov_b32 s12, 0
	s_mov_b64 s[8:9], 0
	s_branch .LBB97_10
.LBB97_9:                               ;   in Loop: Header=BB97_10 Depth=1
	s_or_b32 exec_lo, exec_lo, s2
	v_add_nc_u32_e32 v15, s28, v15
	global_store_b8 v[1:2], v7, off
	v_add_co_u32 v1, s2, v1, s21
	s_delay_alu instid0(VALU_DEP_1) | instskip(SKIP_4) | instid1(SALU_CYCLE_1)
	v_add_co_ci_u32_e64 v2, s2, 0, v2, s2
	v_cmp_le_i32_e32 vcc_lo, s20, v15
	s_add_u32 s8, s8, s3
	s_addc_u32 s9, s9, 0
	s_or_b32 s12, vcc_lo, s12
	s_and_not1_b32 exec_lo, exec_lo, s12
	s_cbranch_execz .LBB97_46
.LBB97_10:                              ; =>This Inner Loop Header: Depth=1
	v_add_co_u32 v5, vcc_lo, v11, s8
	v_add_co_ci_u32_e32 v6, vcc_lo, s9, v12, vcc_lo
	v_add_co_u32 v18, vcc_lo, v13, s8
	v_add_co_ci_u32_e32 v19, vcc_lo, s9, v14, vcc_lo
	;; [unrolled: 2-line block ×3, first 2 shown]
	global_load_b32 v3, v[5:6], off
	global_load_b32 v6, v[18:19], off
	;; [unrolled: 1-line block ×3, first 2 shown]
	s_mov_b32 s2, exec_lo
	s_waitcnt vmcnt(2)
	v_cvt_f16_f32_e32 v3, v3
	s_waitcnt vmcnt(1)
	v_lshrrev_b32_e32 v7, 16, v6
	s_waitcnt vmcnt(0)
	v_cvt_f16_f32_e32 v8, v5
	s_delay_alu instid0(VALU_DEP_2) | instskip(NEXT) | instid1(VALU_DEP_1)
	v_mul_f16_e32 v5, v7, v3
	v_fma_f16 v22, v6, v8, -v5
	s_delay_alu instid0(VALU_DEP_1) | instskip(SKIP_1) | instid1(VALU_DEP_1)
	v_lshlrev_b32_e32 v5, 16, v22
	s_waitcnt lgkmcnt(0)
	v_div_scale_f32 v16, null, s34, s34, v5
	s_delay_alu instid0(VALU_DEP_1) | instskip(SKIP_2) | instid1(VALU_DEP_1)
	v_rcp_f32_e32 v17, v16
	s_waitcnt_depctr 0xfff
	v_fma_f32 v20, -v16, v17, 1.0
	v_fmac_f32_e32 v17, v20, v17
	v_div_scale_f32 v20, vcc_lo, v5, s34, v5
	s_delay_alu instid0(VALU_DEP_1) | instskip(NEXT) | instid1(VALU_DEP_1)
	v_mul_f32_e32 v21, v20, v17
	v_fma_f32 v23, -v16, v21, v20
	s_delay_alu instid0(VALU_DEP_1) | instskip(NEXT) | instid1(VALU_DEP_1)
	v_fmac_f32_e32 v21, v23, v17
	v_fma_f32 v16, -v16, v21, v20
	s_delay_alu instid0(VALU_DEP_1) | instskip(SKIP_1) | instid1(VALU_DEP_2)
	v_div_fmas_f32 v16, v16, v17, v21
	v_mov_b32_e32 v21, v4
	v_div_fixup_f32 v5, v16, s34, v5
	v_mul_f16_e32 v16, v7, v8
	s_delay_alu instid0(VALU_DEP_2) | instskip(NEXT) | instid1(VALU_DEP_2)
	v_lshrrev_b32_e32 v7, 24, v5
	v_fmac_f16_e32 v16, v6, v3
	v_and_b32_e32 v20, 0x7f800000, v5
	v_and_b32_e32 v3, 0x7fffff, v5
	s_delay_alu instid0(VALU_DEP_4) | instskip(NEXT) | instid1(VALU_DEP_4)
	v_and_b32_e32 v17, 0x80, v7
	v_pack_b32_f16 v8, v22, v16
	s_delay_alu instid0(VALU_DEP_2)
	v_or_b32_e32 v6, 0x7e, v17
	global_store_b32 v[18:19], v8, off
	v_cmpx_ne_u64_e32 0x7f800000, v[20:21]
	s_xor_b32 s13, exec_lo, s2
	s_cbranch_execz .LBB97_26
; %bb.11:                               ;   in Loop: Header=BB97_10 Depth=1
	v_dual_mov_b32 v8, v4 :: v_dual_and_b32 v7, 0x7fffffff, v5
	s_mov_b32 s2, exec_lo
	s_delay_alu instid0(VALU_DEP_1)
	v_cmpx_gt_u64_e32 0x43e00001, v[7:8]
	s_xor_b32 s29, exec_lo, s2
	s_cbranch_execz .LBB97_25
; %bb.12:                               ;   in Loop: Header=BB97_10 Depth=1
	v_mov_b32_e32 v6, 0
	s_mov_b32 s35, exec_lo
	v_cmpx_ne_u32_e32 0, v5
	s_cbranch_execz .LBB97_24
; %bb.13:                               ;   in Loop: Header=BB97_10 Depth=1
	v_bfe_u32 v18, v5, 23, 8
	v_or_b32_e32 v7, 0x800000, v3
	s_delay_alu instid0(VALU_DEP_2) | instskip(SKIP_1) | instid1(VALU_DEP_2)
	v_sub_nc_u32_e32 v5, 0x79, v18
	v_cmp_gt_u32_e32 vcc_lo, 0x7a, v18
	v_cndmask_b32_e32 v5, 0, v5, vcc_lo
	v_cmp_eq_u32_e32 vcc_lo, 0, v18
	s_delay_alu instid0(VALU_DEP_2) | instskip(SKIP_1) | instid1(VALU_DEP_2)
	v_cndmask_b32_e64 v19, v5, 0x78, vcc_lo
	v_cndmask_b32_e32 v3, v7, v3, vcc_lo
	v_add_nc_u32_e32 v5, 20, v19
	v_add_nc_u32_e32 v7, 19, v19
	s_delay_alu instid0(VALU_DEP_2) | instskip(NEXT) | instid1(VALU_DEP_2)
	v_lshlrev_b64 v[5:6], v5, -1
	v_lshlrev_b64 v[7:8], v7, 1
	s_delay_alu instid0(VALU_DEP_2) | instskip(NEXT) | instid1(VALU_DEP_3)
	v_not_b32_e32 v6, v6
	v_not_b32_e32 v5, v5
	s_delay_alu instid0(VALU_DEP_2) | instskip(NEXT) | instid1(VALU_DEP_2)
	v_and_b32_e32 v21, 0, v6
	v_and_b32_e32 v20, v3, v5
	v_lshrrev_b64 v[5:6], v19, v[3:4]
	s_delay_alu instid0(VALU_DEP_2) | instskip(NEXT) | instid1(VALU_DEP_2)
	v_cmp_eq_u64_e64 s2, v[20:21], v[7:8]
	v_dual_mov_b32 v8, v6 :: v_dual_mov_b32 v7, v5
	s_delay_alu instid0(VALU_DEP_2)
	s_and_saveexec_b32 s36, s2
; %bb.14:                               ;   in Loop: Header=BB97_10 Depth=1
	v_bfe_u32 v3, v5, 20, 1
	s_delay_alu instid0(VALU_DEP_1) | instskip(NEXT) | instid1(VALU_DEP_1)
	v_add_co_u32 v3, s2, v5, v3
	v_add_co_u32 v7, s2, v3, -1
; %bb.15:                               ;   in Loop: Header=BB97_10 Depth=1
	s_or_b32 exec_lo, exec_lo, s36
	v_add_nc_u32_e32 v3, 0xffffff81, v18
	v_lshrrev_b32_e32 v8, 23, v5
	s_mov_b32 s2, exec_lo
	s_delay_alu instid0(VALU_DEP_2) | instskip(NEXT) | instid1(VALU_DEP_1)
	v_cndmask_b32_e64 v3, v3, 0xffffff82, vcc_lo
	v_add3_u32 v8, v19, v3, v8
	v_and_b32_e32 v3, 0xfffff, v7
	s_delay_alu instid0(VALU_DEP_2) | instskip(NEXT) | instid1(VALU_DEP_2)
	v_add_nc_u32_e32 v7, 6, v8
	v_add_co_u32 v5, vcc_lo, v3, v5
	v_add_co_ci_u32_e32 v6, vcc_lo, 0, v6, vcc_lo
                                        ; implicit-def: $vgpr3
	s_delay_alu instid0(VALU_DEP_3)
	v_cmpx_ne_u32_e32 0, v7
	s_xor_b32 s2, exec_lo, s2
; %bb.16:                               ;   in Loop: Header=BB97_10 Depth=1
	s_delay_alu instid0(VALU_DEP_2) | instskip(SKIP_1) | instid1(VALU_DEP_1)
	v_cmp_lt_u64_e32 vcc_lo, 0xffffff, v[5:6]
	v_add_nc_u32_e32 v3, 7, v8
	v_cndmask_b32_e32 v3, v7, v3, vcc_lo
	v_cndmask_b32_e64 v7, 0, 1, vcc_lo
	s_delay_alu instid0(VALU_DEP_1)
	v_lshrrev_b64 v[5:6], v7, v[5:6]
; %bb.17:                               ;   in Loop: Header=BB97_10 Depth=1
	s_and_not1_saveexec_b32 s2, s2
; %bb.18:                               ;   in Loop: Header=BB97_10 Depth=1
	s_delay_alu instid0(VALU_DEP_1)
	v_bfe_u32 v3, v5, 23, 1
; %bb.19:                               ;   in Loop: Header=BB97_10 Depth=1
	s_or_b32 exec_lo, exec_lo, s2
	s_delay_alu instid0(VALU_DEP_2) | instskip(NEXT) | instid1(VALU_DEP_2)
	v_lshrrev_b64 v[5:6], 20, v[5:6]
	v_cmp_gt_i32_e32 vcc_lo, 16, v3
	v_cmp_ne_u32_e64 s2, 0, v3
	s_delay_alu instid0(VALU_DEP_3) | instskip(NEXT) | instid1(VALU_DEP_1)
	v_dual_cndmask_b32 v6, 0, v6 :: v_dual_cndmask_b32 v5, 7, v5
	v_cmp_ne_u64_e32 vcc_lo, 0, v[5:6]
                                        ; implicit-def: $vgpr6
	s_delay_alu instid0(VALU_DEP_3) | instskip(NEXT) | instid1(SALU_CYCLE_1)
	s_or_b32 s2, s2, vcc_lo
	s_and_saveexec_b32 s36, s2
	s_delay_alu instid0(SALU_CYCLE_1)
	s_xor_b32 s2, exec_lo, s36
; %bb.20:                               ;   in Loop: Header=BB97_10 Depth=1
	v_min_i32_e32 v3, 15, v3
	s_delay_alu instid0(VALU_DEP_1) | instskip(NEXT) | instid1(VALU_DEP_1)
	v_lshl_or_b32 v3, v3, 3, v17
                                        ; implicit-def: $vgpr17
	v_and_or_b32 v6, v5, 7, v3
; %bb.21:                               ;   in Loop: Header=BB97_10 Depth=1
	s_and_not1_saveexec_b32 s2, s2
; %bb.22:                               ;   in Loop: Header=BB97_10 Depth=1
	v_mov_b32_e32 v6, v17
; %bb.23:                               ;   in Loop: Header=BB97_10 Depth=1
	s_or_b32 exec_lo, exec_lo, s2
.LBB97_24:                              ;   in Loop: Header=BB97_10 Depth=1
	s_delay_alu instid0(SALU_CYCLE_1)
	s_or_b32 exec_lo, exec_lo, s35
.LBB97_25:                              ;   in Loop: Header=BB97_10 Depth=1
	s_and_not1_saveexec_b32 s2, s29
	s_delay_alu instid0(SALU_CYCLE_1)
	s_or_b32 exec_lo, exec_lo, s2
                                        ; implicit-def: $vgpr7
.LBB97_26:                              ;   in Loop: Header=BB97_10 Depth=1
	s_and_not1_saveexec_b32 s2, s13
; %bb.27:                               ;   in Loop: Header=BB97_10 Depth=1
	v_cmp_eq_u64_e32 vcc_lo, 0, v[3:4]
	v_or_b32_e32 v5, 0x7f, v7
	s_delay_alu instid0(VALU_DEP_1)
	v_cndmask_b32_e32 v6, v5, v6, vcc_lo
; %bb.28:                               ;   in Loop: Header=BB97_10 Depth=1
	s_or_b32 exec_lo, exec_lo, s2
	v_lshlrev_b32_e32 v3, 16, v16
	global_store_b8 v[1:2], v6, off offset:-1
	s_mov_b32 s2, exec_lo
	v_div_scale_f32 v5, null, s34, s34, v3
	s_delay_alu instid0(VALU_DEP_1) | instskip(SKIP_2) | instid1(VALU_DEP_1)
	v_rcp_f32_e32 v7, v5
	s_waitcnt_depctr 0xfff
	v_fma_f32 v8, -v5, v7, 1.0
	v_fmac_f32_e32 v7, v8, v7
	v_div_scale_f32 v8, vcc_lo, v3, s34, v3
	s_delay_alu instid0(VALU_DEP_1) | instskip(NEXT) | instid1(VALU_DEP_1)
	v_mul_f32_e32 v16, v8, v7
	v_fma_f32 v17, -v5, v16, v8
	s_delay_alu instid0(VALU_DEP_1) | instskip(NEXT) | instid1(VALU_DEP_1)
	v_fmac_f32_e32 v16, v17, v7
	v_fma_f32 v5, -v5, v16, v8
	s_delay_alu instid0(VALU_DEP_1) | instskip(NEXT) | instid1(VALU_DEP_1)
	v_div_fmas_f32 v5, v5, v7, v16
	v_div_fixup_f32 v5, v5, s34, v3
	s_delay_alu instid0(VALU_DEP_1) | instskip(SKIP_2) | instid1(VALU_DEP_2)
	v_dual_mov_b32 v18, v4 :: v_dual_and_b32 v3, 0x7fffff, v5
	v_lshrrev_b32_e32 v8, 24, v5
	v_and_b32_e32 v17, 0x7f800000, v5
	v_and_b32_e32 v16, 0x80, v8
	s_delay_alu instid0(VALU_DEP_1) | instskip(NEXT) | instid1(VALU_DEP_3)
	v_or_b32_e32 v7, 0x7e, v16
	v_cmpx_ne_u64_e32 0x7f800000, v[17:18]
	s_xor_b32 s13, exec_lo, s2
	s_cbranch_execz .LBB97_44
; %bb.29:                               ;   in Loop: Header=BB97_10 Depth=1
	v_dual_mov_b32 v18, v4 :: v_dual_and_b32 v17, 0x7fffffff, v5
	s_mov_b32 s2, exec_lo
	s_delay_alu instid0(VALU_DEP_1)
	v_cmpx_gt_u64_e32 0x43e00001, v[17:18]
	s_xor_b32 s29, exec_lo, s2
	s_cbranch_execz .LBB97_43
; %bb.30:                               ;   in Loop: Header=BB97_10 Depth=1
	v_mov_b32_e32 v7, 0
	s_mov_b32 s35, exec_lo
	v_cmpx_ne_u32_e32 0, v5
	s_cbranch_execz .LBB97_42
; %bb.31:                               ;   in Loop: Header=BB97_10 Depth=1
	v_bfe_u32 v17, v5, 23, 8
	v_or_b32_e32 v7, 0x800000, v3
	s_delay_alu instid0(VALU_DEP_2) | instskip(SKIP_1) | instid1(VALU_DEP_2)
	v_sub_nc_u32_e32 v5, 0x79, v17
	v_cmp_gt_u32_e32 vcc_lo, 0x7a, v17
	v_cndmask_b32_e32 v5, 0, v5, vcc_lo
	v_cmp_eq_u32_e32 vcc_lo, 0, v17
	s_delay_alu instid0(VALU_DEP_2) | instskip(SKIP_1) | instid1(VALU_DEP_2)
	v_cndmask_b32_e64 v18, v5, 0x78, vcc_lo
	v_cndmask_b32_e32 v3, v7, v3, vcc_lo
	v_add_nc_u32_e32 v5, 20, v18
	v_add_nc_u32_e32 v7, 19, v18
	s_delay_alu instid0(VALU_DEP_2) | instskip(NEXT) | instid1(VALU_DEP_2)
	v_lshlrev_b64 v[5:6], v5, -1
	v_lshlrev_b64 v[7:8], v7, 1
	s_delay_alu instid0(VALU_DEP_2) | instskip(NEXT) | instid1(VALU_DEP_3)
	v_not_b32_e32 v6, v6
	v_not_b32_e32 v5, v5
	s_delay_alu instid0(VALU_DEP_2) | instskip(NEXT) | instid1(VALU_DEP_2)
	v_and_b32_e32 v20, 0, v6
	v_and_b32_e32 v19, v3, v5
	v_lshrrev_b64 v[5:6], v18, v[3:4]
	s_delay_alu instid0(VALU_DEP_2) | instskip(NEXT) | instid1(VALU_DEP_2)
	v_cmp_eq_u64_e64 s2, v[19:20], v[7:8]
	v_dual_mov_b32 v8, v6 :: v_dual_mov_b32 v7, v5
	s_delay_alu instid0(VALU_DEP_2)
	s_and_saveexec_b32 s36, s2
; %bb.32:                               ;   in Loop: Header=BB97_10 Depth=1
	v_bfe_u32 v3, v5, 20, 1
	s_delay_alu instid0(VALU_DEP_1) | instskip(NEXT) | instid1(VALU_DEP_1)
	v_add_co_u32 v3, s2, v5, v3
	v_add_co_u32 v7, s2, v3, -1
; %bb.33:                               ;   in Loop: Header=BB97_10 Depth=1
	s_or_b32 exec_lo, exec_lo, s36
	v_add_nc_u32_e32 v3, 0xffffff81, v17
	v_lshrrev_b32_e32 v8, 23, v5
	s_mov_b32 s2, exec_lo
	s_delay_alu instid0(VALU_DEP_2) | instskip(NEXT) | instid1(VALU_DEP_1)
	v_cndmask_b32_e64 v3, v3, 0xffffff82, vcc_lo
	v_add3_u32 v8, v18, v3, v8
	v_and_b32_e32 v3, 0xfffff, v7
	s_delay_alu instid0(VALU_DEP_2) | instskip(NEXT) | instid1(VALU_DEP_2)
	v_add_nc_u32_e32 v7, 6, v8
	v_add_co_u32 v5, vcc_lo, v3, v5
	v_add_co_ci_u32_e32 v6, vcc_lo, 0, v6, vcc_lo
                                        ; implicit-def: $vgpr3
	s_delay_alu instid0(VALU_DEP_3)
	v_cmpx_ne_u32_e32 0, v7
	s_xor_b32 s2, exec_lo, s2
; %bb.34:                               ;   in Loop: Header=BB97_10 Depth=1
	s_delay_alu instid0(VALU_DEP_2) | instskip(SKIP_1) | instid1(VALU_DEP_1)
	v_cmp_lt_u64_e32 vcc_lo, 0xffffff, v[5:6]
	v_add_nc_u32_e32 v3, 7, v8
	v_cndmask_b32_e32 v3, v7, v3, vcc_lo
	v_cndmask_b32_e64 v7, 0, 1, vcc_lo
	s_delay_alu instid0(VALU_DEP_1)
	v_lshrrev_b64 v[5:6], v7, v[5:6]
; %bb.35:                               ;   in Loop: Header=BB97_10 Depth=1
	s_and_not1_saveexec_b32 s2, s2
; %bb.36:                               ;   in Loop: Header=BB97_10 Depth=1
	s_delay_alu instid0(VALU_DEP_1)
	v_bfe_u32 v3, v5, 23, 1
; %bb.37:                               ;   in Loop: Header=BB97_10 Depth=1
	s_or_b32 exec_lo, exec_lo, s2
	s_delay_alu instid0(VALU_DEP_2) | instskip(NEXT) | instid1(VALU_DEP_2)
	v_lshrrev_b64 v[5:6], 20, v[5:6]
	v_cmp_gt_i32_e32 vcc_lo, 16, v3
	v_cmp_ne_u32_e64 s2, 0, v3
                                        ; implicit-def: $vgpr7
	s_delay_alu instid0(VALU_DEP_3) | instskip(NEXT) | instid1(VALU_DEP_1)
	v_dual_cndmask_b32 v6, 0, v6 :: v_dual_cndmask_b32 v5, 7, v5
	v_cmp_ne_u64_e32 vcc_lo, 0, v[5:6]
	s_delay_alu instid0(VALU_DEP_3) | instskip(NEXT) | instid1(SALU_CYCLE_1)
	s_or_b32 s2, s2, vcc_lo
	s_and_saveexec_b32 s36, s2
	s_delay_alu instid0(SALU_CYCLE_1)
	s_xor_b32 s2, exec_lo, s36
; %bb.38:                               ;   in Loop: Header=BB97_10 Depth=1
	v_min_i32_e32 v3, 15, v3
	s_delay_alu instid0(VALU_DEP_1) | instskip(NEXT) | instid1(VALU_DEP_1)
	v_lshl_or_b32 v3, v3, 3, v16
                                        ; implicit-def: $vgpr16
	v_and_or_b32 v7, v5, 7, v3
; %bb.39:                               ;   in Loop: Header=BB97_10 Depth=1
	s_and_not1_saveexec_b32 s2, s2
; %bb.40:                               ;   in Loop: Header=BB97_10 Depth=1
	v_mov_b32_e32 v7, v16
; %bb.41:                               ;   in Loop: Header=BB97_10 Depth=1
	s_or_b32 exec_lo, exec_lo, s2
.LBB97_42:                              ;   in Loop: Header=BB97_10 Depth=1
	s_delay_alu instid0(SALU_CYCLE_1)
	s_or_b32 exec_lo, exec_lo, s35
.LBB97_43:                              ;   in Loop: Header=BB97_10 Depth=1
	s_and_not1_saveexec_b32 s2, s29
	s_delay_alu instid0(SALU_CYCLE_1)
	s_or_b32 exec_lo, exec_lo, s2
                                        ; implicit-def: $vgpr8
.LBB97_44:                              ;   in Loop: Header=BB97_10 Depth=1
	s_and_not1_saveexec_b32 s2, s13
	s_cbranch_execz .LBB97_9
; %bb.45:                               ;   in Loop: Header=BB97_10 Depth=1
	v_cmp_eq_u64_e32 vcc_lo, 0, v[3:4]
	v_or_b32_e32 v5, 0x7f, v8
	s_delay_alu instid0(VALU_DEP_1)
	v_cndmask_b32_e32 v7, v5, v7, vcc_lo
	s_branch .LBB97_9
.LBB97_46:
	s_or_b32 exec_lo, exec_lo, s33
	s_delay_alu instid0(SALU_CYCLE_1)
	s_mov_b32 s2, exec_lo
	v_cmpx_gt_i32_e64 s6, v0
	s_cbranch_execz .LBB97_67
; %bb.47:
	s_mul_i32 s3, s16, s11
	s_mul_hi_u32 s8, s16, s10
	s_mul_i32 s2, s16, s10
	s_add_i32 s3, s8, s3
	s_load_b32 s0, s[0:1], 0x8c
	s_lshl_b64 s[2:3], s[2:3], 1
	v_mov_b32_e32 v3, 0
	s_add_u32 s1, s14, s2
	s_addc_u32 s2, s15, s3
	s_waitcnt lgkmcnt(0)
	s_load_b32 s3, s[24:25], 0x0
	s_ashr_i32 s4, s4, 31
	s_delay_alu instid0(SALU_CYCLE_1) | instskip(NEXT) | instid1(SALU_CYCLE_1)
	s_mul_i32 s4, s22, s4
	s_add_i32 s4, s27, s4
	s_delay_alu instid0(SALU_CYCLE_1) | instskip(SKIP_3) | instid1(SALU_CYCLE_1)
	s_add_i32 s4, s4, s30
	s_add_u32 s8, s18, s31
	s_addc_u32 s9, s19, s4
	s_ashr_i32 s4, s5, 31
	s_mul_i32 s7, s7, s4
	s_delay_alu instid0(SALU_CYCLE_1) | instskip(NEXT) | instid1(SALU_CYCLE_1)
	s_add_i32 s4, s26, s7
	s_add_i32 s5, s4, s17
	s_add_u32 s4, s8, s23
	s_addc_u32 s5, s9, s5
	s_and_b32 s7, s0, 0xffff
	s_mov_b32 s8, 0
	s_branch .LBB97_49
.LBB97_48:                              ;   in Loop: Header=BB97_49 Depth=1
	s_or_b32 exec_lo, exec_lo, s0
	v_add_co_u32 v6, vcc_lo, s4, v0
	v_add_nc_u32_e32 v0, s7, v0
	v_add_co_ci_u32_e32 v7, vcc_lo, s5, v1, vcc_lo
	s_delay_alu instid0(VALU_DEP_2) | instskip(SKIP_2) | instid1(SALU_CYCLE_1)
	v_cmp_le_i32_e32 vcc_lo, s6, v0
	global_store_b8 v[6:7], v5, off
	s_or_b32 s8, vcc_lo, s8
	s_and_not1_b32 exec_lo, exec_lo, s8
	s_cbranch_execz .LBB97_67
.LBB97_49:                              ; =>This Inner Loop Header: Depth=1
	v_ashrrev_i32_e32 v1, 31, v0
	s_mov_b32 s0, exec_lo
	v_mov_b32_e32 v10, v3
	s_delay_alu instid0(VALU_DEP_2) | instskip(NEXT) | instid1(VALU_DEP_1)
	v_lshlrev_b64 v[4:5], 1, v[0:1]
	v_add_co_u32 v4, vcc_lo, s1, v4
	s_delay_alu instid0(VALU_DEP_2) | instskip(SKIP_4) | instid1(VALU_DEP_1)
	v_add_co_ci_u32_e32 v5, vcc_lo, s2, v5, vcc_lo
	global_load_u16 v2, v[4:5], off
	s_waitcnt vmcnt(0)
	v_lshlrev_b32_e32 v2, 16, v2
	s_waitcnt lgkmcnt(0)
	v_div_scale_f32 v4, null, s3, s3, v2
	s_delay_alu instid0(VALU_DEP_1) | instskip(SKIP_2) | instid1(VALU_DEP_1)
	v_rcp_f32_e32 v5, v4
	s_waitcnt_depctr 0xfff
	v_fma_f32 v6, -v4, v5, 1.0
	v_fmac_f32_e32 v5, v6, v5
	v_div_scale_f32 v6, vcc_lo, v2, s3, v2
	s_delay_alu instid0(VALU_DEP_1) | instskip(NEXT) | instid1(VALU_DEP_1)
	v_mul_f32_e32 v7, v6, v5
	v_fma_f32 v8, -v4, v7, v6
	s_delay_alu instid0(VALU_DEP_1) | instskip(NEXT) | instid1(VALU_DEP_1)
	v_fmac_f32_e32 v7, v8, v5
	v_fma_f32 v4, -v4, v7, v6
	s_delay_alu instid0(VALU_DEP_1) | instskip(NEXT) | instid1(VALU_DEP_1)
	v_div_fmas_f32 v4, v4, v5, v7
	v_div_fixup_f32 v4, v4, s3, v2
	s_delay_alu instid0(VALU_DEP_1) | instskip(SKIP_2) | instid1(VALU_DEP_3)
	v_lshrrev_b32_e32 v6, 24, v4
	v_and_b32_e32 v9, 0x7f800000, v4
	v_and_b32_e32 v2, 0x7fffff, v4
	;; [unrolled: 1-line block ×3, first 2 shown]
	s_delay_alu instid0(VALU_DEP_1) | instskip(NEXT) | instid1(VALU_DEP_4)
	v_or_b32_e32 v5, 0x7e, v8
	v_cmpx_ne_u64_e32 0x7f800000, v[9:10]
	s_xor_b32 s9, exec_lo, s0
	s_cbranch_execz .LBB97_65
; %bb.50:                               ;   in Loop: Header=BB97_49 Depth=1
	v_dual_mov_b32 v7, v3 :: v_dual_and_b32 v6, 0x7fffffff, v4
	s_mov_b32 s0, exec_lo
	s_delay_alu instid0(VALU_DEP_1)
	v_cmpx_gt_u64_e32 0x43e00001, v[6:7]
	s_xor_b32 s10, exec_lo, s0
	s_cbranch_execz .LBB97_64
; %bb.51:                               ;   in Loop: Header=BB97_49 Depth=1
	v_mov_b32_e32 v5, 0
	s_mov_b32 s11, exec_lo
	v_cmpx_ne_u32_e32 0, v4
	s_cbranch_execz .LBB97_63
; %bb.52:                               ;   in Loop: Header=BB97_49 Depth=1
	v_bfe_u32 v9, v4, 23, 8
	v_or_b32_e32 v6, 0x800000, v2
	s_delay_alu instid0(VALU_DEP_2) | instskip(SKIP_1) | instid1(VALU_DEP_2)
	v_sub_nc_u32_e32 v4, 0x79, v9
	v_cmp_gt_u32_e32 vcc_lo, 0x7a, v9
	v_cndmask_b32_e32 v4, 0, v4, vcc_lo
	v_cmp_eq_u32_e32 vcc_lo, 0, v9
	s_delay_alu instid0(VALU_DEP_2) | instskip(SKIP_1) | instid1(VALU_DEP_2)
	v_cndmask_b32_e64 v10, v4, 0x78, vcc_lo
	v_cndmask_b32_e32 v2, v6, v2, vcc_lo
	v_add_nc_u32_e32 v4, 20, v10
	v_add_nc_u32_e32 v6, 19, v10
	s_delay_alu instid0(VALU_DEP_2) | instskip(NEXT) | instid1(VALU_DEP_2)
	v_lshlrev_b64 v[4:5], v4, -1
	v_lshlrev_b64 v[6:7], v6, 1
	s_delay_alu instid0(VALU_DEP_2) | instskip(NEXT) | instid1(VALU_DEP_3)
	v_not_b32_e32 v5, v5
	v_not_b32_e32 v4, v4
	s_delay_alu instid0(VALU_DEP_2) | instskip(NEXT) | instid1(VALU_DEP_2)
	v_and_b32_e32 v12, 0, v5
	v_and_b32_e32 v11, v2, v4
	v_lshrrev_b64 v[4:5], v10, v[2:3]
	s_delay_alu instid0(VALU_DEP_2) | instskip(NEXT) | instid1(VALU_DEP_2)
	v_cmp_eq_u64_e64 s0, v[11:12], v[6:7]
	v_dual_mov_b32 v7, v5 :: v_dual_mov_b32 v6, v4
	s_delay_alu instid0(VALU_DEP_2)
	s_and_saveexec_b32 s12, s0
; %bb.53:                               ;   in Loop: Header=BB97_49 Depth=1
	v_bfe_u32 v2, v4, 20, 1
	s_delay_alu instid0(VALU_DEP_1) | instskip(NEXT) | instid1(VALU_DEP_1)
	v_add_co_u32 v2, s0, v4, v2
	v_add_co_u32 v6, s0, v2, -1
; %bb.54:                               ;   in Loop: Header=BB97_49 Depth=1
	s_or_b32 exec_lo, exec_lo, s12
	v_add_nc_u32_e32 v2, 0xffffff81, v9
	v_lshrrev_b32_e32 v7, 23, v4
	s_mov_b32 s0, exec_lo
	s_delay_alu instid0(VALU_DEP_2) | instskip(NEXT) | instid1(VALU_DEP_1)
	v_cndmask_b32_e64 v2, v2, 0xffffff82, vcc_lo
	v_add3_u32 v7, v10, v2, v7
	v_and_b32_e32 v2, 0xfffff, v6
	s_delay_alu instid0(VALU_DEP_2) | instskip(NEXT) | instid1(VALU_DEP_2)
	v_add_nc_u32_e32 v6, 6, v7
	v_add_co_u32 v4, vcc_lo, v2, v4
	v_add_co_ci_u32_e32 v5, vcc_lo, 0, v5, vcc_lo
                                        ; implicit-def: $vgpr2
	s_delay_alu instid0(VALU_DEP_3)
	v_cmpx_ne_u32_e32 0, v6
	s_xor_b32 s0, exec_lo, s0
; %bb.55:                               ;   in Loop: Header=BB97_49 Depth=1
	s_delay_alu instid0(VALU_DEP_2) | instskip(SKIP_1) | instid1(VALU_DEP_1)
	v_cmp_lt_u64_e32 vcc_lo, 0xffffff, v[4:5]
	v_add_nc_u32_e32 v2, 7, v7
	v_cndmask_b32_e32 v2, v6, v2, vcc_lo
	v_cndmask_b32_e64 v6, 0, 1, vcc_lo
	s_delay_alu instid0(VALU_DEP_1)
	v_lshrrev_b64 v[4:5], v6, v[4:5]
; %bb.56:                               ;   in Loop: Header=BB97_49 Depth=1
	s_and_not1_saveexec_b32 s0, s0
; %bb.57:                               ;   in Loop: Header=BB97_49 Depth=1
	s_delay_alu instid0(VALU_DEP_1)
	v_bfe_u32 v2, v4, 23, 1
; %bb.58:                               ;   in Loop: Header=BB97_49 Depth=1
	s_or_b32 exec_lo, exec_lo, s0
	s_delay_alu instid0(VALU_DEP_2) | instskip(NEXT) | instid1(VALU_DEP_2)
	v_lshrrev_b64 v[4:5], 20, v[4:5]
	v_cmp_gt_i32_e32 vcc_lo, 16, v2
	v_cmp_ne_u32_e64 s0, 0, v2
	s_delay_alu instid0(VALU_DEP_3) | instskip(NEXT) | instid1(VALU_DEP_1)
	v_dual_cndmask_b32 v5, 0, v5 :: v_dual_cndmask_b32 v4, 7, v4
	v_cmp_ne_u64_e32 vcc_lo, 0, v[4:5]
                                        ; implicit-def: $vgpr5
	s_delay_alu instid0(VALU_DEP_3) | instskip(NEXT) | instid1(SALU_CYCLE_1)
	s_or_b32 s0, s0, vcc_lo
	s_and_saveexec_b32 s12, s0
	s_delay_alu instid0(SALU_CYCLE_1)
	s_xor_b32 s0, exec_lo, s12
; %bb.59:                               ;   in Loop: Header=BB97_49 Depth=1
	v_min_i32_e32 v2, 15, v2
	s_delay_alu instid0(VALU_DEP_1) | instskip(NEXT) | instid1(VALU_DEP_1)
	v_lshl_or_b32 v2, v2, 3, v8
                                        ; implicit-def: $vgpr8
	v_and_or_b32 v5, v4, 7, v2
; %bb.60:                               ;   in Loop: Header=BB97_49 Depth=1
	s_and_not1_saveexec_b32 s0, s0
; %bb.61:                               ;   in Loop: Header=BB97_49 Depth=1
	v_mov_b32_e32 v5, v8
; %bb.62:                               ;   in Loop: Header=BB97_49 Depth=1
	s_or_b32 exec_lo, exec_lo, s0
.LBB97_63:                              ;   in Loop: Header=BB97_49 Depth=1
	s_delay_alu instid0(SALU_CYCLE_1)
	s_or_b32 exec_lo, exec_lo, s11
.LBB97_64:                              ;   in Loop: Header=BB97_49 Depth=1
	s_and_not1_saveexec_b32 s0, s10
	s_delay_alu instid0(SALU_CYCLE_1)
	s_or_b32 exec_lo, exec_lo, s0
                                        ; implicit-def: $vgpr6
.LBB97_65:                              ;   in Loop: Header=BB97_49 Depth=1
	s_and_not1_saveexec_b32 s0, s9
	s_cbranch_execz .LBB97_48
; %bb.66:                               ;   in Loop: Header=BB97_49 Depth=1
	v_cmp_eq_u64_e32 vcc_lo, 0, v[2:3]
	v_or_b32_e32 v4, 0x7f, v6
	s_delay_alu instid0(VALU_DEP_1)
	v_cndmask_b32_e32 v5, v4, v5, vcc_lo
	s_branch .LBB97_48
.LBB97_67:
	s_nop 0
	s_sendmsg sendmsg(MSG_DEALLOC_VGPRS)
	s_endpgm
.LBB97_68:
                                        ; implicit-def: $sgpr22_sgpr23
	s_branch .LBB97_6
	.section	.rodata,"a",@progbits
	.p2align	6, 0x0
	.amdhsa_kernel _ZN4vllm38concat_and_cache_mla_rope_fused_kernelIN3c104HalfEfLb0E14__hip_bfloat16hLNS_18Fp8KVCacheDataTypeE1EEEvPKlPT_S8_PKS7_PKT0_illlliPT3_S6_iiiiPKf
		.amdhsa_group_segment_fixed_size 0
		.amdhsa_private_segment_fixed_size 0
		.amdhsa_kernarg_size 384
		.amdhsa_user_sgpr_count 15
		.amdhsa_user_sgpr_dispatch_ptr 0
		.amdhsa_user_sgpr_queue_ptr 0
		.amdhsa_user_sgpr_kernarg_segment_ptr 1
		.amdhsa_user_sgpr_dispatch_id 0
		.amdhsa_user_sgpr_private_segment_size 0
		.amdhsa_wavefront_size32 1
		.amdhsa_uses_dynamic_stack 0
		.amdhsa_enable_private_segment 0
		.amdhsa_system_sgpr_workgroup_id_x 1
		.amdhsa_system_sgpr_workgroup_id_y 0
		.amdhsa_system_sgpr_workgroup_id_z 0
		.amdhsa_system_sgpr_workgroup_info 0
		.amdhsa_system_vgpr_workitem_id 0
		.amdhsa_next_free_vgpr 24
		.amdhsa_next_free_sgpr 43
		.amdhsa_reserve_vcc 1
		.amdhsa_float_round_mode_32 0
		.amdhsa_float_round_mode_16_64 0
		.amdhsa_float_denorm_mode_32 3
		.amdhsa_float_denorm_mode_16_64 3
		.amdhsa_dx10_clamp 1
		.amdhsa_ieee_mode 1
		.amdhsa_fp16_overflow 0
		.amdhsa_workgroup_processor_mode 1
		.amdhsa_memory_ordered 1
		.amdhsa_forward_progress 0
		.amdhsa_shared_vgpr_count 0
		.amdhsa_exception_fp_ieee_invalid_op 0
		.amdhsa_exception_fp_denorm_src 0
		.amdhsa_exception_fp_ieee_div_zero 0
		.amdhsa_exception_fp_ieee_overflow 0
		.amdhsa_exception_fp_ieee_underflow 0
		.amdhsa_exception_fp_ieee_inexact 0
		.amdhsa_exception_int_div_zero 0
	.end_amdhsa_kernel
	.section	.text._ZN4vllm38concat_and_cache_mla_rope_fused_kernelIN3c104HalfEfLb0E14__hip_bfloat16hLNS_18Fp8KVCacheDataTypeE1EEEvPKlPT_S8_PKS7_PKT0_illlliPT3_S6_iiiiPKf,"axG",@progbits,_ZN4vllm38concat_and_cache_mla_rope_fused_kernelIN3c104HalfEfLb0E14__hip_bfloat16hLNS_18Fp8KVCacheDataTypeE1EEEvPKlPT_S8_PKS7_PKT0_illlliPT3_S6_iiiiPKf,comdat
.Lfunc_end97:
	.size	_ZN4vllm38concat_and_cache_mla_rope_fused_kernelIN3c104HalfEfLb0E14__hip_bfloat16hLNS_18Fp8KVCacheDataTypeE1EEEvPKlPT_S8_PKS7_PKT0_illlliPT3_S6_iiiiPKf, .Lfunc_end97-_ZN4vllm38concat_and_cache_mla_rope_fused_kernelIN3c104HalfEfLb0E14__hip_bfloat16hLNS_18Fp8KVCacheDataTypeE1EEEvPKlPT_S8_PKS7_PKT0_illlliPT3_S6_iiiiPKf
                                        ; -- End function
	.section	.AMDGPU.csdata,"",@progbits
; Kernel info:
; codeLenInByte = 4392
; NumSgprs: 45
; NumVgprs: 24
; ScratchSize: 0
; MemoryBound: 0
; FloatMode: 240
; IeeeMode: 1
; LDSByteSize: 0 bytes/workgroup (compile time only)
; SGPRBlocks: 5
; VGPRBlocks: 2
; NumSGPRsForWavesPerEU: 45
; NumVGPRsForWavesPerEU: 24
; Occupancy: 16
; WaveLimiterHint : 1
; COMPUTE_PGM_RSRC2:SCRATCH_EN: 0
; COMPUTE_PGM_RSRC2:USER_SGPR: 15
; COMPUTE_PGM_RSRC2:TRAP_HANDLER: 0
; COMPUTE_PGM_RSRC2:TGID_X_EN: 1
; COMPUTE_PGM_RSRC2:TGID_Y_EN: 0
; COMPUTE_PGM_RSRC2:TGID_Z_EN: 0
; COMPUTE_PGM_RSRC2:TIDIG_COMP_CNT: 0
	.section	.text._ZN4vllm38concat_and_cache_mla_rope_fused_kernelIN3c104HalfES2_Lb1E14__hip_bfloat16hLNS_18Fp8KVCacheDataTypeE1EEEvPKlPT_S8_PKS7_PKT0_illlliPT3_S6_iiiiPKf,"axG",@progbits,_ZN4vllm38concat_and_cache_mla_rope_fused_kernelIN3c104HalfES2_Lb1E14__hip_bfloat16hLNS_18Fp8KVCacheDataTypeE1EEEvPKlPT_S8_PKS7_PKT0_illlliPT3_S6_iiiiPKf,comdat
	.protected	_ZN4vllm38concat_and_cache_mla_rope_fused_kernelIN3c104HalfES2_Lb1E14__hip_bfloat16hLNS_18Fp8KVCacheDataTypeE1EEEvPKlPT_S8_PKS7_PKT0_illlliPT3_S6_iiiiPKf ; -- Begin function _ZN4vllm38concat_and_cache_mla_rope_fused_kernelIN3c104HalfES2_Lb1E14__hip_bfloat16hLNS_18Fp8KVCacheDataTypeE1EEEvPKlPT_S8_PKS7_PKT0_illlliPT3_S6_iiiiPKf
	.globl	_ZN4vllm38concat_and_cache_mla_rope_fused_kernelIN3c104HalfES2_Lb1E14__hip_bfloat16hLNS_18Fp8KVCacheDataTypeE1EEEvPKlPT_S8_PKS7_PKT0_illlliPT3_S6_iiiiPKf
	.p2align	8
	.type	_ZN4vllm38concat_and_cache_mla_rope_fused_kernelIN3c104HalfES2_Lb1E14__hip_bfloat16hLNS_18Fp8KVCacheDataTypeE1EEEvPKlPT_S8_PKS7_PKT0_illlliPT3_S6_iiiiPKf,@function
_ZN4vllm38concat_and_cache_mla_rope_fused_kernelIN3c104HalfES2_Lb1E14__hip_bfloat16hLNS_18Fp8KVCacheDataTypeE1EEEvPKlPT_S8_PKS7_PKT0_illlliPT3_S6_iiiiPKf: ; @_ZN4vllm38concat_and_cache_mla_rope_fused_kernelIN3c104HalfES2_Lb1E14__hip_bfloat16hLNS_18Fp8KVCacheDataTypeE1EEEvPKlPT_S8_PKS7_PKT0_illlliPT3_S6_iiiiPKf
; %bb.0:
	s_load_b64 s[4:5], s[0:1], 0x60
	s_mov_b32 s16, s15
	s_mov_b32 s17, 0
	s_delay_alu instid0(SALU_CYCLE_1)
	s_lshl_b64 s[2:3], s[16:17], 3
	s_waitcnt lgkmcnt(0)
	s_add_u32 s4, s4, s2
	s_addc_u32 s5, s5, s3
	s_load_b64 s[28:29], s[4:5], 0x0
	s_waitcnt lgkmcnt(0)
	v_cmp_lt_i64_e64 s4, s[28:29], 0
	s_delay_alu instid0(VALU_DEP_1)
	s_and_b32 vcc_lo, exec_lo, s4
	s_cbranch_vccnz .LBB98_67
; %bb.1:
	s_clause 0x2
	s_load_b32 s22, s[0:1], 0x28
	s_load_b64 s[4:5], s[0:1], 0x0
	s_load_b128 s[12:15], s[0:1], 0x10
	s_waitcnt lgkmcnt(0)
	s_ashr_i32 s17, s22, 31
	s_add_u32 s2, s4, s2
	s_addc_u32 s3, s5, s3
	s_load_b64 s[20:21], s[2:3], 0x0
	s_clause 0x3
	s_load_b64 s[2:3], s[0:1], 0x20
	s_load_b32 s23, s[0:1], 0x50
	s_load_b64 s[18:19], s[0:1], 0x58
	s_load_b256 s[4:11], s[0:1], 0x30
	s_waitcnt lgkmcnt(0)
	s_mul_i32 s17, s20, s17
	s_mul_hi_u32 s24, s20, s22
	s_mul_i32 s21, s21, s22
	s_add_i32 s17, s24, s17
	s_mul_i32 s20, s20, s22
	s_add_i32 s21, s17, s21
	s_delay_alu instid0(SALU_CYCLE_1) | instskip(NEXT) | instid1(SALU_CYCLE_1)
	s_lshl_b64 s[26:27], s[20:21], 1
	s_add_u32 s17, s2, s26
	s_addc_u32 s33, s3, s27
	s_lshr_b32 s20, s22, 31
	s_delay_alu instid0(SALU_CYCLE_1) | instskip(NEXT) | instid1(SALU_CYCLE_1)
	s_add_i32 s22, s22, s20
	s_ashr_i32 s20, s22, 1
	s_delay_alu instid0(SALU_CYCLE_1)
	s_mul_i32 s22, s20, s23
	s_mov_b32 s23, exec_lo
	v_cmpx_gt_i32_e64 s22, v0
	s_cbranch_execz .LBB98_4
; %bb.2:
	s_clause 0x1
	s_load_b64 s[24:25], s[0:1], 0x8
	s_load_b32 s31, s[0:1], 0x8c
	s_mul_i32 s5, s16, s5
	s_mul_hi_u32 s21, s16, s4
	s_mul_i32 s4, s16, s4
	s_add_i32 s5, s21, s5
	s_ashr_i32 s21, s20, 31
	s_lshl_b64 s[4:5], s[4:5], 1
	s_mov_b32 s34, 0
	s_waitcnt lgkmcnt(0)
	s_add_u32 s24, s24, s4
	s_addc_u32 s25, s25, s5
	s_abs_i32 s30, s20
	s_and_b32 s31, s31, 0xffff
	v_cvt_f32_u32_e32 v1, s30
	s_sub_i32 s4, 0, s30
	s_sub_i32 s35, 0, s20
	s_delay_alu instid0(VALU_DEP_1) | instskip(SKIP_2) | instid1(VALU_DEP_1)
	v_rcp_iflag_f32_e32 v1, v1
	s_waitcnt_depctr 0xfff
	v_mul_f32_e32 v1, 0x4f7ffffe, v1
	v_cvt_u32_f32_e32 v1, v1
	s_delay_alu instid0(VALU_DEP_1) | instskip(SKIP_1) | instid1(VALU_DEP_1)
	v_mul_lo_u32 v2, s4, v1
	s_lshl_b64 s[4:5], s[20:21], 1
	v_mul_hi_u32 v2, v1, v2
	s_delay_alu instid0(VALU_DEP_1)
	v_dual_mov_b32 v1, v0 :: v_dual_add_nc_u32 v2, v1, v2
.LBB98_3:                               ; =>This Inner Loop Header: Depth=1
	s_delay_alu instid0(VALU_DEP_1) | instskip(SKIP_1) | instid1(VALU_DEP_2)
	v_sub_nc_u32_e32 v3, 0, v1
	v_ashrrev_i32_e32 v4, 31, v1
	v_max_i32_e32 v3, v1, v3
	s_delay_alu instid0(VALU_DEP_2) | instskip(NEXT) | instid1(VALU_DEP_2)
	v_xor_b32_e32 v4, s21, v4
	v_mul_hi_u32 v5, v3, v2
	s_delay_alu instid0(VALU_DEP_1) | instskip(SKIP_1) | instid1(VALU_DEP_2)
	v_mul_lo_u32 v6, v5, s30
	v_add_nc_u32_e32 v7, 1, v5
	v_sub_nc_u32_e32 v3, v3, v6
	s_delay_alu instid0(VALU_DEP_1) | instskip(SKIP_1) | instid1(VALU_DEP_4)
	v_subrev_nc_u32_e32 v6, s30, v3
	v_cmp_le_u32_e32 vcc_lo, s30, v3
	v_cndmask_b32_e32 v5, v5, v7, vcc_lo
	s_delay_alu instid0(VALU_DEP_1) | instskip(NEXT) | instid1(VALU_DEP_1)
	v_dual_cndmask_b32 v3, v3, v6 :: v_dual_add_nc_u32 v6, 1, v5
	v_cmp_le_u32_e32 vcc_lo, s30, v3
	s_delay_alu instid0(VALU_DEP_2) | instskip(NEXT) | instid1(VALU_DEP_1)
	v_cndmask_b32_e32 v3, v5, v6, vcc_lo
	v_xor_b32_e32 v3, v3, v4
	s_delay_alu instid0(VALU_DEP_1) | instskip(NEXT) | instid1(VALU_DEP_1)
	v_sub_nc_u32_e32 v7, v3, v4
	v_ashrrev_i32_e32 v8, 31, v7
	v_mad_u64_u32 v[3:4], null, s35, v7, v[1:2]
	v_mul_lo_u32 v9, v7, s7
	v_mad_u64_u32 v[5:6], null, v7, s6, 0
	s_delay_alu instid0(VALU_DEP_4) | instskip(SKIP_2) | instid1(VALU_DEP_3)
	v_mul_lo_u32 v7, v8, s6
	v_add_nc_u32_e32 v1, s31, v1
	v_ashrrev_i32_e32 v4, 31, v3
	v_add3_u32 v6, v6, v9, v7
	s_delay_alu instid0(VALU_DEP_2) | instskip(NEXT) | instid1(VALU_DEP_2)
	v_lshlrev_b64 v[3:4], 1, v[3:4]
	v_lshlrev_b64 v[5:6], 1, v[5:6]
	s_delay_alu instid0(VALU_DEP_2) | instskip(NEXT) | instid1(VALU_DEP_3)
	v_add_co_u32 v7, vcc_lo, s17, v3
	v_add_co_ci_u32_e32 v8, vcc_lo, s33, v4, vcc_lo
	s_delay_alu instid0(VALU_DEP_3) | instskip(NEXT) | instid1(VALU_DEP_4)
	v_add_co_u32 v9, vcc_lo, s24, v5
	v_add_co_ci_u32_e32 v10, vcc_lo, s25, v6, vcc_lo
	s_delay_alu instid0(VALU_DEP_4) | instskip(NEXT) | instid1(VALU_DEP_4)
	v_add_co_u32 v5, vcc_lo, v7, s4
	v_add_co_ci_u32_e32 v6, vcc_lo, s5, v8, vcc_lo
	s_delay_alu instid0(VALU_DEP_4) | instskip(NEXT) | instid1(VALU_DEP_4)
	v_add_co_u32 v3, vcc_lo, v9, v3
	v_add_co_ci_u32_e32 v4, vcc_lo, v10, v4, vcc_lo
	s_delay_alu instid0(VALU_DEP_2) | instskip(NEXT) | instid1(VALU_DEP_2)
	v_add_co_u32 v9, vcc_lo, v3, s4
	v_add_co_ci_u32_e32 v10, vcc_lo, s5, v4, vcc_lo
	s_clause 0x1
	global_load_u16 v7, v[7:8], off
	global_load_u16 v5, v[5:6], off
	s_clause 0x1
	global_load_u16 v6, v[3:4], off
	global_load_u16 v8, v[9:10], off
	v_cmp_le_i32_e32 vcc_lo, s22, v1
	s_or_b32 s34, vcc_lo, s34
	s_waitcnt vmcnt(0)
	v_mul_f16_e32 v11, v5, v8
	v_mul_f16_e32 v8, v7, v8
	s_delay_alu instid0(VALU_DEP_2) | instskip(NEXT) | instid1(VALU_DEP_2)
	v_fma_f16 v7, v7, v6, -v11
	v_fmac_f16_e32 v8, v5, v6
	s_clause 0x1
	global_store_b16 v[3:4], v7, off
	global_store_b16 v[9:10], v8, off
	s_and_not1_b32 exec_lo, exec_lo, s34
	s_cbranch_execnz .LBB98_3
.LBB98_4:
	s_or_b32 exec_lo, exec_lo, s23
	s_load_b128 s[4:7], s[0:1], 0x68
	s_waitcnt lgkmcnt(0)
	s_ashr_i32 s31, s7, 31
	s_mov_b32 s30, s7
	s_delay_alu instid0(SALU_CYCLE_1) | instskip(SKIP_1) | instid1(SALU_CYCLE_1)
	s_or_b64 s[24:25], s[28:29], s[30:31]
	s_mov_b32 s24, 0
	s_cmp_lg_u64 s[24:25], 0
	s_cbranch_scc0 .LBB98_68
; %bb.5:
	s_add_u32 s34, s30, s31
	s_mov_b32 s22, s31
	s_mov_b32 s23, s31
	s_addc_u32 s35, s31, s31
	s_delay_alu instid0(SALU_CYCLE_1) | instskip(NEXT) | instid1(SALU_CYCLE_1)
	s_xor_b64 s[34:35], s[34:35], s[22:23]
	v_cvt_f32_u32_e32 v1, s34
	v_cvt_f32_u32_e32 v2, s35
	s_sub_u32 s25, 0, s34
	s_subb_u32 s36, 0, s35
	s_delay_alu instid0(VALU_DEP_1) | instskip(NEXT) | instid1(VALU_DEP_1)
	v_fmamk_f32 v1, v2, 0x4f800000, v1
	v_rcp_f32_e32 v1, v1
	s_waitcnt_depctr 0xfff
	v_mul_f32_e32 v1, 0x5f7ffffc, v1
	s_delay_alu instid0(VALU_DEP_1) | instskip(NEXT) | instid1(VALU_DEP_1)
	v_mul_f32_e32 v2, 0x2f800000, v1
	v_trunc_f32_e32 v2, v2
	s_delay_alu instid0(VALU_DEP_1) | instskip(SKIP_1) | instid1(VALU_DEP_2)
	v_fmamk_f32 v1, v2, 0xcf800000, v1
	v_cvt_u32_f32_e32 v2, v2
	v_cvt_u32_f32_e32 v1, v1
	s_delay_alu instid0(VALU_DEP_2) | instskip(NEXT) | instid1(VALU_DEP_2)
	v_readfirstlane_b32 s7, v2
	v_readfirstlane_b32 s21, v1
	s_delay_alu instid0(VALU_DEP_2) | instskip(NEXT) | instid1(VALU_DEP_1)
	s_mul_i32 s37, s25, s7
	s_mul_hi_u32 s39, s25, s21
	s_mul_i32 s38, s36, s21
	s_add_i32 s37, s39, s37
	s_mul_i32 s40, s25, s21
	s_add_i32 s37, s37, s38
	s_mul_hi_u32 s39, s21, s40
	s_mul_hi_u32 s41, s7, s40
	s_mul_i32 s38, s7, s40
	s_mul_hi_u32 s40, s21, s37
	s_mul_i32 s21, s21, s37
	s_mul_hi_u32 s42, s7, s37
	s_add_u32 s21, s39, s21
	s_addc_u32 s39, 0, s40
	s_add_u32 s21, s21, s38
	s_mul_i32 s37, s7, s37
	s_addc_u32 s21, s39, s41
	s_addc_u32 s38, s42, 0
	s_add_u32 s21, s21, s37
	s_addc_u32 s37, 0, s38
	v_add_co_u32 v1, s21, v1, s21
	s_delay_alu instid0(VALU_DEP_1) | instskip(SKIP_1) | instid1(VALU_DEP_1)
	s_cmp_lg_u32 s21, 0
	s_addc_u32 s7, s7, s37
	v_readfirstlane_b32 s21, v1
	s_mul_i32 s37, s25, s7
	s_delay_alu instid0(VALU_DEP_1)
	s_mul_hi_u32 s38, s25, s21
	s_mul_i32 s36, s36, s21
	s_add_i32 s37, s38, s37
	s_mul_i32 s25, s25, s21
	s_add_i32 s37, s37, s36
	s_mul_hi_u32 s38, s7, s25
	s_mul_i32 s39, s7, s25
	s_mul_hi_u32 s25, s21, s25
	s_mul_hi_u32 s40, s21, s37
	s_mul_i32 s21, s21, s37
	s_mul_hi_u32 s36, s7, s37
	s_add_u32 s21, s25, s21
	s_addc_u32 s25, 0, s40
	s_add_u32 s21, s21, s39
	s_mul_i32 s37, s7, s37
	s_addc_u32 s21, s25, s38
	s_addc_u32 s25, s36, 0
	s_add_u32 s21, s21, s37
	s_addc_u32 s25, 0, s25
	v_add_co_u32 v1, s21, v1, s21
	s_delay_alu instid0(VALU_DEP_1) | instskip(SKIP_2) | instid1(VALU_DEP_1)
	s_cmp_lg_u32 s21, 0
	s_addc_u32 s7, s7, s25
	s_ashr_i32 s36, s29, 31
	v_readfirstlane_b32 s21, v1
	s_add_u32 s38, s28, s36
	s_mov_b32 s37, s36
	s_addc_u32 s39, s29, s36
	s_delay_alu instid0(SALU_CYCLE_1) | instskip(NEXT) | instid1(SALU_CYCLE_1)
	s_xor_b64 s[38:39], s[38:39], s[36:37]
	s_mul_i32 s40, s38, s7
	s_mul_hi_u32 s41, s38, s21
	s_mul_hi_u32 s25, s38, s7
	;; [unrolled: 1-line block ×3, first 2 shown]
	s_mul_i32 s21, s39, s21
	s_add_u32 s40, s41, s40
	s_addc_u32 s25, 0, s25
	s_mul_hi_u32 s42, s39, s7
	s_add_u32 s21, s40, s21
	s_mul_i32 s7, s39, s7
	s_addc_u32 s21, s25, s43
	s_addc_u32 s25, s42, 0
	s_add_u32 s7, s21, s7
	s_addc_u32 s21, 0, s25
	s_mul_i32 s42, s34, s7
	s_mul_hi_u32 s25, s34, s7
	s_mul_i32 s41, s34, s21
	v_sub_co_u32 v1, s38, s38, s42
	s_mul_i32 s40, s35, s7
	s_add_i32 s25, s25, s41
	s_delay_alu instid0(SALU_CYCLE_1) | instskip(NEXT) | instid1(VALU_DEP_1)
	s_add_i32 s25, s25, s40
	v_sub_co_u32 v2, s41, v1, s34
	s_sub_i32 s40, s39, s25
	s_cmp_lg_u32 s38, 0
	s_subb_u32 s40, s40, s35
	s_cmp_lg_u32 s41, 0
	v_readfirstlane_b32 s41, v2
	s_subb_u32 s40, s40, 0
	s_delay_alu instid0(SALU_CYCLE_1) | instskip(SKIP_1) | instid1(VALU_DEP_1)
	s_cmp_ge_u32 s40, s35
	s_cselect_b32 s42, -1, 0
	s_cmp_ge_u32 s41, s34
	s_cselect_b32 s41, -1, 0
	s_cmp_eq_u32 s40, s35
	s_cselect_b32 s40, s41, s42
	s_add_u32 s41, s7, 1
	s_addc_u32 s42, s21, 0
	s_add_u32 s43, s7, 2
	s_addc_u32 s44, s21, 0
	s_cmp_lg_u32 s40, 0
	s_cselect_b32 s40, s43, s41
	s_cselect_b32 s41, s44, s42
	s_cmp_lg_u32 s38, 0
	v_readfirstlane_b32 s38, v1
	s_subb_u32 s25, s39, s25
	s_delay_alu instid0(SALU_CYCLE_1) | instskip(SKIP_1) | instid1(VALU_DEP_1)
	s_cmp_ge_u32 s25, s35
	s_cselect_b32 s39, -1, 0
	s_cmp_ge_u32 s38, s34
	s_cselect_b32 s34, -1, 0
	s_cmp_eq_u32 s25, s35
	s_cselect_b32 s25, s34, s39
	s_delay_alu instid0(SALU_CYCLE_1) | instskip(SKIP_3) | instid1(SALU_CYCLE_1)
	s_cmp_lg_u32 s25, 0
	s_cselect_b32 s35, s41, s21
	s_cselect_b32 s34, s40, s7
	s_xor_b64 s[22:23], s[36:37], s[22:23]
	s_xor_b64 s[34:35], s[34:35], s[22:23]
	s_delay_alu instid0(SALU_CYCLE_1)
	s_sub_u32 s22, s34, s22
	s_subb_u32 s23, s35, s23
	s_and_not1_b32 vcc_lo, exec_lo, s24
	s_cbranch_vccnz .LBB98_7
.LBB98_6:
	v_cvt_f32_u32_e32 v1, s30
	s_sub_i32 s21, 0, s30
	s_delay_alu instid0(VALU_DEP_1) | instskip(SKIP_2) | instid1(VALU_DEP_1)
	v_rcp_iflag_f32_e32 v1, v1
	s_waitcnt_depctr 0xfff
	v_mul_f32_e32 v1, 0x4f7ffffe, v1
	v_cvt_u32_f32_e32 v1, v1
	s_delay_alu instid0(VALU_DEP_1) | instskip(NEXT) | instid1(VALU_DEP_1)
	v_readfirstlane_b32 s7, v1
	s_mul_i32 s21, s21, s7
	s_delay_alu instid0(SALU_CYCLE_1) | instskip(NEXT) | instid1(SALU_CYCLE_1)
	s_mul_hi_u32 s21, s7, s21
	s_add_i32 s7, s7, s21
	s_delay_alu instid0(SALU_CYCLE_1) | instskip(NEXT) | instid1(SALU_CYCLE_1)
	s_mul_hi_u32 s7, s28, s7
	s_mul_i32 s21, s7, s30
	s_add_i32 s22, s7, 1
	s_sub_i32 s21, s28, s21
	s_delay_alu instid0(SALU_CYCLE_1)
	s_sub_i32 s23, s21, s30
	s_cmp_ge_u32 s21, s30
	s_cselect_b32 s7, s22, s7
	s_cselect_b32 s21, s23, s21
	s_add_i32 s22, s7, 1
	s_cmp_ge_u32 s21, s30
	s_mov_b32 s23, 0
	s_cselect_b32 s22, s22, s7
.LBB98_7:
	s_load_b64 s[24:25], s[0:1], 0x78
	s_mul_i32 s7, s22, s31
	s_mul_hi_u32 s21, s22, s30
	s_mul_i32 s31, s23, s4
	s_add_i32 s7, s21, s7
	s_mul_i32 s21, s23, s30
	s_mul_i32 s30, s22, s30
	s_add_i32 s21, s7, s21
	s_sub_u32 s7, s28, s30
	s_subb_u32 s21, s29, s21
	s_mul_hi_u32 s30, s22, s4
	s_mul_i32 s34, s22, s4
	s_mul_hi_u32 s29, s7, s5
	s_mul_i32 s23, s21, s5
	s_mul_i32 s28, s7, s5
	s_mov_b32 s35, exec_lo
	v_cmpx_gt_i32_e64 s20, v0
	s_cbranch_execz .LBB98_46
; %bb.8:
	s_load_b32 s38, s[0:1], 0x8c
	s_mul_i32 s9, s16, s9
	s_mul_hi_u32 s37, s16, s8
	s_mul_i32 s36, s16, s8
	s_add_i32 s37, s37, s9
	s_ashr_i32 s21, s20, 31
	s_lshl_b64 s[40:41], s[36:37], 1
	s_waitcnt lgkmcnt(0)
	s_load_b32 s8, s[24:25], 0x0
	s_add_u32 s9, s12, s40
	s_addc_u32 s36, s13, s41
	s_ashr_i32 s37, s4, 31
	s_ashr_i32 s39, s5, 31
	s_mul_i32 s37, s22, s37
	s_mul_i32 s39, s7, s39
	s_add_i32 s37, s30, s37
	s_add_i32 s39, s29, s39
	s_add_i32 s45, s37, s31
	s_lshl_b64 s[42:43], s[20:21], 1
	s_ashr_i32 s44, s6, 31
	s_add_i32 s39, s39, s23
	s_and_b32 s37, s38, 0xffff
	v_dual_mov_b32 v2, 0 :: v_dual_lshlrev_b32 v9, 1, v0
	s_lshl_b32 s38, s37, 1
	s_add_u32 s26, s26, s42
	s_addc_u32 s27, s27, s43
	s_add_u32 s26, s2, s26
	s_addc_u32 s3, s3, s27
	;; [unrolled: 2-line block ×7, first 2 shown]
	v_add_co_u32 v3, s2, s2, v0
	s_delay_alu instid0(VALU_DEP_1)
	v_add_co_ci_u32_e64 v4, null, s27, 0, s2
	v_mov_b32_e32 v10, v0
	s_mov_b32 s27, 0
	s_branch .LBB98_10
.LBB98_9:                               ;   in Loop: Header=BB98_10 Depth=1
	s_or_b32 exec_lo, exec_lo, s2
	v_add_nc_u32_e32 v10, s37, v10
	v_add_co_u32 v7, vcc_lo, v3, s20
	s_add_u32 s17, s17, s38
	s_addc_u32 s33, s33, 0
	v_add_co_ci_u32_e32 v8, vcc_lo, s21, v4, vcc_lo
	s_add_u32 s26, s26, s38
	s_addc_u32 s3, s3, 0
	v_cmp_le_i32_e32 vcc_lo, s20, v10
	v_add_co_u32 v3, s2, v3, s37
	s_add_u32 s12, s12, s38
	s_addc_u32 s13, s13, 0
	v_add_co_ci_u32_e64 v4, s2, 0, v4, s2
	s_add_u32 s9, s9, s38
	s_addc_u32 s36, s36, 0
	s_or_b32 s27, vcc_lo, s27
	global_store_b8 v[7:8], v6, off
	s_and_not1_b32 exec_lo, exec_lo, s27
	s_cbranch_execz .LBB98_46
.LBB98_10:                              ; =>This Inner Loop Header: Depth=1
	v_add_co_u32 v5, s2, s26, v9
	s_delay_alu instid0(VALU_DEP_1) | instskip(SKIP_1) | instid1(VALU_DEP_1)
	v_add_co_ci_u32_e64 v6, null, s3, 0, s2
	v_add_co_u32 v7, s2, s17, v9
	v_add_co_ci_u32_e64 v8, null, s33, 0, s2
	v_add_co_u32 v13, s2, s12, v9
	s_delay_alu instid0(VALU_DEP_1) | instskip(SKIP_1) | instid1(VALU_DEP_1)
	v_add_co_ci_u32_e64 v14, null, s13, 0, s2
	v_add_co_u32 v15, s2, s9, v9
	v_add_co_ci_u32_e64 v16, null, s36, 0, s2
	global_load_u16 v1, v[5:6], off
	global_load_u16 v11, v[13:14], off
	;; [unrolled: 1-line block ×4, first 2 shown]
	s_waitcnt vmcnt(2)
	v_mul_f16_e32 v5, v1, v11
	s_waitcnt vmcnt(1)
	v_mul_f16_e32 v11, v7, v11
	s_waitcnt vmcnt(0)
	s_delay_alu instid0(VALU_DEP_2) | instskip(NEXT) | instid1(VALU_DEP_2)
	v_fma_f16 v18, v7, v17, -v5
	v_fmac_f16_e32 v11, v1, v17
	global_store_b16 v[15:16], v18, off
	global_store_b16 v[13:14], v11, off
	v_lshlrev_b32_e32 v5, 16, v18
	s_waitcnt lgkmcnt(0)
	s_delay_alu instid0(VALU_DEP_1) | instskip(NEXT) | instid1(VALU_DEP_1)
	v_div_scale_f32 v6, null, s8, s8, v5
	v_rcp_f32_e32 v8, v6
	s_waitcnt_depctr 0xfff
	v_fma_f32 v12, -v6, v8, 1.0
	s_delay_alu instid0(VALU_DEP_1) | instskip(SKIP_1) | instid1(VALU_DEP_1)
	v_fmac_f32_e32 v8, v12, v8
	v_div_scale_f32 v12, vcc_lo, v5, s8, v5
	v_mul_f32_e32 v19, v12, v8
	s_delay_alu instid0(VALU_DEP_1) | instskip(NEXT) | instid1(VALU_DEP_1)
	v_fma_f32 v20, -v6, v19, v12
	v_fmac_f32_e32 v19, v20, v8
	s_delay_alu instid0(VALU_DEP_1) | instskip(NEXT) | instid1(VALU_DEP_1)
	v_fma_f32 v6, -v6, v19, v12
	v_div_fmas_f32 v6, v6, v8, v19
	v_mov_b32_e32 v8, v2
	s_delay_alu instid0(VALU_DEP_2) | instskip(NEXT) | instid1(VALU_DEP_1)
	v_div_fixup_f32 v5, v6, s8, v5
	v_lshrrev_b32_e32 v6, 24, v5
	v_and_b32_e32 v7, 0x7f800000, v5
	v_and_b32_e32 v1, 0x7fffff, v5
	s_delay_alu instid0(VALU_DEP_3) | instskip(NEXT) | instid1(VALU_DEP_3)
	v_and_b32_e32 v12, 0x80, v6
	v_cmp_ne_u64_e32 vcc_lo, 0x7f800000, v[7:8]
	s_delay_alu instid0(VALU_DEP_2) | instskip(SKIP_1) | instid1(SALU_CYCLE_1)
	v_or_b32_e32 v7, 0x7e, v12
	s_and_saveexec_b32 s2, vcc_lo
	s_xor_b32 s39, exec_lo, s2
	s_cbranch_execz .LBB98_26
; %bb.11:                               ;   in Loop: Header=BB98_10 Depth=1
	v_dual_mov_b32 v14, v2 :: v_dual_and_b32 v13, 0x7fffffff, v5
	s_mov_b32 s2, exec_lo
	s_delay_alu instid0(VALU_DEP_1)
	v_cmpx_gt_u64_e32 0x43e00001, v[13:14]
	s_xor_b32 s40, exec_lo, s2
	s_cbranch_execz .LBB98_25
; %bb.12:                               ;   in Loop: Header=BB98_10 Depth=1
	v_mov_b32_e32 v7, 0
	s_mov_b32 s41, exec_lo
	v_cmpx_ne_u32_e32 0, v5
	s_cbranch_execz .LBB98_24
; %bb.13:                               ;   in Loop: Header=BB98_10 Depth=1
	v_bfe_u32 v13, v5, 23, 8
	v_or_b32_e32 v7, 0x800000, v1
	s_delay_alu instid0(VALU_DEP_2) | instskip(SKIP_1) | instid1(VALU_DEP_2)
	v_sub_nc_u32_e32 v5, 0x79, v13
	v_cmp_gt_u32_e32 vcc_lo, 0x7a, v13
	v_cndmask_b32_e32 v5, 0, v5, vcc_lo
	v_cmp_eq_u32_e32 vcc_lo, 0, v13
	s_delay_alu instid0(VALU_DEP_2) | instskip(SKIP_1) | instid1(VALU_DEP_2)
	v_cndmask_b32_e64 v14, v5, 0x78, vcc_lo
	v_cndmask_b32_e32 v1, v7, v1, vcc_lo
	v_add_nc_u32_e32 v5, 20, v14
	v_add_nc_u32_e32 v7, 19, v14
	s_delay_alu instid0(VALU_DEP_2) | instskip(NEXT) | instid1(VALU_DEP_2)
	v_lshlrev_b64 v[5:6], v5, -1
	v_lshlrev_b64 v[7:8], v7, 1
	s_delay_alu instid0(VALU_DEP_2) | instskip(NEXT) | instid1(VALU_DEP_3)
	v_not_b32_e32 v6, v6
	v_not_b32_e32 v5, v5
	s_delay_alu instid0(VALU_DEP_2) | instskip(NEXT) | instid1(VALU_DEP_2)
	v_and_b32_e32 v16, 0, v6
	v_and_b32_e32 v15, v1, v5
	v_lshrrev_b64 v[5:6], v14, v[1:2]
	s_delay_alu instid0(VALU_DEP_2) | instskip(NEXT) | instid1(VALU_DEP_2)
	v_cmp_eq_u64_e64 s2, v[15:16], v[7:8]
	v_dual_mov_b32 v8, v6 :: v_dual_mov_b32 v7, v5
	s_delay_alu instid0(VALU_DEP_2)
	s_and_saveexec_b32 s42, s2
; %bb.14:                               ;   in Loop: Header=BB98_10 Depth=1
	v_bfe_u32 v1, v5, 20, 1
	s_delay_alu instid0(VALU_DEP_1) | instskip(NEXT) | instid1(VALU_DEP_1)
	v_add_co_u32 v1, s2, v5, v1
	v_add_co_u32 v7, s2, v1, -1
; %bb.15:                               ;   in Loop: Header=BB98_10 Depth=1
	s_or_b32 exec_lo, exec_lo, s42
	v_add_nc_u32_e32 v1, 0xffffff81, v13
	v_lshrrev_b32_e32 v8, 23, v5
	s_mov_b32 s2, exec_lo
	s_delay_alu instid0(VALU_DEP_2) | instskip(NEXT) | instid1(VALU_DEP_1)
	v_cndmask_b32_e64 v1, v1, 0xffffff82, vcc_lo
	v_add3_u32 v8, v14, v1, v8
	v_and_b32_e32 v1, 0xfffff, v7
	s_delay_alu instid0(VALU_DEP_2) | instskip(NEXT) | instid1(VALU_DEP_2)
	v_add_nc_u32_e32 v7, 6, v8
	v_add_co_u32 v5, vcc_lo, v1, v5
	v_add_co_ci_u32_e32 v6, vcc_lo, 0, v6, vcc_lo
                                        ; implicit-def: $vgpr1
	s_delay_alu instid0(VALU_DEP_3)
	v_cmpx_ne_u32_e32 0, v7
	s_xor_b32 s2, exec_lo, s2
; %bb.16:                               ;   in Loop: Header=BB98_10 Depth=1
	s_delay_alu instid0(VALU_DEP_2) | instskip(SKIP_1) | instid1(VALU_DEP_1)
	v_cmp_lt_u64_e32 vcc_lo, 0xffffff, v[5:6]
	v_add_nc_u32_e32 v1, 7, v8
	v_cndmask_b32_e32 v1, v7, v1, vcc_lo
	v_cndmask_b32_e64 v7, 0, 1, vcc_lo
	s_delay_alu instid0(VALU_DEP_1)
	v_lshrrev_b64 v[5:6], v7, v[5:6]
; %bb.17:                               ;   in Loop: Header=BB98_10 Depth=1
	s_and_not1_saveexec_b32 s2, s2
; %bb.18:                               ;   in Loop: Header=BB98_10 Depth=1
	s_delay_alu instid0(VALU_DEP_1)
	v_bfe_u32 v1, v5, 23, 1
; %bb.19:                               ;   in Loop: Header=BB98_10 Depth=1
	s_or_b32 exec_lo, exec_lo, s2
	s_delay_alu instid0(VALU_DEP_2) | instskip(NEXT) | instid1(VALU_DEP_2)
	v_lshrrev_b64 v[5:6], 20, v[5:6]
	v_cmp_gt_i32_e32 vcc_lo, 16, v1
	v_cmp_ne_u32_e64 s2, 0, v1
                                        ; implicit-def: $vgpr7
	s_delay_alu instid0(VALU_DEP_3) | instskip(NEXT) | instid1(VALU_DEP_1)
	v_dual_cndmask_b32 v6, 0, v6 :: v_dual_cndmask_b32 v5, 7, v5
	v_cmp_ne_u64_e32 vcc_lo, 0, v[5:6]
	s_delay_alu instid0(VALU_DEP_3) | instskip(NEXT) | instid1(SALU_CYCLE_1)
	s_or_b32 s2, s2, vcc_lo
	s_and_saveexec_b32 s42, s2
	s_delay_alu instid0(SALU_CYCLE_1)
	s_xor_b32 s2, exec_lo, s42
; %bb.20:                               ;   in Loop: Header=BB98_10 Depth=1
	v_min_i32_e32 v1, 15, v1
	s_delay_alu instid0(VALU_DEP_1) | instskip(NEXT) | instid1(VALU_DEP_1)
	v_lshl_or_b32 v1, v1, 3, v12
                                        ; implicit-def: $vgpr12
	v_and_or_b32 v7, v5, 7, v1
; %bb.21:                               ;   in Loop: Header=BB98_10 Depth=1
	s_and_not1_saveexec_b32 s2, s2
; %bb.22:                               ;   in Loop: Header=BB98_10 Depth=1
	v_mov_b32_e32 v7, v12
; %bb.23:                               ;   in Loop: Header=BB98_10 Depth=1
	s_or_b32 exec_lo, exec_lo, s2
.LBB98_24:                              ;   in Loop: Header=BB98_10 Depth=1
	s_delay_alu instid0(SALU_CYCLE_1)
	s_or_b32 exec_lo, exec_lo, s41
.LBB98_25:                              ;   in Loop: Header=BB98_10 Depth=1
	s_and_not1_saveexec_b32 s2, s40
	s_delay_alu instid0(SALU_CYCLE_1)
	s_or_b32 exec_lo, exec_lo, s2
                                        ; implicit-def: $vgpr6
.LBB98_26:                              ;   in Loop: Header=BB98_10 Depth=1
	s_and_not1_saveexec_b32 s2, s39
; %bb.27:                               ;   in Loop: Header=BB98_10 Depth=1
	v_cmp_eq_u64_e32 vcc_lo, 0, v[1:2]
	v_or_b32_e32 v5, 0x7f, v6
	s_delay_alu instid0(VALU_DEP_1)
	v_cndmask_b32_e32 v7, v5, v7, vcc_lo
; %bb.28:                               ;   in Loop: Header=BB98_10 Depth=1
	s_or_b32 exec_lo, exec_lo, s2
	v_lshlrev_b32_e32 v1, 16, v11
	v_mov_b32_e32 v13, v2
	global_store_b8 v[3:4], v7, off
	s_mov_b32 s2, exec_lo
	v_div_scale_f32 v5, null, s8, s8, v1
	s_delay_alu instid0(VALU_DEP_1) | instskip(SKIP_2) | instid1(VALU_DEP_1)
	v_rcp_f32_e32 v6, v5
	s_waitcnt_depctr 0xfff
	v_fma_f32 v8, -v5, v6, 1.0
	v_fmac_f32_e32 v6, v8, v6
	v_div_scale_f32 v8, vcc_lo, v1, s8, v1
	s_delay_alu instid0(VALU_DEP_1) | instskip(NEXT) | instid1(VALU_DEP_1)
	v_mul_f32_e32 v11, v8, v6
	v_fma_f32 v12, -v5, v11, v8
	s_delay_alu instid0(VALU_DEP_1) | instskip(NEXT) | instid1(VALU_DEP_1)
	v_fmac_f32_e32 v11, v12, v6
	v_fma_f32 v5, -v5, v11, v8
	s_delay_alu instid0(VALU_DEP_1) | instskip(NEXT) | instid1(VALU_DEP_1)
	v_div_fmas_f32 v5, v5, v6, v11
	v_div_fixup_f32 v5, v5, s8, v1
	s_delay_alu instid0(VALU_DEP_1) | instskip(SKIP_2) | instid1(VALU_DEP_2)
	v_and_b32_e32 v12, 0x7f800000, v5
	v_lshrrev_b32_e32 v8, 24, v5
	v_and_b32_e32 v1, 0x7fffff, v5
	v_and_b32_e32 v11, 0x80, v8
	s_delay_alu instid0(VALU_DEP_1)
	v_or_b32_e32 v6, 0x7e, v11
	v_cmpx_ne_u64_e32 0x7f800000, v[12:13]
	s_xor_b32 s39, exec_lo, s2
	s_cbranch_execz .LBB98_44
; %bb.29:                               ;   in Loop: Header=BB98_10 Depth=1
	v_dual_mov_b32 v8, v2 :: v_dual_and_b32 v7, 0x7fffffff, v5
	s_mov_b32 s2, exec_lo
	s_delay_alu instid0(VALU_DEP_1)
	v_cmpx_gt_u64_e32 0x43e00001, v[7:8]
	s_xor_b32 s40, exec_lo, s2
	s_cbranch_execz .LBB98_43
; %bb.30:                               ;   in Loop: Header=BB98_10 Depth=1
	v_mov_b32_e32 v6, 0
	s_mov_b32 s41, exec_lo
	v_cmpx_ne_u32_e32 0, v5
	s_cbranch_execz .LBB98_42
; %bb.31:                               ;   in Loop: Header=BB98_10 Depth=1
	v_bfe_u32 v12, v5, 23, 8
	v_or_b32_e32 v7, 0x800000, v1
	s_delay_alu instid0(VALU_DEP_2) | instskip(SKIP_1) | instid1(VALU_DEP_2)
	v_sub_nc_u32_e32 v5, 0x79, v12
	v_cmp_gt_u32_e32 vcc_lo, 0x7a, v12
	v_cndmask_b32_e32 v5, 0, v5, vcc_lo
	v_cmp_eq_u32_e32 vcc_lo, 0, v12
	s_delay_alu instid0(VALU_DEP_2) | instskip(SKIP_1) | instid1(VALU_DEP_2)
	v_cndmask_b32_e64 v13, v5, 0x78, vcc_lo
	v_cndmask_b32_e32 v1, v7, v1, vcc_lo
	v_add_nc_u32_e32 v5, 20, v13
	v_add_nc_u32_e32 v7, 19, v13
	s_delay_alu instid0(VALU_DEP_2) | instskip(NEXT) | instid1(VALU_DEP_2)
	v_lshlrev_b64 v[5:6], v5, -1
	v_lshlrev_b64 v[7:8], v7, 1
	s_delay_alu instid0(VALU_DEP_2) | instskip(NEXT) | instid1(VALU_DEP_3)
	v_not_b32_e32 v6, v6
	v_not_b32_e32 v5, v5
	s_delay_alu instid0(VALU_DEP_2) | instskip(NEXT) | instid1(VALU_DEP_2)
	v_and_b32_e32 v15, 0, v6
	v_and_b32_e32 v14, v1, v5
	v_lshrrev_b64 v[5:6], v13, v[1:2]
	s_delay_alu instid0(VALU_DEP_2) | instskip(NEXT) | instid1(VALU_DEP_2)
	v_cmp_eq_u64_e64 s2, v[14:15], v[7:8]
	v_dual_mov_b32 v8, v6 :: v_dual_mov_b32 v7, v5
	s_delay_alu instid0(VALU_DEP_2)
	s_and_saveexec_b32 s42, s2
; %bb.32:                               ;   in Loop: Header=BB98_10 Depth=1
	v_bfe_u32 v1, v5, 20, 1
	s_delay_alu instid0(VALU_DEP_1) | instskip(NEXT) | instid1(VALU_DEP_1)
	v_add_co_u32 v1, s2, v5, v1
	v_add_co_u32 v7, s2, v1, -1
; %bb.33:                               ;   in Loop: Header=BB98_10 Depth=1
	s_or_b32 exec_lo, exec_lo, s42
	v_add_nc_u32_e32 v1, 0xffffff81, v12
	v_lshrrev_b32_e32 v8, 23, v5
	s_mov_b32 s2, exec_lo
	s_delay_alu instid0(VALU_DEP_2) | instskip(NEXT) | instid1(VALU_DEP_1)
	v_cndmask_b32_e64 v1, v1, 0xffffff82, vcc_lo
	v_add3_u32 v8, v13, v1, v8
	v_and_b32_e32 v1, 0xfffff, v7
	s_delay_alu instid0(VALU_DEP_2) | instskip(NEXT) | instid1(VALU_DEP_2)
	v_add_nc_u32_e32 v7, 6, v8
	v_add_co_u32 v5, vcc_lo, v1, v5
	v_add_co_ci_u32_e32 v6, vcc_lo, 0, v6, vcc_lo
                                        ; implicit-def: $vgpr1
	s_delay_alu instid0(VALU_DEP_3)
	v_cmpx_ne_u32_e32 0, v7
	s_xor_b32 s2, exec_lo, s2
; %bb.34:                               ;   in Loop: Header=BB98_10 Depth=1
	s_delay_alu instid0(VALU_DEP_2) | instskip(SKIP_1) | instid1(VALU_DEP_1)
	v_cmp_lt_u64_e32 vcc_lo, 0xffffff, v[5:6]
	v_add_nc_u32_e32 v1, 7, v8
	v_cndmask_b32_e32 v1, v7, v1, vcc_lo
	v_cndmask_b32_e64 v7, 0, 1, vcc_lo
	s_delay_alu instid0(VALU_DEP_1)
	v_lshrrev_b64 v[5:6], v7, v[5:6]
; %bb.35:                               ;   in Loop: Header=BB98_10 Depth=1
	s_and_not1_saveexec_b32 s2, s2
; %bb.36:                               ;   in Loop: Header=BB98_10 Depth=1
	s_delay_alu instid0(VALU_DEP_1)
	v_bfe_u32 v1, v5, 23, 1
; %bb.37:                               ;   in Loop: Header=BB98_10 Depth=1
	s_or_b32 exec_lo, exec_lo, s2
	s_delay_alu instid0(VALU_DEP_2) | instskip(NEXT) | instid1(VALU_DEP_2)
	v_lshrrev_b64 v[5:6], 20, v[5:6]
	v_cmp_gt_i32_e32 vcc_lo, 16, v1
	v_cmp_ne_u32_e64 s2, 0, v1
	s_delay_alu instid0(VALU_DEP_3) | instskip(NEXT) | instid1(VALU_DEP_1)
	v_dual_cndmask_b32 v6, 0, v6 :: v_dual_cndmask_b32 v5, 7, v5
	v_cmp_ne_u64_e32 vcc_lo, 0, v[5:6]
                                        ; implicit-def: $vgpr6
	s_delay_alu instid0(VALU_DEP_3) | instskip(NEXT) | instid1(SALU_CYCLE_1)
	s_or_b32 s2, s2, vcc_lo
	s_and_saveexec_b32 s42, s2
	s_delay_alu instid0(SALU_CYCLE_1)
	s_xor_b32 s2, exec_lo, s42
; %bb.38:                               ;   in Loop: Header=BB98_10 Depth=1
	v_min_i32_e32 v1, 15, v1
	s_delay_alu instid0(VALU_DEP_1) | instskip(NEXT) | instid1(VALU_DEP_1)
	v_lshl_or_b32 v1, v1, 3, v11
                                        ; implicit-def: $vgpr11
	v_and_or_b32 v6, v5, 7, v1
; %bb.39:                               ;   in Loop: Header=BB98_10 Depth=1
	s_and_not1_saveexec_b32 s2, s2
; %bb.40:                               ;   in Loop: Header=BB98_10 Depth=1
	v_mov_b32_e32 v6, v11
; %bb.41:                               ;   in Loop: Header=BB98_10 Depth=1
	s_or_b32 exec_lo, exec_lo, s2
.LBB98_42:                              ;   in Loop: Header=BB98_10 Depth=1
	s_delay_alu instid0(SALU_CYCLE_1)
	s_or_b32 exec_lo, exec_lo, s41
.LBB98_43:                              ;   in Loop: Header=BB98_10 Depth=1
	s_and_not1_saveexec_b32 s2, s40
	s_delay_alu instid0(SALU_CYCLE_1)
	s_or_b32 exec_lo, exec_lo, s2
                                        ; implicit-def: $vgpr8
.LBB98_44:                              ;   in Loop: Header=BB98_10 Depth=1
	s_and_not1_saveexec_b32 s2, s39
	s_cbranch_execz .LBB98_9
; %bb.45:                               ;   in Loop: Header=BB98_10 Depth=1
	v_cmp_eq_u64_e32 vcc_lo, 0, v[1:2]
	v_or_b32_e32 v5, 0x7f, v8
	s_delay_alu instid0(VALU_DEP_1)
	v_cndmask_b32_e32 v6, v5, v6, vcc_lo
	s_branch .LBB98_9
.LBB98_46:
	s_or_b32 exec_lo, exec_lo, s35
	s_delay_alu instid0(SALU_CYCLE_1)
	s_mov_b32 s2, exec_lo
	v_cmpx_gt_i32_e64 s6, v0
	s_cbranch_execz .LBB98_67
; %bb.47:
	s_mul_i32 s3, s16, s11
	s_mul_hi_u32 s8, s16, s10
	s_mul_i32 s2, s16, s10
	s_add_i32 s3, s8, s3
	s_load_b32 s0, s[0:1], 0x8c
	s_lshl_b64 s[2:3], s[2:3], 1
	v_mov_b32_e32 v3, 0
	s_add_u32 s1, s14, s2
	s_addc_u32 s2, s15, s3
	s_waitcnt lgkmcnt(0)
	s_load_b32 s3, s[24:25], 0x0
	s_ashr_i32 s4, s4, 31
	s_delay_alu instid0(SALU_CYCLE_1) | instskip(NEXT) | instid1(SALU_CYCLE_1)
	s_mul_i32 s4, s22, s4
	s_add_i32 s4, s30, s4
	s_delay_alu instid0(SALU_CYCLE_1) | instskip(SKIP_3) | instid1(SALU_CYCLE_1)
	s_add_i32 s4, s4, s31
	s_add_u32 s8, s18, s34
	s_addc_u32 s9, s19, s4
	s_ashr_i32 s4, s5, 31
	s_mul_i32 s7, s7, s4
	s_delay_alu instid0(SALU_CYCLE_1) | instskip(NEXT) | instid1(SALU_CYCLE_1)
	s_add_i32 s4, s29, s7
	s_add_i32 s5, s4, s23
	s_add_u32 s4, s8, s28
	s_addc_u32 s5, s9, s5
	s_and_b32 s7, s0, 0xffff
	s_mov_b32 s8, 0
	s_branch .LBB98_49
.LBB98_48:                              ;   in Loop: Header=BB98_49 Depth=1
	s_or_b32 exec_lo, exec_lo, s0
	v_add_co_u32 v6, vcc_lo, s4, v0
	v_add_nc_u32_e32 v0, s7, v0
	v_add_co_ci_u32_e32 v7, vcc_lo, s5, v1, vcc_lo
	s_delay_alu instid0(VALU_DEP_2) | instskip(SKIP_2) | instid1(SALU_CYCLE_1)
	v_cmp_le_i32_e32 vcc_lo, s6, v0
	global_store_b8 v[6:7], v5, off
	s_or_b32 s8, vcc_lo, s8
	s_and_not1_b32 exec_lo, exec_lo, s8
	s_cbranch_execz .LBB98_67
.LBB98_49:                              ; =>This Inner Loop Header: Depth=1
	v_ashrrev_i32_e32 v1, 31, v0
	s_mov_b32 s0, exec_lo
	v_mov_b32_e32 v10, v3
	s_delay_alu instid0(VALU_DEP_2) | instskip(NEXT) | instid1(VALU_DEP_1)
	v_lshlrev_b64 v[4:5], 1, v[0:1]
	v_add_co_u32 v4, vcc_lo, s1, v4
	s_delay_alu instid0(VALU_DEP_2) | instskip(SKIP_4) | instid1(VALU_DEP_1)
	v_add_co_ci_u32_e32 v5, vcc_lo, s2, v5, vcc_lo
	global_load_u16 v2, v[4:5], off
	s_waitcnt vmcnt(0)
	v_lshlrev_b32_e32 v2, 16, v2
	s_waitcnt lgkmcnt(0)
	v_div_scale_f32 v4, null, s3, s3, v2
	s_delay_alu instid0(VALU_DEP_1) | instskip(SKIP_2) | instid1(VALU_DEP_1)
	v_rcp_f32_e32 v5, v4
	s_waitcnt_depctr 0xfff
	v_fma_f32 v6, -v4, v5, 1.0
	v_fmac_f32_e32 v5, v6, v5
	v_div_scale_f32 v6, vcc_lo, v2, s3, v2
	s_delay_alu instid0(VALU_DEP_1) | instskip(NEXT) | instid1(VALU_DEP_1)
	v_mul_f32_e32 v7, v6, v5
	v_fma_f32 v8, -v4, v7, v6
	s_delay_alu instid0(VALU_DEP_1) | instskip(NEXT) | instid1(VALU_DEP_1)
	v_fmac_f32_e32 v7, v8, v5
	v_fma_f32 v4, -v4, v7, v6
	s_delay_alu instid0(VALU_DEP_1) | instskip(NEXT) | instid1(VALU_DEP_1)
	v_div_fmas_f32 v4, v4, v5, v7
	v_div_fixup_f32 v4, v4, s3, v2
	s_delay_alu instid0(VALU_DEP_1) | instskip(SKIP_2) | instid1(VALU_DEP_3)
	v_lshrrev_b32_e32 v6, 24, v4
	v_and_b32_e32 v9, 0x7f800000, v4
	v_and_b32_e32 v2, 0x7fffff, v4
	;; [unrolled: 1-line block ×3, first 2 shown]
	s_delay_alu instid0(VALU_DEP_1) | instskip(NEXT) | instid1(VALU_DEP_4)
	v_or_b32_e32 v5, 0x7e, v8
	v_cmpx_ne_u64_e32 0x7f800000, v[9:10]
	s_xor_b32 s9, exec_lo, s0
	s_cbranch_execz .LBB98_65
; %bb.50:                               ;   in Loop: Header=BB98_49 Depth=1
	v_dual_mov_b32 v7, v3 :: v_dual_and_b32 v6, 0x7fffffff, v4
	s_mov_b32 s0, exec_lo
	s_delay_alu instid0(VALU_DEP_1)
	v_cmpx_gt_u64_e32 0x43e00001, v[6:7]
	s_xor_b32 s10, exec_lo, s0
	s_cbranch_execz .LBB98_64
; %bb.51:                               ;   in Loop: Header=BB98_49 Depth=1
	v_mov_b32_e32 v5, 0
	s_mov_b32 s11, exec_lo
	v_cmpx_ne_u32_e32 0, v4
	s_cbranch_execz .LBB98_63
; %bb.52:                               ;   in Loop: Header=BB98_49 Depth=1
	v_bfe_u32 v9, v4, 23, 8
	v_or_b32_e32 v6, 0x800000, v2
	s_delay_alu instid0(VALU_DEP_2) | instskip(SKIP_1) | instid1(VALU_DEP_2)
	v_sub_nc_u32_e32 v4, 0x79, v9
	v_cmp_gt_u32_e32 vcc_lo, 0x7a, v9
	v_cndmask_b32_e32 v4, 0, v4, vcc_lo
	v_cmp_eq_u32_e32 vcc_lo, 0, v9
	s_delay_alu instid0(VALU_DEP_2) | instskip(SKIP_1) | instid1(VALU_DEP_2)
	v_cndmask_b32_e64 v10, v4, 0x78, vcc_lo
	v_cndmask_b32_e32 v2, v6, v2, vcc_lo
	v_add_nc_u32_e32 v4, 20, v10
	v_add_nc_u32_e32 v6, 19, v10
	s_delay_alu instid0(VALU_DEP_2) | instskip(NEXT) | instid1(VALU_DEP_2)
	v_lshlrev_b64 v[4:5], v4, -1
	v_lshlrev_b64 v[6:7], v6, 1
	s_delay_alu instid0(VALU_DEP_2) | instskip(NEXT) | instid1(VALU_DEP_3)
	v_not_b32_e32 v5, v5
	v_not_b32_e32 v4, v4
	s_delay_alu instid0(VALU_DEP_2) | instskip(NEXT) | instid1(VALU_DEP_2)
	v_and_b32_e32 v12, 0, v5
	v_and_b32_e32 v11, v2, v4
	v_lshrrev_b64 v[4:5], v10, v[2:3]
	s_delay_alu instid0(VALU_DEP_2) | instskip(NEXT) | instid1(VALU_DEP_2)
	v_cmp_eq_u64_e64 s0, v[11:12], v[6:7]
	v_dual_mov_b32 v7, v5 :: v_dual_mov_b32 v6, v4
	s_delay_alu instid0(VALU_DEP_2)
	s_and_saveexec_b32 s12, s0
; %bb.53:                               ;   in Loop: Header=BB98_49 Depth=1
	v_bfe_u32 v2, v4, 20, 1
	s_delay_alu instid0(VALU_DEP_1) | instskip(NEXT) | instid1(VALU_DEP_1)
	v_add_co_u32 v2, s0, v4, v2
	v_add_co_u32 v6, s0, v2, -1
; %bb.54:                               ;   in Loop: Header=BB98_49 Depth=1
	s_or_b32 exec_lo, exec_lo, s12
	v_add_nc_u32_e32 v2, 0xffffff81, v9
	v_lshrrev_b32_e32 v7, 23, v4
	s_mov_b32 s0, exec_lo
	s_delay_alu instid0(VALU_DEP_2) | instskip(NEXT) | instid1(VALU_DEP_1)
	v_cndmask_b32_e64 v2, v2, 0xffffff82, vcc_lo
	v_add3_u32 v7, v10, v2, v7
	v_and_b32_e32 v2, 0xfffff, v6
	s_delay_alu instid0(VALU_DEP_2) | instskip(NEXT) | instid1(VALU_DEP_2)
	v_add_nc_u32_e32 v6, 6, v7
	v_add_co_u32 v4, vcc_lo, v2, v4
	v_add_co_ci_u32_e32 v5, vcc_lo, 0, v5, vcc_lo
                                        ; implicit-def: $vgpr2
	s_delay_alu instid0(VALU_DEP_3)
	v_cmpx_ne_u32_e32 0, v6
	s_xor_b32 s0, exec_lo, s0
; %bb.55:                               ;   in Loop: Header=BB98_49 Depth=1
	s_delay_alu instid0(VALU_DEP_2) | instskip(SKIP_1) | instid1(VALU_DEP_1)
	v_cmp_lt_u64_e32 vcc_lo, 0xffffff, v[4:5]
	v_add_nc_u32_e32 v2, 7, v7
	v_cndmask_b32_e32 v2, v6, v2, vcc_lo
	v_cndmask_b32_e64 v6, 0, 1, vcc_lo
	s_delay_alu instid0(VALU_DEP_1)
	v_lshrrev_b64 v[4:5], v6, v[4:5]
; %bb.56:                               ;   in Loop: Header=BB98_49 Depth=1
	s_and_not1_saveexec_b32 s0, s0
; %bb.57:                               ;   in Loop: Header=BB98_49 Depth=1
	s_delay_alu instid0(VALU_DEP_1)
	v_bfe_u32 v2, v4, 23, 1
; %bb.58:                               ;   in Loop: Header=BB98_49 Depth=1
	s_or_b32 exec_lo, exec_lo, s0
	s_delay_alu instid0(VALU_DEP_2) | instskip(NEXT) | instid1(VALU_DEP_2)
	v_lshrrev_b64 v[4:5], 20, v[4:5]
	v_cmp_gt_i32_e32 vcc_lo, 16, v2
	v_cmp_ne_u32_e64 s0, 0, v2
	s_delay_alu instid0(VALU_DEP_3) | instskip(NEXT) | instid1(VALU_DEP_1)
	v_dual_cndmask_b32 v5, 0, v5 :: v_dual_cndmask_b32 v4, 7, v4
	v_cmp_ne_u64_e32 vcc_lo, 0, v[4:5]
                                        ; implicit-def: $vgpr5
	s_delay_alu instid0(VALU_DEP_3) | instskip(NEXT) | instid1(SALU_CYCLE_1)
	s_or_b32 s0, s0, vcc_lo
	s_and_saveexec_b32 s12, s0
	s_delay_alu instid0(SALU_CYCLE_1)
	s_xor_b32 s0, exec_lo, s12
; %bb.59:                               ;   in Loop: Header=BB98_49 Depth=1
	v_min_i32_e32 v2, 15, v2
	s_delay_alu instid0(VALU_DEP_1) | instskip(NEXT) | instid1(VALU_DEP_1)
	v_lshl_or_b32 v2, v2, 3, v8
                                        ; implicit-def: $vgpr8
	v_and_or_b32 v5, v4, 7, v2
; %bb.60:                               ;   in Loop: Header=BB98_49 Depth=1
	s_and_not1_saveexec_b32 s0, s0
; %bb.61:                               ;   in Loop: Header=BB98_49 Depth=1
	v_mov_b32_e32 v5, v8
; %bb.62:                               ;   in Loop: Header=BB98_49 Depth=1
	s_or_b32 exec_lo, exec_lo, s0
.LBB98_63:                              ;   in Loop: Header=BB98_49 Depth=1
	s_delay_alu instid0(SALU_CYCLE_1)
	s_or_b32 exec_lo, exec_lo, s11
.LBB98_64:                              ;   in Loop: Header=BB98_49 Depth=1
	s_and_not1_saveexec_b32 s0, s10
	s_delay_alu instid0(SALU_CYCLE_1)
	s_or_b32 exec_lo, exec_lo, s0
                                        ; implicit-def: $vgpr6
.LBB98_65:                              ;   in Loop: Header=BB98_49 Depth=1
	s_and_not1_saveexec_b32 s0, s9
	s_cbranch_execz .LBB98_48
; %bb.66:                               ;   in Loop: Header=BB98_49 Depth=1
	v_cmp_eq_u64_e32 vcc_lo, 0, v[2:3]
	v_or_b32_e32 v4, 0x7f, v6
	s_delay_alu instid0(VALU_DEP_1)
	v_cndmask_b32_e32 v5, v4, v5, vcc_lo
	s_branch .LBB98_48
.LBB98_67:
	s_nop 0
	s_sendmsg sendmsg(MSG_DEALLOC_VGPRS)
	s_endpgm
.LBB98_68:
                                        ; implicit-def: $sgpr22_sgpr23
	s_branch .LBB98_6
	.section	.rodata,"a",@progbits
	.p2align	6, 0x0
	.amdhsa_kernel _ZN4vllm38concat_and_cache_mla_rope_fused_kernelIN3c104HalfES2_Lb1E14__hip_bfloat16hLNS_18Fp8KVCacheDataTypeE1EEEvPKlPT_S8_PKS7_PKT0_illlliPT3_S6_iiiiPKf
		.amdhsa_group_segment_fixed_size 0
		.amdhsa_private_segment_fixed_size 0
		.amdhsa_kernarg_size 384
		.amdhsa_user_sgpr_count 15
		.amdhsa_user_sgpr_dispatch_ptr 0
		.amdhsa_user_sgpr_queue_ptr 0
		.amdhsa_user_sgpr_kernarg_segment_ptr 1
		.amdhsa_user_sgpr_dispatch_id 0
		.amdhsa_user_sgpr_private_segment_size 0
		.amdhsa_wavefront_size32 1
		.amdhsa_uses_dynamic_stack 0
		.amdhsa_enable_private_segment 0
		.amdhsa_system_sgpr_workgroup_id_x 1
		.amdhsa_system_sgpr_workgroup_id_y 0
		.amdhsa_system_sgpr_workgroup_id_z 0
		.amdhsa_system_sgpr_workgroup_info 0
		.amdhsa_system_vgpr_workitem_id 0
		.amdhsa_next_free_vgpr 21
		.amdhsa_next_free_sgpr 46
		.amdhsa_reserve_vcc 1
		.amdhsa_float_round_mode_32 0
		.amdhsa_float_round_mode_16_64 0
		.amdhsa_float_denorm_mode_32 3
		.amdhsa_float_denorm_mode_16_64 3
		.amdhsa_dx10_clamp 1
		.amdhsa_ieee_mode 1
		.amdhsa_fp16_overflow 0
		.amdhsa_workgroup_processor_mode 1
		.amdhsa_memory_ordered 1
		.amdhsa_forward_progress 0
		.amdhsa_shared_vgpr_count 0
		.amdhsa_exception_fp_ieee_invalid_op 0
		.amdhsa_exception_fp_denorm_src 0
		.amdhsa_exception_fp_ieee_div_zero 0
		.amdhsa_exception_fp_ieee_overflow 0
		.amdhsa_exception_fp_ieee_underflow 0
		.amdhsa_exception_fp_ieee_inexact 0
		.amdhsa_exception_int_div_zero 0
	.end_amdhsa_kernel
	.section	.text._ZN4vllm38concat_and_cache_mla_rope_fused_kernelIN3c104HalfES2_Lb1E14__hip_bfloat16hLNS_18Fp8KVCacheDataTypeE1EEEvPKlPT_S8_PKS7_PKT0_illlliPT3_S6_iiiiPKf,"axG",@progbits,_ZN4vllm38concat_and_cache_mla_rope_fused_kernelIN3c104HalfES2_Lb1E14__hip_bfloat16hLNS_18Fp8KVCacheDataTypeE1EEEvPKlPT_S8_PKS7_PKT0_illlliPT3_S6_iiiiPKf,comdat
.Lfunc_end98:
	.size	_ZN4vllm38concat_and_cache_mla_rope_fused_kernelIN3c104HalfES2_Lb1E14__hip_bfloat16hLNS_18Fp8KVCacheDataTypeE1EEEvPKlPT_S8_PKS7_PKT0_illlliPT3_S6_iiiiPKf, .Lfunc_end98-_ZN4vllm38concat_and_cache_mla_rope_fused_kernelIN3c104HalfES2_Lb1E14__hip_bfloat16hLNS_18Fp8KVCacheDataTypeE1EEEvPKlPT_S8_PKS7_PKT0_illlliPT3_S6_iiiiPKf
                                        ; -- End function
	.section	.AMDGPU.csdata,"",@progbits
; Kernel info:
; codeLenInByte = 4392
; NumSgprs: 48
; NumVgprs: 21
; ScratchSize: 0
; MemoryBound: 0
; FloatMode: 240
; IeeeMode: 1
; LDSByteSize: 0 bytes/workgroup (compile time only)
; SGPRBlocks: 5
; VGPRBlocks: 2
; NumSGPRsForWavesPerEU: 48
; NumVGPRsForWavesPerEU: 21
; Occupancy: 16
; WaveLimiterHint : 1
; COMPUTE_PGM_RSRC2:SCRATCH_EN: 0
; COMPUTE_PGM_RSRC2:USER_SGPR: 15
; COMPUTE_PGM_RSRC2:TRAP_HANDLER: 0
; COMPUTE_PGM_RSRC2:TGID_X_EN: 1
; COMPUTE_PGM_RSRC2:TGID_Y_EN: 0
; COMPUTE_PGM_RSRC2:TGID_Z_EN: 0
; COMPUTE_PGM_RSRC2:TIDIG_COMP_CNT: 0
	.section	.text._ZN4vllm38concat_and_cache_mla_rope_fused_kernelIN3c104HalfES2_Lb0E14__hip_bfloat16hLNS_18Fp8KVCacheDataTypeE1EEEvPKlPT_S8_PKS7_PKT0_illlliPT3_S6_iiiiPKf,"axG",@progbits,_ZN4vllm38concat_and_cache_mla_rope_fused_kernelIN3c104HalfES2_Lb0E14__hip_bfloat16hLNS_18Fp8KVCacheDataTypeE1EEEvPKlPT_S8_PKS7_PKT0_illlliPT3_S6_iiiiPKf,comdat
	.protected	_ZN4vllm38concat_and_cache_mla_rope_fused_kernelIN3c104HalfES2_Lb0E14__hip_bfloat16hLNS_18Fp8KVCacheDataTypeE1EEEvPKlPT_S8_PKS7_PKT0_illlliPT3_S6_iiiiPKf ; -- Begin function _ZN4vllm38concat_and_cache_mla_rope_fused_kernelIN3c104HalfES2_Lb0E14__hip_bfloat16hLNS_18Fp8KVCacheDataTypeE1EEEvPKlPT_S8_PKS7_PKT0_illlliPT3_S6_iiiiPKf
	.globl	_ZN4vllm38concat_and_cache_mla_rope_fused_kernelIN3c104HalfES2_Lb0E14__hip_bfloat16hLNS_18Fp8KVCacheDataTypeE1EEEvPKlPT_S8_PKS7_PKT0_illlliPT3_S6_iiiiPKf
	.p2align	8
	.type	_ZN4vllm38concat_and_cache_mla_rope_fused_kernelIN3c104HalfES2_Lb0E14__hip_bfloat16hLNS_18Fp8KVCacheDataTypeE1EEEvPKlPT_S8_PKS7_PKT0_illlliPT3_S6_iiiiPKf,@function
_ZN4vllm38concat_and_cache_mla_rope_fused_kernelIN3c104HalfES2_Lb0E14__hip_bfloat16hLNS_18Fp8KVCacheDataTypeE1EEEvPKlPT_S8_PKS7_PKT0_illlliPT3_S6_iiiiPKf: ; @_ZN4vllm38concat_and_cache_mla_rope_fused_kernelIN3c104HalfES2_Lb0E14__hip_bfloat16hLNS_18Fp8KVCacheDataTypeE1EEEvPKlPT_S8_PKS7_PKT0_illlliPT3_S6_iiiiPKf
; %bb.0:
	s_load_b64 s[4:5], s[0:1], 0x60
	s_mov_b32 s16, s15
	s_mov_b32 s17, 0
	s_delay_alu instid0(SALU_CYCLE_1)
	s_lshl_b64 s[2:3], s[16:17], 3
	s_waitcnt lgkmcnt(0)
	s_add_u32 s4, s4, s2
	s_addc_u32 s5, s5, s3
	s_load_b64 s[26:27], s[4:5], 0x0
	s_waitcnt lgkmcnt(0)
	v_cmp_lt_i64_e64 s4, s[26:27], 0
	s_delay_alu instid0(VALU_DEP_1)
	s_and_b32 vcc_lo, exec_lo, s4
	s_cbranch_vccnz .LBB99_67
; %bb.1:
	s_clause 0x3
	s_load_b32 s21, s[0:1], 0x28
	s_load_b64 s[4:5], s[0:1], 0x0
	s_load_b128 s[12:15], s[0:1], 0x10
	s_load_b32 s17, s[0:1], 0x50
	v_lshlrev_b32_e32 v3, 1, v0
	s_waitcnt lgkmcnt(0)
	s_ashr_i32 s24, s21, 31
	s_add_u32 s2, s4, s2
	s_addc_u32 s3, s5, s3
	s_lshr_b32 s20, s21, 31
	s_load_b64 s[22:23], s[2:3], 0x0
	s_clause 0x2
	s_load_b64 s[2:3], s[0:1], 0x20
	s_load_b64 s[18:19], s[0:1], 0x58
	s_load_b256 s[4:11], s[0:1], 0x30
	s_add_i32 s20, s21, s20
	s_delay_alu instid0(SALU_CYCLE_1) | instskip(NEXT) | instid1(SALU_CYCLE_1)
	s_ashr_i32 s20, s20, 1
	s_mul_i32 s17, s20, s17
	s_waitcnt lgkmcnt(0)
	s_mul_i32 s24, s22, s24
	s_mul_hi_u32 s25, s22, s21
	s_mul_i32 s23, s23, s21
	s_add_i32 s24, s25, s24
	s_mul_i32 s28, s22, s21
	s_add_i32 s29, s24, s23
	s_mov_b32 s22, exec_lo
	v_cmpx_gt_i32_e64 s17, v0
	s_cbranch_execz .LBB99_4
; %bb.2:
	s_clause 0x1
	s_load_b64 s[30:31], s[0:1], 0x8
	s_load_b32 s34, s[0:1], 0x8c
	s_lshl_b64 s[24:25], s[28:29], 1
	s_mul_i32 s5, s16, s5
	s_mul_hi_u32 s21, s16, s4
	s_add_u32 s23, s2, s24
	s_mul_i32 s4, s16, s4
	s_addc_u32 s24, s3, s25
	s_add_i32 s5, s21, s5
	s_ashr_i32 s21, s20, 31
	s_lshl_b64 s[4:5], s[4:5], 1
	s_mov_b32 s33, 0
	s_waitcnt lgkmcnt(0)
	s_add_u32 s25, s30, s4
	s_addc_u32 s30, s31, s5
	s_abs_i32 s31, s20
	s_and_b32 s34, s34, 0xffff
	v_cvt_f32_u32_e32 v1, s31
	s_sub_i32 s4, 0, s31
	s_sub_i32 s35, 0, s20
	s_lshl_b32 s37, s34, 1
	s_delay_alu instid0(VALU_DEP_1) | instskip(SKIP_2) | instid1(VALU_DEP_1)
	v_rcp_iflag_f32_e32 v1, v1
	s_waitcnt_depctr 0xfff
	v_mul_f32_e32 v1, 0x4f7ffffe, v1
	v_cvt_u32_f32_e32 v2, v1
	s_delay_alu instid0(VALU_DEP_1) | instskip(SKIP_1) | instid1(SALU_CYCLE_1)
	v_mul_lo_u32 v1, s4, v2
	s_lshl_b32 s4, s20, 1
	s_sub_i32 s36, 0, s4
	s_lshl_b64 s[4:5], s[20:21], 1
	s_delay_alu instid0(VALU_DEP_1) | instskip(NEXT) | instid1(VALU_DEP_1)
	v_mul_hi_u32 v4, v2, v1
	v_dual_mov_b32 v1, v3 :: v_dual_add_nc_u32 v4, v2, v4
	v_mov_b32_e32 v2, v0
.LBB99_3:                               ; =>This Inner Loop Header: Depth=1
	s_delay_alu instid0(VALU_DEP_1) | instskip(SKIP_1) | instid1(VALU_DEP_2)
	v_sub_nc_u32_e32 v5, 0, v2
	v_ashrrev_i32_e32 v6, 31, v2
	v_max_i32_e32 v5, v2, v5
	s_delay_alu instid0(VALU_DEP_2) | instskip(NEXT) | instid1(VALU_DEP_2)
	v_xor_b32_e32 v6, s21, v6
	v_mul_hi_u32 v7, v5, v4
	s_delay_alu instid0(VALU_DEP_1) | instskip(SKIP_1) | instid1(VALU_DEP_2)
	v_mul_lo_u32 v8, v7, s31
	v_add_nc_u32_e32 v9, 1, v7
	v_sub_nc_u32_e32 v5, v5, v8
	s_delay_alu instid0(VALU_DEP_1) | instskip(SKIP_1) | instid1(VALU_DEP_4)
	v_subrev_nc_u32_e32 v8, s31, v5
	v_cmp_le_u32_e32 vcc_lo, s31, v5
	v_cndmask_b32_e32 v7, v7, v9, vcc_lo
	s_delay_alu instid0(VALU_DEP_1) | instskip(NEXT) | instid1(VALU_DEP_1)
	v_dual_cndmask_b32 v5, v5, v8 :: v_dual_add_nc_u32 v8, 1, v7
	v_cmp_le_u32_e32 vcc_lo, s31, v5
	s_delay_alu instid0(VALU_DEP_2) | instskip(NEXT) | instid1(VALU_DEP_1)
	v_cndmask_b32_e32 v5, v7, v8, vcc_lo
	v_xor_b32_e32 v5, v5, v6
	s_delay_alu instid0(VALU_DEP_1) | instskip(NEXT) | instid1(VALU_DEP_1)
	v_sub_nc_u32_e32 v11, v5, v6
	v_mad_u64_u32 v[5:6], null, s35, v11, v[2:3]
	v_ashrrev_i32_e32 v6, 31, v11
	v_mul_lo_u32 v12, v11, s7
	v_mad_u64_u32 v[7:8], null, v11, s6, 0
	v_mad_u64_u32 v[9:10], null, s36, v11, v[1:2]
	s_delay_alu instid0(VALU_DEP_4) | instskip(SKIP_3) | instid1(VALU_DEP_3)
	v_mul_lo_u32 v11, v6, s6
	v_ashrrev_i32_e32 v6, 31, v5
	v_add_nc_u32_e32 v2, s34, v2
	v_add_nc_u32_e32 v1, s37, v1
	v_lshlrev_b64 v[5:6], 1, v[5:6]
	v_ashrrev_i32_e32 v10, 31, v9
	v_add3_u32 v8, v8, v12, v11
	s_delay_alu instid0(VALU_DEP_3) | instskip(NEXT) | instid1(VALU_DEP_2)
	v_add_co_u32 v5, vcc_lo, s23, v5
	v_lshlrev_b64 v[7:8], 1, v[7:8]
	s_delay_alu instid0(VALU_DEP_4) | instskip(SKIP_1) | instid1(VALU_DEP_3)
	v_lshlrev_b64 v[9:10], 1, v[9:10]
	v_add_co_ci_u32_e32 v6, vcc_lo, s24, v6, vcc_lo
	v_add_co_u32 v7, vcc_lo, s25, v7
	s_delay_alu instid0(VALU_DEP_4) | instskip(NEXT) | instid1(VALU_DEP_2)
	v_add_co_ci_u32_e32 v8, vcc_lo, s30, v8, vcc_lo
	v_add_co_u32 v7, vcc_lo, v7, v9
	s_delay_alu instid0(VALU_DEP_2)
	v_add_co_ci_u32_e32 v8, vcc_lo, v8, v10, vcc_lo
	v_add_co_u32 v9, vcc_lo, v5, s4
	v_add_co_ci_u32_e32 v10, vcc_lo, s5, v6, vcc_lo
	global_load_b32 v11, v[7:8], off
	s_clause 0x1
	global_load_u16 v5, v[5:6], off
	global_load_u16 v6, v[9:10], off
	v_cmp_le_i32_e32 vcc_lo, s17, v2
	s_or_b32 s33, vcc_lo, s33
	s_waitcnt vmcnt(2)
	v_lshrrev_b32_e32 v9, 16, v11
	s_waitcnt vmcnt(0)
	s_delay_alu instid0(VALU_DEP_1) | instskip(SKIP_1) | instid1(VALU_DEP_2)
	v_mul_f16_e32 v10, v6, v9
	v_mul_f16_e32 v9, v5, v9
	v_fma_f16 v5, v5, v11, -v10
	s_delay_alu instid0(VALU_DEP_2) | instskip(NEXT) | instid1(VALU_DEP_1)
	v_fmac_f16_e32 v9, v6, v11
	v_pack_b32_f16 v5, v5, v9
	global_store_b32 v[7:8], v5, off
	s_and_not1_b32 exec_lo, exec_lo, s33
	s_cbranch_execnz .LBB99_3
.LBB99_4:
	s_or_b32 exec_lo, exec_lo, s22
	s_load_b128 s[4:7], s[0:1], 0x68
	s_waitcnt lgkmcnt(0)
	s_ashr_i32 s31, s7, 31
	s_mov_b32 s30, s7
	s_delay_alu instid0(SALU_CYCLE_1) | instskip(SKIP_1) | instid1(SALU_CYCLE_1)
	s_or_b64 s[24:25], s[26:27], s[30:31]
	s_mov_b32 s24, 0
	s_cmp_lg_u64 s[24:25], 0
	s_cbranch_scc0 .LBB99_68
; %bb.5:
	s_add_u32 s34, s30, s31
	s_mov_b32 s22, s31
	s_mov_b32 s23, s31
	s_addc_u32 s35, s31, s31
	s_delay_alu instid0(SALU_CYCLE_1) | instskip(NEXT) | instid1(SALU_CYCLE_1)
	s_xor_b64 s[34:35], s[34:35], s[22:23]
	v_cvt_f32_u32_e32 v1, s34
	v_cvt_f32_u32_e32 v2, s35
	s_sub_u32 s21, 0, s34
	s_subb_u32 s25, 0, s35
	s_delay_alu instid0(VALU_DEP_1) | instskip(NEXT) | instid1(VALU_DEP_1)
	v_fmamk_f32 v1, v2, 0x4f800000, v1
	v_rcp_f32_e32 v1, v1
	s_waitcnt_depctr 0xfff
	v_mul_f32_e32 v1, 0x5f7ffffc, v1
	s_delay_alu instid0(VALU_DEP_1) | instskip(NEXT) | instid1(VALU_DEP_1)
	v_mul_f32_e32 v2, 0x2f800000, v1
	v_trunc_f32_e32 v2, v2
	s_delay_alu instid0(VALU_DEP_1) | instskip(SKIP_1) | instid1(VALU_DEP_2)
	v_fmamk_f32 v1, v2, 0xcf800000, v1
	v_cvt_u32_f32_e32 v2, v2
	v_cvt_u32_f32_e32 v1, v1
	s_delay_alu instid0(VALU_DEP_2) | instskip(NEXT) | instid1(VALU_DEP_2)
	v_readfirstlane_b32 s7, v2
	v_readfirstlane_b32 s17, v1
	s_delay_alu instid0(VALU_DEP_2) | instskip(NEXT) | instid1(VALU_DEP_1)
	s_mul_i32 s33, s21, s7
	s_mul_hi_u32 s37, s21, s17
	s_mul_i32 s36, s25, s17
	s_add_i32 s33, s37, s33
	s_mul_i32 s38, s21, s17
	s_add_i32 s33, s33, s36
	s_mul_hi_u32 s37, s17, s38
	s_mul_hi_u32 s39, s7, s38
	s_mul_i32 s36, s7, s38
	s_mul_hi_u32 s38, s17, s33
	s_mul_i32 s17, s17, s33
	s_mul_hi_u32 s40, s7, s33
	s_add_u32 s17, s37, s17
	s_addc_u32 s37, 0, s38
	s_add_u32 s17, s17, s36
	s_mul_i32 s33, s7, s33
	s_addc_u32 s17, s37, s39
	s_addc_u32 s36, s40, 0
	s_add_u32 s17, s17, s33
	s_addc_u32 s33, 0, s36
	v_add_co_u32 v1, s17, v1, s17
	s_delay_alu instid0(VALU_DEP_1) | instskip(SKIP_1) | instid1(VALU_DEP_1)
	s_cmp_lg_u32 s17, 0
	s_addc_u32 s7, s7, s33
	v_readfirstlane_b32 s17, v1
	s_mul_i32 s33, s21, s7
	s_delay_alu instid0(VALU_DEP_1)
	s_mul_hi_u32 s36, s21, s17
	s_mul_i32 s25, s25, s17
	s_add_i32 s33, s36, s33
	s_mul_i32 s21, s21, s17
	s_add_i32 s33, s33, s25
	s_mul_hi_u32 s36, s7, s21
	s_mul_i32 s37, s7, s21
	s_mul_hi_u32 s21, s17, s21
	s_mul_hi_u32 s38, s17, s33
	s_mul_i32 s17, s17, s33
	s_mul_hi_u32 s25, s7, s33
	s_add_u32 s17, s21, s17
	s_addc_u32 s21, 0, s38
	s_add_u32 s17, s17, s37
	s_mul_i32 s33, s7, s33
	s_addc_u32 s17, s21, s36
	s_addc_u32 s21, s25, 0
	s_add_u32 s17, s17, s33
	s_addc_u32 s21, 0, s21
	v_add_co_u32 v1, s17, v1, s17
	s_delay_alu instid0(VALU_DEP_1) | instskip(SKIP_2) | instid1(VALU_DEP_1)
	s_cmp_lg_u32 s17, 0
	s_addc_u32 s7, s7, s21
	s_ashr_i32 s36, s27, 31
	v_readfirstlane_b32 s17, v1
	s_add_u32 s38, s26, s36
	s_mov_b32 s37, s36
	s_addc_u32 s39, s27, s36
	s_delay_alu instid0(SALU_CYCLE_1) | instskip(NEXT) | instid1(SALU_CYCLE_1)
	s_xor_b64 s[38:39], s[38:39], s[36:37]
	s_mul_i32 s25, s38, s7
	s_mul_hi_u32 s33, s38, s17
	s_mul_hi_u32 s21, s38, s7
	;; [unrolled: 1-line block ×3, first 2 shown]
	s_mul_i32 s17, s39, s17
	s_add_u32 s25, s33, s25
	s_addc_u32 s21, 0, s21
	s_mul_hi_u32 s40, s39, s7
	s_add_u32 s17, s25, s17
	s_mul_i32 s7, s39, s7
	s_addc_u32 s17, s21, s41
	s_addc_u32 s21, s40, 0
	s_add_u32 s7, s17, s7
	s_addc_u32 s17, 0, s21
	s_mul_hi_u32 s21, s34, s7
	s_mul_i32 s33, s34, s17
	s_mul_i32 s40, s34, s7
	s_add_i32 s21, s21, s33
	v_sub_co_u32 v1, s33, s38, s40
	s_mul_i32 s25, s35, s7
	s_delay_alu instid0(SALU_CYCLE_1) | instskip(NEXT) | instid1(VALU_DEP_1)
	s_add_i32 s21, s21, s25
	v_sub_co_u32 v2, s38, v1, s34
	s_sub_i32 s25, s39, s21
	s_cmp_lg_u32 s33, 0
	s_subb_u32 s25, s25, s35
	s_cmp_lg_u32 s38, 0
	v_readfirstlane_b32 s38, v2
	s_subb_u32 s25, s25, 0
	s_delay_alu instid0(SALU_CYCLE_1) | instskip(SKIP_1) | instid1(VALU_DEP_1)
	s_cmp_ge_u32 s25, s35
	s_cselect_b32 s40, -1, 0
	s_cmp_ge_u32 s38, s34
	s_cselect_b32 s38, -1, 0
	s_cmp_eq_u32 s25, s35
	s_cselect_b32 s25, s38, s40
	s_add_u32 s38, s7, 1
	s_addc_u32 s40, s17, 0
	s_add_u32 s41, s7, 2
	s_addc_u32 s42, s17, 0
	s_cmp_lg_u32 s25, 0
	s_cselect_b32 s25, s41, s38
	s_cselect_b32 s38, s42, s40
	s_cmp_lg_u32 s33, 0
	v_readfirstlane_b32 s33, v1
	s_subb_u32 s21, s39, s21
	s_delay_alu instid0(SALU_CYCLE_1) | instskip(SKIP_1) | instid1(VALU_DEP_1)
	s_cmp_ge_u32 s21, s35
	s_cselect_b32 s39, -1, 0
	s_cmp_ge_u32 s33, s34
	s_cselect_b32 s33, -1, 0
	s_cmp_eq_u32 s21, s35
	s_cselect_b32 s21, s33, s39
	s_delay_alu instid0(SALU_CYCLE_1) | instskip(SKIP_3) | instid1(SALU_CYCLE_1)
	s_cmp_lg_u32 s21, 0
	s_cselect_b32 s35, s38, s17
	s_cselect_b32 s34, s25, s7
	s_xor_b64 s[22:23], s[36:37], s[22:23]
	s_xor_b64 s[34:35], s[34:35], s[22:23]
	s_delay_alu instid0(SALU_CYCLE_1)
	s_sub_u32 s22, s34, s22
	s_subb_u32 s23, s35, s23
	s_and_not1_b32 vcc_lo, exec_lo, s24
	s_cbranch_vccnz .LBB99_7
.LBB99_6:
	v_cvt_f32_u32_e32 v1, s30
	s_sub_i32 s17, 0, s30
	s_mov_b32 s23, 0
	s_delay_alu instid0(VALU_DEP_1) | instskip(SKIP_2) | instid1(VALU_DEP_1)
	v_rcp_iflag_f32_e32 v1, v1
	s_waitcnt_depctr 0xfff
	v_mul_f32_e32 v1, 0x4f7ffffe, v1
	v_cvt_u32_f32_e32 v1, v1
	s_delay_alu instid0(VALU_DEP_1) | instskip(NEXT) | instid1(VALU_DEP_1)
	v_readfirstlane_b32 s7, v1
	s_mul_i32 s17, s17, s7
	s_delay_alu instid0(SALU_CYCLE_1) | instskip(NEXT) | instid1(SALU_CYCLE_1)
	s_mul_hi_u32 s17, s7, s17
	s_add_i32 s7, s7, s17
	s_delay_alu instid0(SALU_CYCLE_1) | instskip(NEXT) | instid1(SALU_CYCLE_1)
	s_mul_hi_u32 s7, s26, s7
	s_mul_i32 s17, s7, s30
	s_add_i32 s21, s7, 1
	s_sub_i32 s17, s26, s17
	s_delay_alu instid0(SALU_CYCLE_1)
	s_sub_i32 s22, s17, s30
	s_cmp_ge_u32 s17, s30
	s_cselect_b32 s7, s21, s7
	s_cselect_b32 s17, s22, s17
	s_add_i32 s21, s7, 1
	s_cmp_ge_u32 s17, s30
	s_cselect_b32 s22, s21, s7
.LBB99_7:
	s_load_b64 s[24:25], s[0:1], 0x78
	s_mul_i32 s7, s22, s31
	s_mul_hi_u32 s17, s22, s30
	s_mul_i32 s21, s22, s30
	s_add_i32 s7, s17, s7
	s_mul_i32 s17, s23, s30
	s_mul_i32 s30, s23, s4
	s_add_i32 s17, s7, s17
	s_sub_u32 s7, s26, s21
	s_subb_u32 s17, s27, s17
	s_mul_hi_u32 s27, s22, s4
	s_mul_i32 s31, s22, s4
	s_mul_hi_u32 s26, s7, s5
	s_mul_i32 s17, s17, s5
	s_mul_i32 s23, s7, s5
	s_mov_b32 s33, exec_lo
	v_cmpx_gt_i32_e64 s20, v0
	s_cbranch_execz .LBB99_46
; %bb.8:
	s_load_b32 s35, s[0:1], 0x8c
	s_ashr_i32 s38, s4, 31
	s_ashr_i32 s39, s5, 31
	s_lshl_b64 s[36:37], s[28:29], 1
	s_mul_i32 s28, s22, s38
	s_mul_i32 s29, s7, s39
	s_add_i32 s28, s27, s28
	s_add_i32 s29, s26, s29
	s_ashr_i32 s21, s20, 31
	s_ashr_i32 s40, s6, 31
	s_add_i32 s38, s28, s30
	s_add_i32 s29, s29, s17
	s_waitcnt lgkmcnt(0)
	s_load_b32 s34, s[24:25], 0x0
	s_mul_i32 s9, s9, s16
	v_lshlrev_b32_e32 v1, 2, v0
	v_mov_b32_e32 v17, v0
	s_and_b32 s28, s35, 0xffff
	s_add_u32 s2, s2, s36
	s_addc_u32 s35, s3, s37
	s_lshl_b32 s3, s28, 1
	s_lshl_b64 s[36:37], s[20:21], 1
	v_add_co_u32 v11, s2, s2, v3
	s_add_u32 s21, s31, s23
	v_add_co_ci_u32_e64 v12, null, s35, 0, s2
	s_addc_u32 s2, s38, s29
	s_add_u32 s29, s18, s6
	s_addc_u32 s35, s19, s40
	s_add_u32 s21, s29, s21
	s_mul_hi_u32 s29, s8, s16
	s_addc_u32 s2, s35, s2
	s_add_i32 s9, s29, s9
	s_mul_i32 s8, s8, s16
	v_add_co_u32 v2, s21, s21, v3
	s_lshl_b64 s[8:9], s[8:9], 1
	v_add_co_ci_u32_e64 v3, null, s2, 0, s21
	s_add_u32 s2, s12, s8
	v_add_co_u32 v13, vcc_lo, v11, s36
	s_addc_u32 s8, s13, s9
	v_add_co_u32 v1, s2, s2, v1
	v_add_co_ci_u32_e32 v14, vcc_lo, s37, v12, vcc_lo
	v_add_co_ci_u32_e64 v4, null, s8, 0, s2
	v_add_co_u32 v15, vcc_lo, v2, 1
	v_add_co_ci_u32_e32 v16, vcc_lo, 0, v3, vcc_lo
	v_add_co_u32 v1, vcc_lo, v1, 2
	s_delay_alu instid0(VALU_DEP_4)
	v_add_co_ci_u32_e32 v2, vcc_lo, 0, v4, vcc_lo
	v_mov_b32_e32 v4, 0
	s_mov_b32 s12, 0
	s_lshl_b32 s13, s28, 2
	s_mov_b64 s[8:9], 0
	s_branch .LBB99_10
.LBB99_9:                               ;   in Loop: Header=BB99_10 Depth=1
	s_or_b32 exec_lo, exec_lo, s2
	v_add_nc_u32_e32 v17, s28, v17
	v_add_co_u32 v1, s2, v1, s13
	s_delay_alu instid0(VALU_DEP_1) | instskip(NEXT) | instid1(VALU_DEP_3)
	v_add_co_ci_u32_e64 v2, s2, 0, v2, s2
	v_cmp_le_i32_e32 vcc_lo, s20, v17
	s_add_u32 s8, s8, s3
	s_addc_u32 s9, s9, 0
	global_store_b8 v[5:6], v8, off
	s_or_b32 s12, vcc_lo, s12
	s_delay_alu instid0(SALU_CYCLE_1)
	s_and_not1_b32 exec_lo, exec_lo, s12
	s_cbranch_execz .LBB99_46
.LBB99_10:                              ; =>This Inner Loop Header: Depth=1
	v_add_co_u32 v5, vcc_lo, v13, s8
	v_add_co_ci_u32_e32 v6, vcc_lo, s9, v14, vcc_lo
	global_load_b32 v3, v[1:2], off offset:-2
	v_add_co_u32 v7, vcc_lo, v11, s8
	v_add_co_ci_u32_e32 v8, vcc_lo, s9, v12, vcc_lo
	s_clause 0x1
	global_load_u16 v10, v[5:6], off
	global_load_u16 v6, v[7:8], off
	s_waitcnt vmcnt(2)
	v_lshrrev_b32_e32 v7, 16, v3
	s_waitcnt vmcnt(1)
	s_delay_alu instid0(VALU_DEP_1) | instskip(SKIP_1) | instid1(VALU_DEP_1)
	v_mul_f16_e32 v5, v10, v7
	s_waitcnt vmcnt(0)
	v_fma_f16 v18, v6, v3, -v5
	s_delay_alu instid0(VALU_DEP_1) | instskip(SKIP_1) | instid1(VALU_DEP_1)
	v_lshlrev_b32_e32 v5, 16, v18
	s_waitcnt lgkmcnt(0)
	v_div_scale_f32 v8, null, s34, s34, v5
	s_delay_alu instid0(VALU_DEP_1) | instskip(SKIP_2) | instid1(VALU_DEP_1)
	v_rcp_f32_e32 v9, v8
	s_waitcnt_depctr 0xfff
	v_fma_f32 v19, -v8, v9, 1.0
	v_fmac_f32_e32 v9, v19, v9
	v_div_scale_f32 v19, vcc_lo, v5, s34, v5
	s_delay_alu instid0(VALU_DEP_1) | instskip(NEXT) | instid1(VALU_DEP_1)
	v_mul_f32_e32 v20, v19, v9
	v_fma_f32 v21, -v8, v20, v19
	s_delay_alu instid0(VALU_DEP_1) | instskip(NEXT) | instid1(VALU_DEP_1)
	v_fmac_f32_e32 v20, v21, v9
	v_fma_f32 v8, -v8, v20, v19
	s_delay_alu instid0(VALU_DEP_1) | instskip(SKIP_1) | instid1(VALU_DEP_2)
	v_div_fmas_f32 v8, v8, v9, v20
	v_mul_f16_e32 v9, v6, v7
	v_div_fixup_f32 v5, v8, s34, v5
	v_mov_b32_e32 v8, v4
	s_delay_alu instid0(VALU_DEP_3) | instskip(NEXT) | instid1(VALU_DEP_3)
	v_fmac_f16_e32 v9, v10, v3
	v_lshrrev_b32_e32 v6, 24, v5
	v_and_b32_e32 v7, 0x7f800000, v5
	s_delay_alu instid0(VALU_DEP_3) | instskip(SKIP_1) | instid1(VALU_DEP_4)
	v_pack_b32_f16 v18, v18, v9
	v_and_b32_e32 v3, 0x7fffff, v5
	v_and_b32_e32 v10, 0x80, v6
	s_delay_alu instid0(VALU_DEP_4) | instskip(SKIP_3) | instid1(SALU_CYCLE_1)
	v_cmp_ne_u64_e32 vcc_lo, 0x7f800000, v[7:8]
	global_store_b32 v[1:2], v18, off offset:-2
	v_or_b32_e32 v7, 0x7e, v10
	s_and_saveexec_b32 s2, vcc_lo
	s_xor_b32 s21, exec_lo, s2
	s_cbranch_execz .LBB99_26
; %bb.11:                               ;   in Loop: Header=BB99_10 Depth=1
	v_dual_mov_b32 v19, v4 :: v_dual_and_b32 v18, 0x7fffffff, v5
	s_mov_b32 s2, exec_lo
	s_delay_alu instid0(VALU_DEP_1)
	v_cmpx_gt_u64_e32 0x43e00001, v[18:19]
	s_xor_b32 s29, exec_lo, s2
	s_cbranch_execz .LBB99_25
; %bb.12:                               ;   in Loop: Header=BB99_10 Depth=1
	v_mov_b32_e32 v7, 0
	s_mov_b32 s35, exec_lo
	v_cmpx_ne_u32_e32 0, v5
	s_cbranch_execz .LBB99_24
; %bb.13:                               ;   in Loop: Header=BB99_10 Depth=1
	v_bfe_u32 v18, v5, 23, 8
	v_or_b32_e32 v7, 0x800000, v3
	s_delay_alu instid0(VALU_DEP_2) | instskip(SKIP_1) | instid1(VALU_DEP_2)
	v_sub_nc_u32_e32 v5, 0x79, v18
	v_cmp_gt_u32_e32 vcc_lo, 0x7a, v18
	v_cndmask_b32_e32 v5, 0, v5, vcc_lo
	v_cmp_eq_u32_e32 vcc_lo, 0, v18
	s_delay_alu instid0(VALU_DEP_2) | instskip(SKIP_1) | instid1(VALU_DEP_2)
	v_cndmask_b32_e64 v19, v5, 0x78, vcc_lo
	v_cndmask_b32_e32 v3, v7, v3, vcc_lo
	v_add_nc_u32_e32 v5, 20, v19
	v_add_nc_u32_e32 v7, 19, v19
	s_delay_alu instid0(VALU_DEP_2) | instskip(NEXT) | instid1(VALU_DEP_2)
	v_lshlrev_b64 v[5:6], v5, -1
	v_lshlrev_b64 v[7:8], v7, 1
	s_delay_alu instid0(VALU_DEP_2) | instskip(NEXT) | instid1(VALU_DEP_3)
	v_not_b32_e32 v6, v6
	v_not_b32_e32 v5, v5
	s_delay_alu instid0(VALU_DEP_2) | instskip(NEXT) | instid1(VALU_DEP_2)
	v_and_b32_e32 v21, 0, v6
	v_and_b32_e32 v20, v3, v5
	v_lshrrev_b64 v[5:6], v19, v[3:4]
	s_delay_alu instid0(VALU_DEP_2) | instskip(NEXT) | instid1(VALU_DEP_2)
	v_cmp_eq_u64_e64 s2, v[20:21], v[7:8]
	v_dual_mov_b32 v8, v6 :: v_dual_mov_b32 v7, v5
	s_delay_alu instid0(VALU_DEP_2)
	s_and_saveexec_b32 s36, s2
; %bb.14:                               ;   in Loop: Header=BB99_10 Depth=1
	v_bfe_u32 v3, v5, 20, 1
	s_delay_alu instid0(VALU_DEP_1) | instskip(NEXT) | instid1(VALU_DEP_1)
	v_add_co_u32 v3, s2, v5, v3
	v_add_co_u32 v7, s2, v3, -1
; %bb.15:                               ;   in Loop: Header=BB99_10 Depth=1
	s_or_b32 exec_lo, exec_lo, s36
	v_add_nc_u32_e32 v3, 0xffffff81, v18
	v_lshrrev_b32_e32 v8, 23, v5
	s_mov_b32 s2, exec_lo
	s_delay_alu instid0(VALU_DEP_2) | instskip(NEXT) | instid1(VALU_DEP_1)
	v_cndmask_b32_e64 v3, v3, 0xffffff82, vcc_lo
	v_add3_u32 v8, v19, v3, v8
	v_and_b32_e32 v3, 0xfffff, v7
	s_delay_alu instid0(VALU_DEP_2) | instskip(NEXT) | instid1(VALU_DEP_2)
	v_add_nc_u32_e32 v7, 6, v8
	v_add_co_u32 v5, vcc_lo, v3, v5
	v_add_co_ci_u32_e32 v6, vcc_lo, 0, v6, vcc_lo
                                        ; implicit-def: $vgpr3
	s_delay_alu instid0(VALU_DEP_3)
	v_cmpx_ne_u32_e32 0, v7
	s_xor_b32 s2, exec_lo, s2
; %bb.16:                               ;   in Loop: Header=BB99_10 Depth=1
	s_delay_alu instid0(VALU_DEP_2) | instskip(SKIP_1) | instid1(VALU_DEP_1)
	v_cmp_lt_u64_e32 vcc_lo, 0xffffff, v[5:6]
	v_add_nc_u32_e32 v3, 7, v8
	v_cndmask_b32_e32 v3, v7, v3, vcc_lo
	v_cndmask_b32_e64 v7, 0, 1, vcc_lo
	s_delay_alu instid0(VALU_DEP_1)
	v_lshrrev_b64 v[5:6], v7, v[5:6]
; %bb.17:                               ;   in Loop: Header=BB99_10 Depth=1
	s_and_not1_saveexec_b32 s2, s2
; %bb.18:                               ;   in Loop: Header=BB99_10 Depth=1
	s_delay_alu instid0(VALU_DEP_1)
	v_bfe_u32 v3, v5, 23, 1
; %bb.19:                               ;   in Loop: Header=BB99_10 Depth=1
	s_or_b32 exec_lo, exec_lo, s2
	s_delay_alu instid0(VALU_DEP_2) | instskip(NEXT) | instid1(VALU_DEP_2)
	v_lshrrev_b64 v[5:6], 20, v[5:6]
	v_cmp_gt_i32_e32 vcc_lo, 16, v3
	v_cmp_ne_u32_e64 s2, 0, v3
                                        ; implicit-def: $vgpr7
	s_delay_alu instid0(VALU_DEP_3) | instskip(NEXT) | instid1(VALU_DEP_1)
	v_dual_cndmask_b32 v6, 0, v6 :: v_dual_cndmask_b32 v5, 7, v5
	v_cmp_ne_u64_e32 vcc_lo, 0, v[5:6]
	s_delay_alu instid0(VALU_DEP_3) | instskip(NEXT) | instid1(SALU_CYCLE_1)
	s_or_b32 s2, s2, vcc_lo
	s_and_saveexec_b32 s36, s2
	s_delay_alu instid0(SALU_CYCLE_1)
	s_xor_b32 s2, exec_lo, s36
; %bb.20:                               ;   in Loop: Header=BB99_10 Depth=1
	v_min_i32_e32 v3, 15, v3
	s_delay_alu instid0(VALU_DEP_1) | instskip(NEXT) | instid1(VALU_DEP_1)
	v_lshl_or_b32 v3, v3, 3, v10
                                        ; implicit-def: $vgpr10
	v_and_or_b32 v7, v5, 7, v3
; %bb.21:                               ;   in Loop: Header=BB99_10 Depth=1
	s_and_not1_saveexec_b32 s2, s2
; %bb.22:                               ;   in Loop: Header=BB99_10 Depth=1
	v_mov_b32_e32 v7, v10
; %bb.23:                               ;   in Loop: Header=BB99_10 Depth=1
	s_or_b32 exec_lo, exec_lo, s2
.LBB99_24:                              ;   in Loop: Header=BB99_10 Depth=1
	s_delay_alu instid0(SALU_CYCLE_1)
	s_or_b32 exec_lo, exec_lo, s35
.LBB99_25:                              ;   in Loop: Header=BB99_10 Depth=1
	s_and_not1_saveexec_b32 s2, s29
	s_delay_alu instid0(SALU_CYCLE_1)
	s_or_b32 exec_lo, exec_lo, s2
                                        ; implicit-def: $vgpr6
.LBB99_26:                              ;   in Loop: Header=BB99_10 Depth=1
	s_and_not1_saveexec_b32 s2, s21
; %bb.27:                               ;   in Loop: Header=BB99_10 Depth=1
	v_cmp_eq_u64_e32 vcc_lo, 0, v[3:4]
	v_or_b32_e32 v5, 0x7f, v6
	s_delay_alu instid0(VALU_DEP_1)
	v_cndmask_b32_e32 v7, v5, v7, vcc_lo
; %bb.28:                               ;   in Loop: Header=BB99_10 Depth=1
	s_or_b32 exec_lo, exec_lo, s2
	v_dual_mov_b32 v20, v4 :: v_dual_lshlrev_b32 v3, 16, v9
	s_mov_b32 s2, exec_lo
	s_delay_alu instid0(VALU_DEP_1) | instskip(NEXT) | instid1(VALU_DEP_1)
	v_div_scale_f32 v5, null, s34, s34, v3
	v_rcp_f32_e32 v6, v5
	s_waitcnt_depctr 0xfff
	v_fma_f32 v8, -v5, v6, 1.0
	s_delay_alu instid0(VALU_DEP_1) | instskip(SKIP_1) | instid1(VALU_DEP_1)
	v_fmac_f32_e32 v6, v8, v6
	v_div_scale_f32 v9, vcc_lo, v3, s34, v3
	v_mul_f32_e32 v8, v9, v6
	s_delay_alu instid0(VALU_DEP_1) | instskip(NEXT) | instid1(VALU_DEP_1)
	v_fma_f32 v10, -v5, v8, v9
	v_fmac_f32_e32 v8, v10, v6
	s_delay_alu instid0(VALU_DEP_1) | instskip(NEXT) | instid1(VALU_DEP_1)
	v_fma_f32 v5, -v5, v8, v9
	v_div_fmas_f32 v5, v5, v6, v8
	s_delay_alu instid0(VALU_DEP_1) | instskip(SKIP_2) | instid1(VALU_DEP_3)
	v_div_fixup_f32 v9, v5, s34, v3
	v_add_co_u32 v5, vcc_lo, v15, s8
	v_add_co_ci_u32_e32 v6, vcc_lo, s9, v16, vcc_lo
	v_and_b32_e32 v3, 0x7fffff, v9
	v_lshrrev_b32_e32 v10, 24, v9
	v_and_b32_e32 v19, 0x7f800000, v9
	global_store_b8 v[5:6], v7, off offset:-1
	v_and_b32_e32 v18, 0x80, v10
	s_delay_alu instid0(VALU_DEP_1)
	v_or_b32_e32 v8, 0x7e, v18
	v_cmpx_ne_u64_e32 0x7f800000, v[19:20]
	s_xor_b32 s21, exec_lo, s2
	s_cbranch_execz .LBB99_44
; %bb.29:                               ;   in Loop: Header=BB99_10 Depth=1
	v_dual_mov_b32 v20, v4 :: v_dual_and_b32 v19, 0x7fffffff, v9
	s_mov_b32 s2, exec_lo
	s_delay_alu instid0(VALU_DEP_1)
	v_cmpx_gt_u64_e32 0x43e00001, v[19:20]
	s_xor_b32 s29, exec_lo, s2
	s_cbranch_execz .LBB99_43
; %bb.30:                               ;   in Loop: Header=BB99_10 Depth=1
	v_mov_b32_e32 v8, 0
	s_mov_b32 s35, exec_lo
	v_cmpx_ne_u32_e32 0, v9
	s_cbranch_execz .LBB99_42
; %bb.31:                               ;   in Loop: Header=BB99_10 Depth=1
	v_bfe_u32 v19, v9, 23, 8
	v_or_b32_e32 v9, 0x800000, v3
	s_delay_alu instid0(VALU_DEP_2) | instskip(SKIP_1) | instid1(VALU_DEP_2)
	v_sub_nc_u32_e32 v7, 0x79, v19
	v_cmp_gt_u32_e32 vcc_lo, 0x7a, v19
	v_cndmask_b32_e32 v7, 0, v7, vcc_lo
	v_cmp_eq_u32_e32 vcc_lo, 0, v19
	s_delay_alu instid0(VALU_DEP_2) | instskip(SKIP_1) | instid1(VALU_DEP_2)
	v_cndmask_b32_e64 v20, v7, 0x78, vcc_lo
	v_cndmask_b32_e32 v3, v9, v3, vcc_lo
	v_add_nc_u32_e32 v7, 20, v20
	v_add_nc_u32_e32 v9, 19, v20
	s_delay_alu instid0(VALU_DEP_2) | instskip(NEXT) | instid1(VALU_DEP_2)
	v_lshlrev_b64 v[7:8], v7, -1
	v_lshlrev_b64 v[9:10], v9, 1
	s_delay_alu instid0(VALU_DEP_2) | instskip(NEXT) | instid1(VALU_DEP_3)
	v_not_b32_e32 v8, v8
	v_not_b32_e32 v7, v7
	s_delay_alu instid0(VALU_DEP_2) | instskip(NEXT) | instid1(VALU_DEP_2)
	v_and_b32_e32 v22, 0, v8
	v_and_b32_e32 v21, v3, v7
	v_lshrrev_b64 v[7:8], v20, v[3:4]
	s_delay_alu instid0(VALU_DEP_2) | instskip(NEXT) | instid1(VALU_DEP_2)
	v_cmp_eq_u64_e64 s2, v[21:22], v[9:10]
	v_dual_mov_b32 v10, v8 :: v_dual_mov_b32 v9, v7
	s_delay_alu instid0(VALU_DEP_2)
	s_and_saveexec_b32 s36, s2
; %bb.32:                               ;   in Loop: Header=BB99_10 Depth=1
	v_bfe_u32 v3, v7, 20, 1
	s_delay_alu instid0(VALU_DEP_1) | instskip(NEXT) | instid1(VALU_DEP_1)
	v_add_co_u32 v3, s2, v7, v3
	v_add_co_u32 v9, s2, v3, -1
; %bb.33:                               ;   in Loop: Header=BB99_10 Depth=1
	s_or_b32 exec_lo, exec_lo, s36
	v_add_nc_u32_e32 v3, 0xffffff81, v19
	v_lshrrev_b32_e32 v10, 23, v7
	s_mov_b32 s2, exec_lo
	s_delay_alu instid0(VALU_DEP_2) | instskip(NEXT) | instid1(VALU_DEP_1)
	v_cndmask_b32_e64 v3, v3, 0xffffff82, vcc_lo
	v_add3_u32 v10, v20, v3, v10
	v_and_b32_e32 v3, 0xfffff, v9
	s_delay_alu instid0(VALU_DEP_2) | instskip(NEXT) | instid1(VALU_DEP_2)
	v_add_nc_u32_e32 v9, 6, v10
	v_add_co_u32 v7, vcc_lo, v3, v7
	v_add_co_ci_u32_e32 v8, vcc_lo, 0, v8, vcc_lo
                                        ; implicit-def: $vgpr3
	s_delay_alu instid0(VALU_DEP_3)
	v_cmpx_ne_u32_e32 0, v9
	s_xor_b32 s2, exec_lo, s2
; %bb.34:                               ;   in Loop: Header=BB99_10 Depth=1
	s_delay_alu instid0(VALU_DEP_2) | instskip(SKIP_1) | instid1(VALU_DEP_1)
	v_cmp_lt_u64_e32 vcc_lo, 0xffffff, v[7:8]
	v_add_nc_u32_e32 v3, 7, v10
	v_cndmask_b32_e32 v3, v9, v3, vcc_lo
	v_cndmask_b32_e64 v9, 0, 1, vcc_lo
	s_delay_alu instid0(VALU_DEP_1)
	v_lshrrev_b64 v[7:8], v9, v[7:8]
; %bb.35:                               ;   in Loop: Header=BB99_10 Depth=1
	s_and_not1_saveexec_b32 s2, s2
; %bb.36:                               ;   in Loop: Header=BB99_10 Depth=1
	s_delay_alu instid0(VALU_DEP_1)
	v_bfe_u32 v3, v7, 23, 1
; %bb.37:                               ;   in Loop: Header=BB99_10 Depth=1
	s_or_b32 exec_lo, exec_lo, s2
	s_delay_alu instid0(VALU_DEP_2) | instskip(NEXT) | instid1(VALU_DEP_2)
	v_lshrrev_b64 v[7:8], 20, v[7:8]
	v_cmp_gt_i32_e32 vcc_lo, 16, v3
	v_cmp_ne_u32_e64 s2, 0, v3
	s_delay_alu instid0(VALU_DEP_3) | instskip(NEXT) | instid1(VALU_DEP_1)
	v_dual_cndmask_b32 v8, 0, v8 :: v_dual_cndmask_b32 v7, 7, v7
	v_cmp_ne_u64_e32 vcc_lo, 0, v[7:8]
                                        ; implicit-def: $vgpr8
	s_delay_alu instid0(VALU_DEP_3) | instskip(NEXT) | instid1(SALU_CYCLE_1)
	s_or_b32 s2, s2, vcc_lo
	s_and_saveexec_b32 s36, s2
	s_delay_alu instid0(SALU_CYCLE_1)
	s_xor_b32 s2, exec_lo, s36
; %bb.38:                               ;   in Loop: Header=BB99_10 Depth=1
	v_min_i32_e32 v3, 15, v3
	s_delay_alu instid0(VALU_DEP_1) | instskip(NEXT) | instid1(VALU_DEP_1)
	v_lshl_or_b32 v3, v3, 3, v18
                                        ; implicit-def: $vgpr18
	v_and_or_b32 v8, v7, 7, v3
; %bb.39:                               ;   in Loop: Header=BB99_10 Depth=1
	s_and_not1_saveexec_b32 s2, s2
; %bb.40:                               ;   in Loop: Header=BB99_10 Depth=1
	v_mov_b32_e32 v8, v18
; %bb.41:                               ;   in Loop: Header=BB99_10 Depth=1
	s_or_b32 exec_lo, exec_lo, s2
.LBB99_42:                              ;   in Loop: Header=BB99_10 Depth=1
	s_delay_alu instid0(SALU_CYCLE_1)
	s_or_b32 exec_lo, exec_lo, s35
.LBB99_43:                              ;   in Loop: Header=BB99_10 Depth=1
	s_and_not1_saveexec_b32 s2, s29
	s_delay_alu instid0(SALU_CYCLE_1)
	s_or_b32 exec_lo, exec_lo, s2
                                        ; implicit-def: $vgpr10
.LBB99_44:                              ;   in Loop: Header=BB99_10 Depth=1
	s_and_not1_saveexec_b32 s2, s21
	s_cbranch_execz .LBB99_9
; %bb.45:                               ;   in Loop: Header=BB99_10 Depth=1
	v_cmp_eq_u64_e32 vcc_lo, 0, v[3:4]
	v_or_b32_e32 v7, 0x7f, v10
	s_delay_alu instid0(VALU_DEP_1)
	v_cndmask_b32_e32 v8, v7, v8, vcc_lo
	s_branch .LBB99_9
.LBB99_46:
	s_or_b32 exec_lo, exec_lo, s33
	s_delay_alu instid0(SALU_CYCLE_1)
	s_mov_b32 s2, exec_lo
	v_cmpx_gt_i32_e64 s6, v0
	s_cbranch_execz .LBB99_67
; %bb.47:
	s_mul_i32 s3, s16, s11
	s_mul_hi_u32 s8, s16, s10
	s_mul_i32 s2, s16, s10
	s_add_i32 s3, s8, s3
	s_load_b32 s0, s[0:1], 0x8c
	s_lshl_b64 s[2:3], s[2:3], 1
	v_mov_b32_e32 v3, 0
	s_add_u32 s1, s14, s2
	s_addc_u32 s2, s15, s3
	s_waitcnt lgkmcnt(0)
	s_load_b32 s3, s[24:25], 0x0
	s_ashr_i32 s4, s4, 31
	s_delay_alu instid0(SALU_CYCLE_1) | instskip(NEXT) | instid1(SALU_CYCLE_1)
	s_mul_i32 s4, s22, s4
	s_add_i32 s4, s27, s4
	s_delay_alu instid0(SALU_CYCLE_1) | instskip(SKIP_3) | instid1(SALU_CYCLE_1)
	s_add_i32 s4, s4, s30
	s_add_u32 s8, s18, s31
	s_addc_u32 s9, s19, s4
	s_ashr_i32 s4, s5, 31
	s_mul_i32 s7, s7, s4
	s_delay_alu instid0(SALU_CYCLE_1) | instskip(NEXT) | instid1(SALU_CYCLE_1)
	s_add_i32 s4, s26, s7
	s_add_i32 s5, s4, s17
	s_add_u32 s4, s8, s23
	s_addc_u32 s5, s9, s5
	s_and_b32 s7, s0, 0xffff
	s_mov_b32 s8, 0
	s_branch .LBB99_49
.LBB99_48:                              ;   in Loop: Header=BB99_49 Depth=1
	s_or_b32 exec_lo, exec_lo, s0
	v_add_co_u32 v6, vcc_lo, s4, v0
	v_add_nc_u32_e32 v0, s7, v0
	v_add_co_ci_u32_e32 v7, vcc_lo, s5, v1, vcc_lo
	s_delay_alu instid0(VALU_DEP_2) | instskip(SKIP_2) | instid1(SALU_CYCLE_1)
	v_cmp_le_i32_e32 vcc_lo, s6, v0
	global_store_b8 v[6:7], v5, off
	s_or_b32 s8, vcc_lo, s8
	s_and_not1_b32 exec_lo, exec_lo, s8
	s_cbranch_execz .LBB99_67
.LBB99_49:                              ; =>This Inner Loop Header: Depth=1
	v_ashrrev_i32_e32 v1, 31, v0
	s_mov_b32 s0, exec_lo
	v_mov_b32_e32 v10, v3
	s_delay_alu instid0(VALU_DEP_2) | instskip(NEXT) | instid1(VALU_DEP_1)
	v_lshlrev_b64 v[4:5], 1, v[0:1]
	v_add_co_u32 v4, vcc_lo, s1, v4
	s_delay_alu instid0(VALU_DEP_2) | instskip(SKIP_4) | instid1(VALU_DEP_1)
	v_add_co_ci_u32_e32 v5, vcc_lo, s2, v5, vcc_lo
	global_load_u16 v2, v[4:5], off
	s_waitcnt vmcnt(0)
	v_lshlrev_b32_e32 v2, 16, v2
	s_waitcnt lgkmcnt(0)
	v_div_scale_f32 v4, null, s3, s3, v2
	s_delay_alu instid0(VALU_DEP_1) | instskip(SKIP_2) | instid1(VALU_DEP_1)
	v_rcp_f32_e32 v5, v4
	s_waitcnt_depctr 0xfff
	v_fma_f32 v6, -v4, v5, 1.0
	v_fmac_f32_e32 v5, v6, v5
	v_div_scale_f32 v6, vcc_lo, v2, s3, v2
	s_delay_alu instid0(VALU_DEP_1) | instskip(NEXT) | instid1(VALU_DEP_1)
	v_mul_f32_e32 v7, v6, v5
	v_fma_f32 v8, -v4, v7, v6
	s_delay_alu instid0(VALU_DEP_1) | instskip(NEXT) | instid1(VALU_DEP_1)
	v_fmac_f32_e32 v7, v8, v5
	v_fma_f32 v4, -v4, v7, v6
	s_delay_alu instid0(VALU_DEP_1) | instskip(NEXT) | instid1(VALU_DEP_1)
	v_div_fmas_f32 v4, v4, v5, v7
	v_div_fixup_f32 v4, v4, s3, v2
	s_delay_alu instid0(VALU_DEP_1) | instskip(SKIP_2) | instid1(VALU_DEP_3)
	v_lshrrev_b32_e32 v6, 24, v4
	v_and_b32_e32 v9, 0x7f800000, v4
	v_and_b32_e32 v2, 0x7fffff, v4
	;; [unrolled: 1-line block ×3, first 2 shown]
	s_delay_alu instid0(VALU_DEP_1) | instskip(NEXT) | instid1(VALU_DEP_4)
	v_or_b32_e32 v5, 0x7e, v8
	v_cmpx_ne_u64_e32 0x7f800000, v[9:10]
	s_xor_b32 s9, exec_lo, s0
	s_cbranch_execz .LBB99_65
; %bb.50:                               ;   in Loop: Header=BB99_49 Depth=1
	v_dual_mov_b32 v7, v3 :: v_dual_and_b32 v6, 0x7fffffff, v4
	s_mov_b32 s0, exec_lo
	s_delay_alu instid0(VALU_DEP_1)
	v_cmpx_gt_u64_e32 0x43e00001, v[6:7]
	s_xor_b32 s10, exec_lo, s0
	s_cbranch_execz .LBB99_64
; %bb.51:                               ;   in Loop: Header=BB99_49 Depth=1
	v_mov_b32_e32 v5, 0
	s_mov_b32 s11, exec_lo
	v_cmpx_ne_u32_e32 0, v4
	s_cbranch_execz .LBB99_63
; %bb.52:                               ;   in Loop: Header=BB99_49 Depth=1
	v_bfe_u32 v9, v4, 23, 8
	v_or_b32_e32 v6, 0x800000, v2
	s_delay_alu instid0(VALU_DEP_2) | instskip(SKIP_1) | instid1(VALU_DEP_2)
	v_sub_nc_u32_e32 v4, 0x79, v9
	v_cmp_gt_u32_e32 vcc_lo, 0x7a, v9
	v_cndmask_b32_e32 v4, 0, v4, vcc_lo
	v_cmp_eq_u32_e32 vcc_lo, 0, v9
	s_delay_alu instid0(VALU_DEP_2) | instskip(SKIP_1) | instid1(VALU_DEP_2)
	v_cndmask_b32_e64 v10, v4, 0x78, vcc_lo
	v_cndmask_b32_e32 v2, v6, v2, vcc_lo
	v_add_nc_u32_e32 v4, 20, v10
	v_add_nc_u32_e32 v6, 19, v10
	s_delay_alu instid0(VALU_DEP_2) | instskip(NEXT) | instid1(VALU_DEP_2)
	v_lshlrev_b64 v[4:5], v4, -1
	v_lshlrev_b64 v[6:7], v6, 1
	s_delay_alu instid0(VALU_DEP_2) | instskip(NEXT) | instid1(VALU_DEP_3)
	v_not_b32_e32 v5, v5
	v_not_b32_e32 v4, v4
	s_delay_alu instid0(VALU_DEP_2) | instskip(NEXT) | instid1(VALU_DEP_2)
	v_and_b32_e32 v12, 0, v5
	v_and_b32_e32 v11, v2, v4
	v_lshrrev_b64 v[4:5], v10, v[2:3]
	s_delay_alu instid0(VALU_DEP_2) | instskip(NEXT) | instid1(VALU_DEP_2)
	v_cmp_eq_u64_e64 s0, v[11:12], v[6:7]
	v_dual_mov_b32 v7, v5 :: v_dual_mov_b32 v6, v4
	s_delay_alu instid0(VALU_DEP_2)
	s_and_saveexec_b32 s12, s0
; %bb.53:                               ;   in Loop: Header=BB99_49 Depth=1
	v_bfe_u32 v2, v4, 20, 1
	s_delay_alu instid0(VALU_DEP_1) | instskip(NEXT) | instid1(VALU_DEP_1)
	v_add_co_u32 v2, s0, v4, v2
	v_add_co_u32 v6, s0, v2, -1
; %bb.54:                               ;   in Loop: Header=BB99_49 Depth=1
	s_or_b32 exec_lo, exec_lo, s12
	v_add_nc_u32_e32 v2, 0xffffff81, v9
	v_lshrrev_b32_e32 v7, 23, v4
	s_mov_b32 s0, exec_lo
	s_delay_alu instid0(VALU_DEP_2) | instskip(NEXT) | instid1(VALU_DEP_1)
	v_cndmask_b32_e64 v2, v2, 0xffffff82, vcc_lo
	v_add3_u32 v7, v10, v2, v7
	v_and_b32_e32 v2, 0xfffff, v6
	s_delay_alu instid0(VALU_DEP_2) | instskip(NEXT) | instid1(VALU_DEP_2)
	v_add_nc_u32_e32 v6, 6, v7
	v_add_co_u32 v4, vcc_lo, v2, v4
	v_add_co_ci_u32_e32 v5, vcc_lo, 0, v5, vcc_lo
                                        ; implicit-def: $vgpr2
	s_delay_alu instid0(VALU_DEP_3)
	v_cmpx_ne_u32_e32 0, v6
	s_xor_b32 s0, exec_lo, s0
; %bb.55:                               ;   in Loop: Header=BB99_49 Depth=1
	s_delay_alu instid0(VALU_DEP_2) | instskip(SKIP_1) | instid1(VALU_DEP_1)
	v_cmp_lt_u64_e32 vcc_lo, 0xffffff, v[4:5]
	v_add_nc_u32_e32 v2, 7, v7
	v_cndmask_b32_e32 v2, v6, v2, vcc_lo
	v_cndmask_b32_e64 v6, 0, 1, vcc_lo
	s_delay_alu instid0(VALU_DEP_1)
	v_lshrrev_b64 v[4:5], v6, v[4:5]
; %bb.56:                               ;   in Loop: Header=BB99_49 Depth=1
	s_and_not1_saveexec_b32 s0, s0
; %bb.57:                               ;   in Loop: Header=BB99_49 Depth=1
	s_delay_alu instid0(VALU_DEP_1)
	v_bfe_u32 v2, v4, 23, 1
; %bb.58:                               ;   in Loop: Header=BB99_49 Depth=1
	s_or_b32 exec_lo, exec_lo, s0
	s_delay_alu instid0(VALU_DEP_2) | instskip(NEXT) | instid1(VALU_DEP_2)
	v_lshrrev_b64 v[4:5], 20, v[4:5]
	v_cmp_gt_i32_e32 vcc_lo, 16, v2
	v_cmp_ne_u32_e64 s0, 0, v2
	s_delay_alu instid0(VALU_DEP_3) | instskip(NEXT) | instid1(VALU_DEP_1)
	v_dual_cndmask_b32 v5, 0, v5 :: v_dual_cndmask_b32 v4, 7, v4
	v_cmp_ne_u64_e32 vcc_lo, 0, v[4:5]
                                        ; implicit-def: $vgpr5
	s_delay_alu instid0(VALU_DEP_3) | instskip(NEXT) | instid1(SALU_CYCLE_1)
	s_or_b32 s0, s0, vcc_lo
	s_and_saveexec_b32 s12, s0
	s_delay_alu instid0(SALU_CYCLE_1)
	s_xor_b32 s0, exec_lo, s12
; %bb.59:                               ;   in Loop: Header=BB99_49 Depth=1
	v_min_i32_e32 v2, 15, v2
	s_delay_alu instid0(VALU_DEP_1) | instskip(NEXT) | instid1(VALU_DEP_1)
	v_lshl_or_b32 v2, v2, 3, v8
                                        ; implicit-def: $vgpr8
	v_and_or_b32 v5, v4, 7, v2
; %bb.60:                               ;   in Loop: Header=BB99_49 Depth=1
	s_and_not1_saveexec_b32 s0, s0
; %bb.61:                               ;   in Loop: Header=BB99_49 Depth=1
	v_mov_b32_e32 v5, v8
; %bb.62:                               ;   in Loop: Header=BB99_49 Depth=1
	s_or_b32 exec_lo, exec_lo, s0
.LBB99_63:                              ;   in Loop: Header=BB99_49 Depth=1
	s_delay_alu instid0(SALU_CYCLE_1)
	s_or_b32 exec_lo, exec_lo, s11
.LBB99_64:                              ;   in Loop: Header=BB99_49 Depth=1
	s_and_not1_saveexec_b32 s0, s10
	s_delay_alu instid0(SALU_CYCLE_1)
	s_or_b32 exec_lo, exec_lo, s0
                                        ; implicit-def: $vgpr6
.LBB99_65:                              ;   in Loop: Header=BB99_49 Depth=1
	s_and_not1_saveexec_b32 s0, s9
	s_cbranch_execz .LBB99_48
; %bb.66:                               ;   in Loop: Header=BB99_49 Depth=1
	v_cmp_eq_u64_e32 vcc_lo, 0, v[2:3]
	v_or_b32_e32 v4, 0x7f, v6
	s_delay_alu instid0(VALU_DEP_1)
	v_cndmask_b32_e32 v5, v4, v5, vcc_lo
	s_branch .LBB99_48
.LBB99_67:
	s_nop 0
	s_sendmsg sendmsg(MSG_DEALLOC_VGPRS)
	s_endpgm
.LBB99_68:
                                        ; implicit-def: $sgpr22_sgpr23
	s_branch .LBB99_6
	.section	.rodata,"a",@progbits
	.p2align	6, 0x0
	.amdhsa_kernel _ZN4vllm38concat_and_cache_mla_rope_fused_kernelIN3c104HalfES2_Lb0E14__hip_bfloat16hLNS_18Fp8KVCacheDataTypeE1EEEvPKlPT_S8_PKS7_PKT0_illlliPT3_S6_iiiiPKf
		.amdhsa_group_segment_fixed_size 0
		.amdhsa_private_segment_fixed_size 0
		.amdhsa_kernarg_size 384
		.amdhsa_user_sgpr_count 15
		.amdhsa_user_sgpr_dispatch_ptr 0
		.amdhsa_user_sgpr_queue_ptr 0
		.amdhsa_user_sgpr_kernarg_segment_ptr 1
		.amdhsa_user_sgpr_dispatch_id 0
		.amdhsa_user_sgpr_private_segment_size 0
		.amdhsa_wavefront_size32 1
		.amdhsa_uses_dynamic_stack 0
		.amdhsa_enable_private_segment 0
		.amdhsa_system_sgpr_workgroup_id_x 1
		.amdhsa_system_sgpr_workgroup_id_y 0
		.amdhsa_system_sgpr_workgroup_id_z 0
		.amdhsa_system_sgpr_workgroup_info 0
		.amdhsa_system_vgpr_workitem_id 0
		.amdhsa_next_free_vgpr 23
		.amdhsa_next_free_sgpr 43
		.amdhsa_reserve_vcc 1
		.amdhsa_float_round_mode_32 0
		.amdhsa_float_round_mode_16_64 0
		.amdhsa_float_denorm_mode_32 3
		.amdhsa_float_denorm_mode_16_64 3
		.amdhsa_dx10_clamp 1
		.amdhsa_ieee_mode 1
		.amdhsa_fp16_overflow 0
		.amdhsa_workgroup_processor_mode 1
		.amdhsa_memory_ordered 1
		.amdhsa_forward_progress 0
		.amdhsa_shared_vgpr_count 0
		.amdhsa_exception_fp_ieee_invalid_op 0
		.amdhsa_exception_fp_denorm_src 0
		.amdhsa_exception_fp_ieee_div_zero 0
		.amdhsa_exception_fp_ieee_overflow 0
		.amdhsa_exception_fp_ieee_underflow 0
		.amdhsa_exception_fp_ieee_inexact 0
		.amdhsa_exception_int_div_zero 0
	.end_amdhsa_kernel
	.section	.text._ZN4vllm38concat_and_cache_mla_rope_fused_kernelIN3c104HalfES2_Lb0E14__hip_bfloat16hLNS_18Fp8KVCacheDataTypeE1EEEvPKlPT_S8_PKS7_PKT0_illlliPT3_S6_iiiiPKf,"axG",@progbits,_ZN4vllm38concat_and_cache_mla_rope_fused_kernelIN3c104HalfES2_Lb0E14__hip_bfloat16hLNS_18Fp8KVCacheDataTypeE1EEEvPKlPT_S8_PKS7_PKT0_illlliPT3_S6_iiiiPKf,comdat
.Lfunc_end99:
	.size	_ZN4vllm38concat_and_cache_mla_rope_fused_kernelIN3c104HalfES2_Lb0E14__hip_bfloat16hLNS_18Fp8KVCacheDataTypeE1EEEvPKlPT_S8_PKS7_PKT0_illlliPT3_S6_iiiiPKf, .Lfunc_end99-_ZN4vllm38concat_and_cache_mla_rope_fused_kernelIN3c104HalfES2_Lb0E14__hip_bfloat16hLNS_18Fp8KVCacheDataTypeE1EEEvPKlPT_S8_PKS7_PKT0_illlliPT3_S6_iiiiPKf
                                        ; -- End function
	.section	.AMDGPU.csdata,"",@progbits
; Kernel info:
; codeLenInByte = 4400
; NumSgprs: 45
; NumVgprs: 23
; ScratchSize: 0
; MemoryBound: 0
; FloatMode: 240
; IeeeMode: 1
; LDSByteSize: 0 bytes/workgroup (compile time only)
; SGPRBlocks: 5
; VGPRBlocks: 2
; NumSGPRsForWavesPerEU: 45
; NumVGPRsForWavesPerEU: 23
; Occupancy: 16
; WaveLimiterHint : 1
; COMPUTE_PGM_RSRC2:SCRATCH_EN: 0
; COMPUTE_PGM_RSRC2:USER_SGPR: 15
; COMPUTE_PGM_RSRC2:TRAP_HANDLER: 0
; COMPUTE_PGM_RSRC2:TGID_X_EN: 1
; COMPUTE_PGM_RSRC2:TGID_Y_EN: 0
; COMPUTE_PGM_RSRC2:TGID_Z_EN: 0
; COMPUTE_PGM_RSRC2:TIDIG_COMP_CNT: 0
	.section	.text._ZN4vllm38concat_and_cache_mla_rope_fused_kernelIN3c104HalfENS1_8BFloat16ELb1E14__hip_bfloat16hLNS_18Fp8KVCacheDataTypeE1EEEvPKlPT_S9_PKS8_PKT0_illlliPT3_S7_iiiiPKf,"axG",@progbits,_ZN4vllm38concat_and_cache_mla_rope_fused_kernelIN3c104HalfENS1_8BFloat16ELb1E14__hip_bfloat16hLNS_18Fp8KVCacheDataTypeE1EEEvPKlPT_S9_PKS8_PKT0_illlliPT3_S7_iiiiPKf,comdat
	.protected	_ZN4vllm38concat_and_cache_mla_rope_fused_kernelIN3c104HalfENS1_8BFloat16ELb1E14__hip_bfloat16hLNS_18Fp8KVCacheDataTypeE1EEEvPKlPT_S9_PKS8_PKT0_illlliPT3_S7_iiiiPKf ; -- Begin function _ZN4vllm38concat_and_cache_mla_rope_fused_kernelIN3c104HalfENS1_8BFloat16ELb1E14__hip_bfloat16hLNS_18Fp8KVCacheDataTypeE1EEEvPKlPT_S9_PKS8_PKT0_illlliPT3_S7_iiiiPKf
	.globl	_ZN4vllm38concat_and_cache_mla_rope_fused_kernelIN3c104HalfENS1_8BFloat16ELb1E14__hip_bfloat16hLNS_18Fp8KVCacheDataTypeE1EEEvPKlPT_S9_PKS8_PKT0_illlliPT3_S7_iiiiPKf
	.p2align	8
	.type	_ZN4vllm38concat_and_cache_mla_rope_fused_kernelIN3c104HalfENS1_8BFloat16ELb1E14__hip_bfloat16hLNS_18Fp8KVCacheDataTypeE1EEEvPKlPT_S9_PKS8_PKT0_illlliPT3_S7_iiiiPKf,@function
_ZN4vllm38concat_and_cache_mla_rope_fused_kernelIN3c104HalfENS1_8BFloat16ELb1E14__hip_bfloat16hLNS_18Fp8KVCacheDataTypeE1EEEvPKlPT_S9_PKS8_PKT0_illlliPT3_S7_iiiiPKf: ; @_ZN4vllm38concat_and_cache_mla_rope_fused_kernelIN3c104HalfENS1_8BFloat16ELb1E14__hip_bfloat16hLNS_18Fp8KVCacheDataTypeE1EEEvPKlPT_S9_PKS8_PKT0_illlliPT3_S7_iiiiPKf
; %bb.0:
	s_load_b64 s[4:5], s[0:1], 0x60
	s_mov_b32 s16, s15
	s_mov_b32 s17, 0
	s_delay_alu instid0(SALU_CYCLE_1)
	s_lshl_b64 s[2:3], s[16:17], 3
	s_waitcnt lgkmcnt(0)
	s_add_u32 s4, s4, s2
	s_addc_u32 s5, s5, s3
	s_load_b64 s[28:29], s[4:5], 0x0
	s_waitcnt lgkmcnt(0)
	v_cmp_lt_i64_e64 s4, s[28:29], 0
	s_delay_alu instid0(VALU_DEP_1)
	s_and_b32 vcc_lo, exec_lo, s4
	s_cbranch_vccnz .LBB100_67
; %bb.1:
	s_clause 0x2
	s_load_b32 s22, s[0:1], 0x28
	s_load_b64 s[4:5], s[0:1], 0x0
	s_load_b128 s[12:15], s[0:1], 0x10
	s_waitcnt lgkmcnt(0)
	s_ashr_i32 s17, s22, 31
	s_add_u32 s2, s4, s2
	s_addc_u32 s3, s5, s3
	s_load_b64 s[20:21], s[2:3], 0x0
	s_clause 0x3
	s_load_b64 s[2:3], s[0:1], 0x20
	s_load_b32 s23, s[0:1], 0x50
	s_load_b64 s[18:19], s[0:1], 0x58
	s_load_b256 s[4:11], s[0:1], 0x30
	s_waitcnt lgkmcnt(0)
	s_mul_i32 s17, s20, s17
	s_mul_hi_u32 s24, s20, s22
	s_mul_i32 s21, s21, s22
	s_add_i32 s17, s24, s17
	s_mul_i32 s20, s20, s22
	s_add_i32 s21, s17, s21
	s_delay_alu instid0(SALU_CYCLE_1) | instskip(NEXT) | instid1(SALU_CYCLE_1)
	s_lshl_b64 s[26:27], s[20:21], 1
	s_add_u32 s17, s2, s26
	s_addc_u32 s33, s3, s27
	s_lshr_b32 s20, s22, 31
	s_delay_alu instid0(SALU_CYCLE_1) | instskip(NEXT) | instid1(SALU_CYCLE_1)
	s_add_i32 s22, s22, s20
	s_ashr_i32 s20, s22, 1
	s_delay_alu instid0(SALU_CYCLE_1)
	s_mul_i32 s22, s20, s23
	s_mov_b32 s23, exec_lo
	v_cmpx_gt_i32_e64 s22, v0
	s_cbranch_execz .LBB100_4
; %bb.2:
	s_clause 0x1
	s_load_b64 s[24:25], s[0:1], 0x8
	s_load_b32 s31, s[0:1], 0x8c
	s_mul_i32 s5, s16, s5
	s_mul_hi_u32 s21, s16, s4
	s_mul_i32 s4, s16, s4
	s_add_i32 s5, s21, s5
	s_ashr_i32 s21, s20, 31
	s_lshl_b64 s[4:5], s[4:5], 1
	s_mov_b32 s34, 0
	s_waitcnt lgkmcnt(0)
	s_add_u32 s24, s24, s4
	s_addc_u32 s25, s25, s5
	s_abs_i32 s30, s20
	s_and_b32 s31, s31, 0xffff
	v_cvt_f32_u32_e32 v1, s30
	s_sub_i32 s4, 0, s30
	s_sub_i32 s35, 0, s20
	s_delay_alu instid0(VALU_DEP_1) | instskip(SKIP_2) | instid1(VALU_DEP_1)
	v_rcp_iflag_f32_e32 v1, v1
	s_waitcnt_depctr 0xfff
	v_mul_f32_e32 v1, 0x4f7ffffe, v1
	v_cvt_u32_f32_e32 v1, v1
	s_delay_alu instid0(VALU_DEP_1) | instskip(SKIP_1) | instid1(VALU_DEP_1)
	v_mul_lo_u32 v2, s4, v1
	s_lshl_b64 s[4:5], s[20:21], 1
	v_mul_hi_u32 v2, v1, v2
	s_delay_alu instid0(VALU_DEP_1)
	v_dual_mov_b32 v1, v0 :: v_dual_add_nc_u32 v2, v1, v2
.LBB100_3:                              ; =>This Inner Loop Header: Depth=1
	s_delay_alu instid0(VALU_DEP_1) | instskip(SKIP_1) | instid1(VALU_DEP_2)
	v_sub_nc_u32_e32 v3, 0, v1
	v_ashrrev_i32_e32 v4, 31, v1
	v_max_i32_e32 v3, v1, v3
	s_delay_alu instid0(VALU_DEP_2) | instskip(NEXT) | instid1(VALU_DEP_2)
	v_xor_b32_e32 v4, s21, v4
	v_mul_hi_u32 v5, v3, v2
	s_delay_alu instid0(VALU_DEP_1) | instskip(SKIP_1) | instid1(VALU_DEP_2)
	v_mul_lo_u32 v6, v5, s30
	v_add_nc_u32_e32 v7, 1, v5
	v_sub_nc_u32_e32 v3, v3, v6
	s_delay_alu instid0(VALU_DEP_1) | instskip(SKIP_1) | instid1(VALU_DEP_4)
	v_subrev_nc_u32_e32 v6, s30, v3
	v_cmp_le_u32_e32 vcc_lo, s30, v3
	v_cndmask_b32_e32 v5, v5, v7, vcc_lo
	s_delay_alu instid0(VALU_DEP_1) | instskip(NEXT) | instid1(VALU_DEP_1)
	v_dual_cndmask_b32 v3, v3, v6 :: v_dual_add_nc_u32 v6, 1, v5
	v_cmp_le_u32_e32 vcc_lo, s30, v3
	s_delay_alu instid0(VALU_DEP_2) | instskip(NEXT) | instid1(VALU_DEP_1)
	v_cndmask_b32_e32 v3, v5, v6, vcc_lo
	v_xor_b32_e32 v3, v3, v4
	s_delay_alu instid0(VALU_DEP_1) | instskip(NEXT) | instid1(VALU_DEP_1)
	v_sub_nc_u32_e32 v7, v3, v4
	v_mad_u64_u32 v[3:4], null, s35, v7, v[1:2]
	v_ashrrev_i32_e32 v8, 31, v7
	v_mul_lo_u32 v9, v7, s7
	v_mad_u64_u32 v[5:6], null, v7, s6, 0
	v_add_nc_u32_e32 v1, s31, v1
	s_delay_alu instid0(VALU_DEP_4) | instskip(SKIP_1) | instid1(VALU_DEP_1)
	v_mul_lo_u32 v7, v8, s6
	v_ashrrev_i32_e32 v4, 31, v3
	v_lshlrev_b64 v[3:4], 1, v[3:4]
	s_delay_alu instid0(VALU_DEP_3) | instskip(NEXT) | instid1(VALU_DEP_2)
	v_add3_u32 v6, v6, v9, v7
	v_add_co_u32 v7, vcc_lo, s17, v3
	s_delay_alu instid0(VALU_DEP_2) | instskip(NEXT) | instid1(VALU_DEP_4)
	v_lshlrev_b64 v[5:6], 1, v[5:6]
	v_add_co_ci_u32_e32 v8, vcc_lo, s33, v4, vcc_lo
	s_delay_alu instid0(VALU_DEP_3) | instskip(NEXT) | instid1(VALU_DEP_2)
	v_add_co_u32 v9, vcc_lo, v7, s4
	v_add_co_ci_u32_e32 v10, vcc_lo, s5, v8, vcc_lo
	s_delay_alu instid0(VALU_DEP_4)
	v_add_co_u32 v5, vcc_lo, s24, v5
	v_add_co_ci_u32_e32 v6, vcc_lo, s25, v6, vcc_lo
	s_clause 0x1
	global_load_u16 v7, v[7:8], off
	global_load_u16 v8, v[9:10], off
	v_add_co_u32 v3, vcc_lo, v5, v3
	v_add_co_ci_u32_e32 v4, vcc_lo, v6, v4, vcc_lo
	s_delay_alu instid0(VALU_DEP_2) | instskip(NEXT) | instid1(VALU_DEP_2)
	v_add_co_u32 v5, vcc_lo, v3, s4
	v_add_co_ci_u32_e32 v6, vcc_lo, s5, v4, vcc_lo
	s_clause 0x1
	global_load_u16 v9, v[3:4], off
	global_load_u16 v10, v[5:6], off
	v_cmp_le_i32_e32 vcc_lo, s22, v1
	s_or_b32 s34, vcc_lo, s34
	s_waitcnt vmcnt(3)
	v_lshlrev_b32_e32 v7, 16, v7
	s_waitcnt vmcnt(2)
	v_lshlrev_b32_e32 v8, 16, v8
	s_delay_alu instid0(VALU_DEP_2) | instskip(NEXT) | instid1(VALU_DEP_2)
	v_cvt_f16_f32_e32 v7, v7
	v_cvt_f16_f32_e32 v8, v8
	s_waitcnt vmcnt(0)
	s_delay_alu instid0(VALU_DEP_1) | instskip(SKIP_1) | instid1(VALU_DEP_2)
	v_mul_f16_e32 v11, v10, v8
	v_mul_f16_e32 v8, v9, v8
	v_fma_f16 v9, v9, v7, -v11
	s_delay_alu instid0(VALU_DEP_2)
	v_fmac_f16_e32 v8, v10, v7
	s_clause 0x1
	global_store_b16 v[3:4], v9, off
	global_store_b16 v[5:6], v8, off
	s_and_not1_b32 exec_lo, exec_lo, s34
	s_cbranch_execnz .LBB100_3
.LBB100_4:
	s_or_b32 exec_lo, exec_lo, s23
	s_load_b128 s[4:7], s[0:1], 0x68
	s_waitcnt lgkmcnt(0)
	s_ashr_i32 s31, s7, 31
	s_mov_b32 s30, s7
	s_delay_alu instid0(SALU_CYCLE_1) | instskip(SKIP_1) | instid1(SALU_CYCLE_1)
	s_or_b64 s[24:25], s[28:29], s[30:31]
	s_mov_b32 s24, 0
	s_cmp_lg_u64 s[24:25], 0
	s_cbranch_scc0 .LBB100_68
; %bb.5:
	s_add_u32 s34, s30, s31
	s_mov_b32 s22, s31
	s_mov_b32 s23, s31
	s_addc_u32 s35, s31, s31
	s_delay_alu instid0(SALU_CYCLE_1) | instskip(NEXT) | instid1(SALU_CYCLE_1)
	s_xor_b64 s[34:35], s[34:35], s[22:23]
	v_cvt_f32_u32_e32 v1, s34
	v_cvt_f32_u32_e32 v2, s35
	s_sub_u32 s25, 0, s34
	s_subb_u32 s36, 0, s35
	s_delay_alu instid0(VALU_DEP_1) | instskip(NEXT) | instid1(VALU_DEP_1)
	v_fmamk_f32 v1, v2, 0x4f800000, v1
	v_rcp_f32_e32 v1, v1
	s_waitcnt_depctr 0xfff
	v_mul_f32_e32 v1, 0x5f7ffffc, v1
	s_delay_alu instid0(VALU_DEP_1) | instskip(NEXT) | instid1(VALU_DEP_1)
	v_mul_f32_e32 v2, 0x2f800000, v1
	v_trunc_f32_e32 v2, v2
	s_delay_alu instid0(VALU_DEP_1) | instskip(SKIP_1) | instid1(VALU_DEP_2)
	v_fmamk_f32 v1, v2, 0xcf800000, v1
	v_cvt_u32_f32_e32 v2, v2
	v_cvt_u32_f32_e32 v1, v1
	s_delay_alu instid0(VALU_DEP_2) | instskip(NEXT) | instid1(VALU_DEP_2)
	v_readfirstlane_b32 s7, v2
	v_readfirstlane_b32 s21, v1
	s_delay_alu instid0(VALU_DEP_2) | instskip(NEXT) | instid1(VALU_DEP_1)
	s_mul_i32 s37, s25, s7
	s_mul_hi_u32 s39, s25, s21
	s_mul_i32 s38, s36, s21
	s_add_i32 s37, s39, s37
	s_mul_i32 s40, s25, s21
	s_add_i32 s37, s37, s38
	s_mul_hi_u32 s39, s21, s40
	s_mul_hi_u32 s41, s7, s40
	s_mul_i32 s38, s7, s40
	s_mul_hi_u32 s40, s21, s37
	s_mul_i32 s21, s21, s37
	s_mul_hi_u32 s42, s7, s37
	s_add_u32 s21, s39, s21
	s_addc_u32 s39, 0, s40
	s_add_u32 s21, s21, s38
	s_mul_i32 s37, s7, s37
	s_addc_u32 s21, s39, s41
	s_addc_u32 s38, s42, 0
	s_add_u32 s21, s21, s37
	s_addc_u32 s37, 0, s38
	v_add_co_u32 v1, s21, v1, s21
	s_delay_alu instid0(VALU_DEP_1) | instskip(SKIP_1) | instid1(VALU_DEP_1)
	s_cmp_lg_u32 s21, 0
	s_addc_u32 s7, s7, s37
	v_readfirstlane_b32 s21, v1
	s_mul_i32 s37, s25, s7
	s_delay_alu instid0(VALU_DEP_1)
	s_mul_hi_u32 s38, s25, s21
	s_mul_i32 s36, s36, s21
	s_add_i32 s37, s38, s37
	s_mul_i32 s25, s25, s21
	s_add_i32 s37, s37, s36
	s_mul_hi_u32 s38, s7, s25
	s_mul_i32 s39, s7, s25
	s_mul_hi_u32 s25, s21, s25
	s_mul_hi_u32 s40, s21, s37
	s_mul_i32 s21, s21, s37
	s_mul_hi_u32 s36, s7, s37
	s_add_u32 s21, s25, s21
	s_addc_u32 s25, 0, s40
	s_add_u32 s21, s21, s39
	s_mul_i32 s37, s7, s37
	s_addc_u32 s21, s25, s38
	s_addc_u32 s25, s36, 0
	s_add_u32 s21, s21, s37
	s_addc_u32 s25, 0, s25
	v_add_co_u32 v1, s21, v1, s21
	s_delay_alu instid0(VALU_DEP_1) | instskip(SKIP_2) | instid1(VALU_DEP_1)
	s_cmp_lg_u32 s21, 0
	s_addc_u32 s7, s7, s25
	s_ashr_i32 s36, s29, 31
	v_readfirstlane_b32 s21, v1
	s_add_u32 s38, s28, s36
	s_mov_b32 s37, s36
	s_addc_u32 s39, s29, s36
	s_delay_alu instid0(SALU_CYCLE_1) | instskip(NEXT) | instid1(SALU_CYCLE_1)
	s_xor_b64 s[38:39], s[38:39], s[36:37]
	s_mul_i32 s40, s38, s7
	s_mul_hi_u32 s41, s38, s21
	s_mul_hi_u32 s25, s38, s7
	;; [unrolled: 1-line block ×3, first 2 shown]
	s_mul_i32 s21, s39, s21
	s_add_u32 s40, s41, s40
	s_addc_u32 s25, 0, s25
	s_mul_hi_u32 s42, s39, s7
	s_add_u32 s21, s40, s21
	s_mul_i32 s7, s39, s7
	s_addc_u32 s21, s25, s43
	s_addc_u32 s25, s42, 0
	s_add_u32 s7, s21, s7
	s_addc_u32 s21, 0, s25
	s_mul_i32 s42, s34, s7
	s_mul_hi_u32 s25, s34, s7
	s_mul_i32 s41, s34, s21
	v_sub_co_u32 v1, s38, s38, s42
	s_mul_i32 s40, s35, s7
	s_add_i32 s25, s25, s41
	s_delay_alu instid0(SALU_CYCLE_1) | instskip(NEXT) | instid1(VALU_DEP_1)
	s_add_i32 s25, s25, s40
	v_sub_co_u32 v2, s41, v1, s34
	s_sub_i32 s40, s39, s25
	s_cmp_lg_u32 s38, 0
	s_subb_u32 s40, s40, s35
	s_cmp_lg_u32 s41, 0
	v_readfirstlane_b32 s41, v2
	s_subb_u32 s40, s40, 0
	s_delay_alu instid0(SALU_CYCLE_1) | instskip(SKIP_1) | instid1(VALU_DEP_1)
	s_cmp_ge_u32 s40, s35
	s_cselect_b32 s42, -1, 0
	s_cmp_ge_u32 s41, s34
	s_cselect_b32 s41, -1, 0
	s_cmp_eq_u32 s40, s35
	s_cselect_b32 s40, s41, s42
	s_add_u32 s41, s7, 1
	s_addc_u32 s42, s21, 0
	s_add_u32 s43, s7, 2
	s_addc_u32 s44, s21, 0
	s_cmp_lg_u32 s40, 0
	s_cselect_b32 s40, s43, s41
	s_cselect_b32 s41, s44, s42
	s_cmp_lg_u32 s38, 0
	v_readfirstlane_b32 s38, v1
	s_subb_u32 s25, s39, s25
	s_delay_alu instid0(SALU_CYCLE_1) | instskip(SKIP_1) | instid1(VALU_DEP_1)
	s_cmp_ge_u32 s25, s35
	s_cselect_b32 s39, -1, 0
	s_cmp_ge_u32 s38, s34
	s_cselect_b32 s34, -1, 0
	s_cmp_eq_u32 s25, s35
	s_cselect_b32 s25, s34, s39
	s_delay_alu instid0(SALU_CYCLE_1) | instskip(SKIP_3) | instid1(SALU_CYCLE_1)
	s_cmp_lg_u32 s25, 0
	s_cselect_b32 s35, s41, s21
	s_cselect_b32 s34, s40, s7
	s_xor_b64 s[22:23], s[36:37], s[22:23]
	s_xor_b64 s[34:35], s[34:35], s[22:23]
	s_delay_alu instid0(SALU_CYCLE_1)
	s_sub_u32 s22, s34, s22
	s_subb_u32 s23, s35, s23
	s_and_not1_b32 vcc_lo, exec_lo, s24
	s_cbranch_vccnz .LBB100_7
.LBB100_6:
	v_cvt_f32_u32_e32 v1, s30
	s_sub_i32 s21, 0, s30
	s_delay_alu instid0(VALU_DEP_1) | instskip(SKIP_2) | instid1(VALU_DEP_1)
	v_rcp_iflag_f32_e32 v1, v1
	s_waitcnt_depctr 0xfff
	v_mul_f32_e32 v1, 0x4f7ffffe, v1
	v_cvt_u32_f32_e32 v1, v1
	s_delay_alu instid0(VALU_DEP_1) | instskip(NEXT) | instid1(VALU_DEP_1)
	v_readfirstlane_b32 s7, v1
	s_mul_i32 s21, s21, s7
	s_delay_alu instid0(SALU_CYCLE_1) | instskip(NEXT) | instid1(SALU_CYCLE_1)
	s_mul_hi_u32 s21, s7, s21
	s_add_i32 s7, s7, s21
	s_delay_alu instid0(SALU_CYCLE_1) | instskip(NEXT) | instid1(SALU_CYCLE_1)
	s_mul_hi_u32 s7, s28, s7
	s_mul_i32 s21, s7, s30
	s_add_i32 s22, s7, 1
	s_sub_i32 s21, s28, s21
	s_delay_alu instid0(SALU_CYCLE_1)
	s_sub_i32 s23, s21, s30
	s_cmp_ge_u32 s21, s30
	s_cselect_b32 s7, s22, s7
	s_cselect_b32 s21, s23, s21
	s_add_i32 s22, s7, 1
	s_cmp_ge_u32 s21, s30
	s_mov_b32 s23, 0
	s_cselect_b32 s22, s22, s7
.LBB100_7:
	s_load_b64 s[24:25], s[0:1], 0x78
	s_mul_i32 s7, s22, s31
	s_mul_hi_u32 s21, s22, s30
	s_mul_i32 s31, s23, s4
	s_add_i32 s7, s21, s7
	s_mul_i32 s21, s23, s30
	s_mul_i32 s30, s22, s30
	s_add_i32 s21, s7, s21
	s_sub_u32 s7, s28, s30
	s_subb_u32 s21, s29, s21
	s_mul_hi_u32 s30, s22, s4
	s_mul_i32 s34, s22, s4
	s_mul_hi_u32 s29, s7, s5
	s_mul_i32 s23, s21, s5
	s_mul_i32 s28, s7, s5
	s_mov_b32 s35, exec_lo
	v_cmpx_gt_i32_e64 s20, v0
	s_cbranch_execz .LBB100_46
; %bb.8:
	s_load_b32 s38, s[0:1], 0x8c
	s_mul_i32 s9, s16, s9
	s_mul_hi_u32 s37, s16, s8
	s_mul_i32 s36, s16, s8
	s_add_i32 s37, s37, s9
	s_ashr_i32 s21, s20, 31
	s_lshl_b64 s[40:41], s[36:37], 1
	s_waitcnt lgkmcnt(0)
	s_load_b32 s8, s[24:25], 0x0
	s_add_u32 s9, s12, s40
	s_addc_u32 s36, s13, s41
	s_ashr_i32 s37, s4, 31
	s_ashr_i32 s39, s5, 31
	s_mul_i32 s37, s22, s37
	s_mul_i32 s39, s7, s39
	s_add_i32 s37, s30, s37
	s_add_i32 s39, s29, s39
	;; [unrolled: 1-line block ×3, first 2 shown]
	s_lshl_b64 s[42:43], s[20:21], 1
	s_ashr_i32 s44, s6, 31
	s_add_i32 s39, s39, s23
	s_and_b32 s37, s38, 0xffff
	v_dual_mov_b32 v2, 0 :: v_dual_lshlrev_b32 v9, 1, v0
	s_lshl_b32 s38, s37, 1
	s_add_u32 s26, s26, s42
	s_addc_u32 s27, s27, s43
	s_add_u32 s26, s2, s26
	s_addc_u32 s3, s3, s27
	;; [unrolled: 2-line block ×7, first 2 shown]
	v_add_co_u32 v3, s2, s2, v0
	s_delay_alu instid0(VALU_DEP_1)
	v_add_co_ci_u32_e64 v4, null, s27, 0, s2
	v_mov_b32_e32 v10, v0
	s_mov_b32 s27, 0
	s_branch .LBB100_10
.LBB100_9:                              ;   in Loop: Header=BB100_10 Depth=1
	s_or_b32 exec_lo, exec_lo, s2
	v_add_nc_u32_e32 v10, s37, v10
	v_add_co_u32 v7, vcc_lo, v3, s20
	s_add_u32 s17, s17, s38
	s_addc_u32 s33, s33, 0
	v_add_co_ci_u32_e32 v8, vcc_lo, s21, v4, vcc_lo
	s_add_u32 s26, s26, s38
	s_addc_u32 s3, s3, 0
	v_cmp_le_i32_e32 vcc_lo, s20, v10
	v_add_co_u32 v3, s2, v3, s37
	s_add_u32 s12, s12, s38
	s_addc_u32 s13, s13, 0
	v_add_co_ci_u32_e64 v4, s2, 0, v4, s2
	s_add_u32 s9, s9, s38
	s_addc_u32 s36, s36, 0
	s_or_b32 s27, vcc_lo, s27
	global_store_b8 v[7:8], v6, off
	s_and_not1_b32 exec_lo, exec_lo, s27
	s_cbranch_execz .LBB100_46
.LBB100_10:                             ; =>This Inner Loop Header: Depth=1
	v_add_co_u32 v5, s2, s26, v9
	s_delay_alu instid0(VALU_DEP_1) | instskip(SKIP_1) | instid1(VALU_DEP_1)
	v_add_co_ci_u32_e64 v6, null, s3, 0, s2
	v_add_co_u32 v7, s2, s17, v9
	v_add_co_ci_u32_e64 v8, null, s33, 0, s2
	global_load_u16 v1, v[5:6], off
	global_load_u16 v5, v[7:8], off
	v_add_co_u32 v13, s2, s12, v9
	s_delay_alu instid0(VALU_DEP_1) | instskip(SKIP_1) | instid1(VALU_DEP_1)
	v_add_co_ci_u32_e64 v14, null, s13, 0, s2
	v_add_co_u32 v15, s2, s9, v9
	v_add_co_ci_u32_e64 v16, null, s36, 0, s2
	global_load_u16 v17, v[13:14], off
	global_load_u16 v7, v[15:16], off
	s_waitcnt vmcnt(3)
	v_lshlrev_b32_e32 v1, 16, v1
	s_waitcnt vmcnt(2)
	v_lshlrev_b32_e32 v5, 16, v5
	s_delay_alu instid0(VALU_DEP_2) | instskip(NEXT) | instid1(VALU_DEP_2)
	v_cvt_f16_f32_e32 v1, v1
	v_cvt_f16_f32_e32 v18, v5
	s_waitcnt vmcnt(1)
	s_delay_alu instid0(VALU_DEP_2) | instskip(SKIP_1) | instid1(VALU_DEP_1)
	v_mul_f16_e32 v5, v17, v1
	s_waitcnt vmcnt(0)
	v_fma_f16 v19, v7, v18, -v5
	s_delay_alu instid0(VALU_DEP_1) | instskip(SKIP_1) | instid1(VALU_DEP_1)
	v_lshlrev_b32_e32 v5, 16, v19
	s_waitcnt lgkmcnt(0)
	v_div_scale_f32 v6, null, s8, s8, v5
	s_delay_alu instid0(VALU_DEP_1) | instskip(SKIP_2) | instid1(VALU_DEP_1)
	v_rcp_f32_e32 v8, v6
	s_waitcnt_depctr 0xfff
	v_fma_f32 v11, -v6, v8, 1.0
	v_fmac_f32_e32 v8, v11, v8
	v_div_scale_f32 v11, vcc_lo, v5, s8, v5
	s_delay_alu instid0(VALU_DEP_1) | instskip(NEXT) | instid1(VALU_DEP_1)
	v_mul_f32_e32 v12, v11, v8
	v_fma_f32 v20, -v6, v12, v11
	s_delay_alu instid0(VALU_DEP_1) | instskip(NEXT) | instid1(VALU_DEP_1)
	v_fmac_f32_e32 v12, v20, v8
	v_fma_f32 v6, -v6, v12, v11
	v_mul_f16_e32 v11, v7, v1
	s_delay_alu instid0(VALU_DEP_2) | instskip(NEXT) | instid1(VALU_DEP_2)
	v_div_fmas_f32 v6, v6, v8, v12
	v_fmac_f16_e32 v11, v17, v18
	global_store_b16 v[15:16], v19, off
	global_store_b16 v[13:14], v11, off
	v_div_fixup_f32 v5, v6, s8, v5
	v_mov_b32_e32 v8, v2
	s_delay_alu instid0(VALU_DEP_2) | instskip(SKIP_2) | instid1(VALU_DEP_3)
	v_lshrrev_b32_e32 v6, 24, v5
	v_and_b32_e32 v7, 0x7f800000, v5
	v_and_b32_e32 v1, 0x7fffff, v5
	;; [unrolled: 1-line block ×3, first 2 shown]
	s_delay_alu instid0(VALU_DEP_3) | instskip(NEXT) | instid1(VALU_DEP_2)
	v_cmp_ne_u64_e32 vcc_lo, 0x7f800000, v[7:8]
	v_or_b32_e32 v7, 0x7e, v12
	s_and_saveexec_b32 s2, vcc_lo
	s_delay_alu instid0(SALU_CYCLE_1)
	s_xor_b32 s39, exec_lo, s2
	s_cbranch_execz .LBB100_26
; %bb.11:                               ;   in Loop: Header=BB100_10 Depth=1
	v_dual_mov_b32 v14, v2 :: v_dual_and_b32 v13, 0x7fffffff, v5
	s_mov_b32 s2, exec_lo
	s_delay_alu instid0(VALU_DEP_1)
	v_cmpx_gt_u64_e32 0x43e00001, v[13:14]
	s_xor_b32 s40, exec_lo, s2
	s_cbranch_execz .LBB100_25
; %bb.12:                               ;   in Loop: Header=BB100_10 Depth=1
	v_mov_b32_e32 v7, 0
	s_mov_b32 s41, exec_lo
	v_cmpx_ne_u32_e32 0, v5
	s_cbranch_execz .LBB100_24
; %bb.13:                               ;   in Loop: Header=BB100_10 Depth=1
	v_bfe_u32 v13, v5, 23, 8
	v_or_b32_e32 v7, 0x800000, v1
	s_delay_alu instid0(VALU_DEP_2) | instskip(SKIP_1) | instid1(VALU_DEP_2)
	v_sub_nc_u32_e32 v5, 0x79, v13
	v_cmp_gt_u32_e32 vcc_lo, 0x7a, v13
	v_cndmask_b32_e32 v5, 0, v5, vcc_lo
	v_cmp_eq_u32_e32 vcc_lo, 0, v13
	s_delay_alu instid0(VALU_DEP_2) | instskip(SKIP_1) | instid1(VALU_DEP_2)
	v_cndmask_b32_e64 v14, v5, 0x78, vcc_lo
	v_cndmask_b32_e32 v1, v7, v1, vcc_lo
	v_add_nc_u32_e32 v5, 20, v14
	v_add_nc_u32_e32 v7, 19, v14
	s_delay_alu instid0(VALU_DEP_2) | instskip(NEXT) | instid1(VALU_DEP_2)
	v_lshlrev_b64 v[5:6], v5, -1
	v_lshlrev_b64 v[7:8], v7, 1
	s_delay_alu instid0(VALU_DEP_2) | instskip(NEXT) | instid1(VALU_DEP_3)
	v_not_b32_e32 v6, v6
	v_not_b32_e32 v5, v5
	s_delay_alu instid0(VALU_DEP_2) | instskip(NEXT) | instid1(VALU_DEP_2)
	v_and_b32_e32 v16, 0, v6
	v_and_b32_e32 v15, v1, v5
	v_lshrrev_b64 v[5:6], v14, v[1:2]
	s_delay_alu instid0(VALU_DEP_2) | instskip(NEXT) | instid1(VALU_DEP_2)
	v_cmp_eq_u64_e64 s2, v[15:16], v[7:8]
	v_dual_mov_b32 v8, v6 :: v_dual_mov_b32 v7, v5
	s_delay_alu instid0(VALU_DEP_2)
	s_and_saveexec_b32 s42, s2
; %bb.14:                               ;   in Loop: Header=BB100_10 Depth=1
	v_bfe_u32 v1, v5, 20, 1
	s_delay_alu instid0(VALU_DEP_1) | instskip(NEXT) | instid1(VALU_DEP_1)
	v_add_co_u32 v1, s2, v5, v1
	v_add_co_u32 v7, s2, v1, -1
; %bb.15:                               ;   in Loop: Header=BB100_10 Depth=1
	s_or_b32 exec_lo, exec_lo, s42
	v_add_nc_u32_e32 v1, 0xffffff81, v13
	v_lshrrev_b32_e32 v8, 23, v5
	s_mov_b32 s2, exec_lo
	s_delay_alu instid0(VALU_DEP_2) | instskip(NEXT) | instid1(VALU_DEP_1)
	v_cndmask_b32_e64 v1, v1, 0xffffff82, vcc_lo
	v_add3_u32 v8, v14, v1, v8
	v_and_b32_e32 v1, 0xfffff, v7
	s_delay_alu instid0(VALU_DEP_2) | instskip(NEXT) | instid1(VALU_DEP_2)
	v_add_nc_u32_e32 v7, 6, v8
	v_add_co_u32 v5, vcc_lo, v1, v5
	v_add_co_ci_u32_e32 v6, vcc_lo, 0, v6, vcc_lo
                                        ; implicit-def: $vgpr1
	s_delay_alu instid0(VALU_DEP_3)
	v_cmpx_ne_u32_e32 0, v7
	s_xor_b32 s2, exec_lo, s2
; %bb.16:                               ;   in Loop: Header=BB100_10 Depth=1
	s_delay_alu instid0(VALU_DEP_2) | instskip(SKIP_1) | instid1(VALU_DEP_1)
	v_cmp_lt_u64_e32 vcc_lo, 0xffffff, v[5:6]
	v_add_nc_u32_e32 v1, 7, v8
	v_cndmask_b32_e32 v1, v7, v1, vcc_lo
	v_cndmask_b32_e64 v7, 0, 1, vcc_lo
	s_delay_alu instid0(VALU_DEP_1)
	v_lshrrev_b64 v[5:6], v7, v[5:6]
; %bb.17:                               ;   in Loop: Header=BB100_10 Depth=1
	s_and_not1_saveexec_b32 s2, s2
; %bb.18:                               ;   in Loop: Header=BB100_10 Depth=1
	s_delay_alu instid0(VALU_DEP_1)
	v_bfe_u32 v1, v5, 23, 1
; %bb.19:                               ;   in Loop: Header=BB100_10 Depth=1
	s_or_b32 exec_lo, exec_lo, s2
	s_delay_alu instid0(VALU_DEP_2) | instskip(NEXT) | instid1(VALU_DEP_2)
	v_lshrrev_b64 v[5:6], 20, v[5:6]
	v_cmp_gt_i32_e32 vcc_lo, 16, v1
	v_cmp_ne_u32_e64 s2, 0, v1
                                        ; implicit-def: $vgpr7
	s_delay_alu instid0(VALU_DEP_3) | instskip(NEXT) | instid1(VALU_DEP_1)
	v_dual_cndmask_b32 v6, 0, v6 :: v_dual_cndmask_b32 v5, 7, v5
	v_cmp_ne_u64_e32 vcc_lo, 0, v[5:6]
	s_delay_alu instid0(VALU_DEP_3) | instskip(NEXT) | instid1(SALU_CYCLE_1)
	s_or_b32 s2, s2, vcc_lo
	s_and_saveexec_b32 s42, s2
	s_delay_alu instid0(SALU_CYCLE_1)
	s_xor_b32 s2, exec_lo, s42
; %bb.20:                               ;   in Loop: Header=BB100_10 Depth=1
	v_min_i32_e32 v1, 15, v1
	s_delay_alu instid0(VALU_DEP_1) | instskip(NEXT) | instid1(VALU_DEP_1)
	v_lshl_or_b32 v1, v1, 3, v12
                                        ; implicit-def: $vgpr12
	v_and_or_b32 v7, v5, 7, v1
; %bb.21:                               ;   in Loop: Header=BB100_10 Depth=1
	s_and_not1_saveexec_b32 s2, s2
; %bb.22:                               ;   in Loop: Header=BB100_10 Depth=1
	v_mov_b32_e32 v7, v12
; %bb.23:                               ;   in Loop: Header=BB100_10 Depth=1
	s_or_b32 exec_lo, exec_lo, s2
.LBB100_24:                             ;   in Loop: Header=BB100_10 Depth=1
	s_delay_alu instid0(SALU_CYCLE_1)
	s_or_b32 exec_lo, exec_lo, s41
.LBB100_25:                             ;   in Loop: Header=BB100_10 Depth=1
	s_and_not1_saveexec_b32 s2, s40
	s_delay_alu instid0(SALU_CYCLE_1)
	s_or_b32 exec_lo, exec_lo, s2
                                        ; implicit-def: $vgpr6
.LBB100_26:                             ;   in Loop: Header=BB100_10 Depth=1
	s_and_not1_saveexec_b32 s2, s39
; %bb.27:                               ;   in Loop: Header=BB100_10 Depth=1
	v_cmp_eq_u64_e32 vcc_lo, 0, v[1:2]
	v_or_b32_e32 v5, 0x7f, v6
	s_delay_alu instid0(VALU_DEP_1)
	v_cndmask_b32_e32 v7, v5, v7, vcc_lo
; %bb.28:                               ;   in Loop: Header=BB100_10 Depth=1
	s_or_b32 exec_lo, exec_lo, s2
	v_lshlrev_b32_e32 v1, 16, v11
	v_mov_b32_e32 v13, v2
	global_store_b8 v[3:4], v7, off
	s_mov_b32 s2, exec_lo
	v_div_scale_f32 v5, null, s8, s8, v1
	s_delay_alu instid0(VALU_DEP_1) | instskip(SKIP_2) | instid1(VALU_DEP_1)
	v_rcp_f32_e32 v6, v5
	s_waitcnt_depctr 0xfff
	v_fma_f32 v8, -v5, v6, 1.0
	v_fmac_f32_e32 v6, v8, v6
	v_div_scale_f32 v8, vcc_lo, v1, s8, v1
	s_delay_alu instid0(VALU_DEP_1) | instskip(NEXT) | instid1(VALU_DEP_1)
	v_mul_f32_e32 v11, v8, v6
	v_fma_f32 v12, -v5, v11, v8
	s_delay_alu instid0(VALU_DEP_1) | instskip(NEXT) | instid1(VALU_DEP_1)
	v_fmac_f32_e32 v11, v12, v6
	v_fma_f32 v5, -v5, v11, v8
	s_delay_alu instid0(VALU_DEP_1) | instskip(NEXT) | instid1(VALU_DEP_1)
	v_div_fmas_f32 v5, v5, v6, v11
	v_div_fixup_f32 v5, v5, s8, v1
	s_delay_alu instid0(VALU_DEP_1) | instskip(SKIP_2) | instid1(VALU_DEP_2)
	v_and_b32_e32 v12, 0x7f800000, v5
	v_lshrrev_b32_e32 v8, 24, v5
	v_and_b32_e32 v1, 0x7fffff, v5
	v_and_b32_e32 v11, 0x80, v8
	s_delay_alu instid0(VALU_DEP_1)
	v_or_b32_e32 v6, 0x7e, v11
	v_cmpx_ne_u64_e32 0x7f800000, v[12:13]
	s_xor_b32 s39, exec_lo, s2
	s_cbranch_execz .LBB100_44
; %bb.29:                               ;   in Loop: Header=BB100_10 Depth=1
	v_dual_mov_b32 v8, v2 :: v_dual_and_b32 v7, 0x7fffffff, v5
	s_mov_b32 s2, exec_lo
	s_delay_alu instid0(VALU_DEP_1)
	v_cmpx_gt_u64_e32 0x43e00001, v[7:8]
	s_xor_b32 s40, exec_lo, s2
	s_cbranch_execz .LBB100_43
; %bb.30:                               ;   in Loop: Header=BB100_10 Depth=1
	v_mov_b32_e32 v6, 0
	s_mov_b32 s41, exec_lo
	v_cmpx_ne_u32_e32 0, v5
	s_cbranch_execz .LBB100_42
; %bb.31:                               ;   in Loop: Header=BB100_10 Depth=1
	v_bfe_u32 v12, v5, 23, 8
	v_or_b32_e32 v7, 0x800000, v1
	s_delay_alu instid0(VALU_DEP_2) | instskip(SKIP_1) | instid1(VALU_DEP_2)
	v_sub_nc_u32_e32 v5, 0x79, v12
	v_cmp_gt_u32_e32 vcc_lo, 0x7a, v12
	v_cndmask_b32_e32 v5, 0, v5, vcc_lo
	v_cmp_eq_u32_e32 vcc_lo, 0, v12
	s_delay_alu instid0(VALU_DEP_2) | instskip(SKIP_1) | instid1(VALU_DEP_2)
	v_cndmask_b32_e64 v13, v5, 0x78, vcc_lo
	v_cndmask_b32_e32 v1, v7, v1, vcc_lo
	v_add_nc_u32_e32 v5, 20, v13
	v_add_nc_u32_e32 v7, 19, v13
	s_delay_alu instid0(VALU_DEP_2) | instskip(NEXT) | instid1(VALU_DEP_2)
	v_lshlrev_b64 v[5:6], v5, -1
	v_lshlrev_b64 v[7:8], v7, 1
	s_delay_alu instid0(VALU_DEP_2) | instskip(NEXT) | instid1(VALU_DEP_3)
	v_not_b32_e32 v6, v6
	v_not_b32_e32 v5, v5
	s_delay_alu instid0(VALU_DEP_2) | instskip(NEXT) | instid1(VALU_DEP_2)
	v_and_b32_e32 v15, 0, v6
	v_and_b32_e32 v14, v1, v5
	v_lshrrev_b64 v[5:6], v13, v[1:2]
	s_delay_alu instid0(VALU_DEP_2) | instskip(NEXT) | instid1(VALU_DEP_2)
	v_cmp_eq_u64_e64 s2, v[14:15], v[7:8]
	v_dual_mov_b32 v8, v6 :: v_dual_mov_b32 v7, v5
	s_delay_alu instid0(VALU_DEP_2)
	s_and_saveexec_b32 s42, s2
; %bb.32:                               ;   in Loop: Header=BB100_10 Depth=1
	v_bfe_u32 v1, v5, 20, 1
	s_delay_alu instid0(VALU_DEP_1) | instskip(NEXT) | instid1(VALU_DEP_1)
	v_add_co_u32 v1, s2, v5, v1
	v_add_co_u32 v7, s2, v1, -1
; %bb.33:                               ;   in Loop: Header=BB100_10 Depth=1
	s_or_b32 exec_lo, exec_lo, s42
	v_add_nc_u32_e32 v1, 0xffffff81, v12
	v_lshrrev_b32_e32 v8, 23, v5
	s_mov_b32 s2, exec_lo
	s_delay_alu instid0(VALU_DEP_2) | instskip(NEXT) | instid1(VALU_DEP_1)
	v_cndmask_b32_e64 v1, v1, 0xffffff82, vcc_lo
	v_add3_u32 v8, v13, v1, v8
	v_and_b32_e32 v1, 0xfffff, v7
	s_delay_alu instid0(VALU_DEP_2) | instskip(NEXT) | instid1(VALU_DEP_2)
	v_add_nc_u32_e32 v7, 6, v8
	v_add_co_u32 v5, vcc_lo, v1, v5
	v_add_co_ci_u32_e32 v6, vcc_lo, 0, v6, vcc_lo
                                        ; implicit-def: $vgpr1
	s_delay_alu instid0(VALU_DEP_3)
	v_cmpx_ne_u32_e32 0, v7
	s_xor_b32 s2, exec_lo, s2
; %bb.34:                               ;   in Loop: Header=BB100_10 Depth=1
	s_delay_alu instid0(VALU_DEP_2) | instskip(SKIP_1) | instid1(VALU_DEP_1)
	v_cmp_lt_u64_e32 vcc_lo, 0xffffff, v[5:6]
	v_add_nc_u32_e32 v1, 7, v8
	v_cndmask_b32_e32 v1, v7, v1, vcc_lo
	v_cndmask_b32_e64 v7, 0, 1, vcc_lo
	s_delay_alu instid0(VALU_DEP_1)
	v_lshrrev_b64 v[5:6], v7, v[5:6]
; %bb.35:                               ;   in Loop: Header=BB100_10 Depth=1
	s_and_not1_saveexec_b32 s2, s2
; %bb.36:                               ;   in Loop: Header=BB100_10 Depth=1
	s_delay_alu instid0(VALU_DEP_1)
	v_bfe_u32 v1, v5, 23, 1
; %bb.37:                               ;   in Loop: Header=BB100_10 Depth=1
	s_or_b32 exec_lo, exec_lo, s2
	s_delay_alu instid0(VALU_DEP_2) | instskip(NEXT) | instid1(VALU_DEP_2)
	v_lshrrev_b64 v[5:6], 20, v[5:6]
	v_cmp_gt_i32_e32 vcc_lo, 16, v1
	v_cmp_ne_u32_e64 s2, 0, v1
	s_delay_alu instid0(VALU_DEP_3) | instskip(NEXT) | instid1(VALU_DEP_1)
	v_dual_cndmask_b32 v6, 0, v6 :: v_dual_cndmask_b32 v5, 7, v5
	v_cmp_ne_u64_e32 vcc_lo, 0, v[5:6]
                                        ; implicit-def: $vgpr6
	s_delay_alu instid0(VALU_DEP_3) | instskip(NEXT) | instid1(SALU_CYCLE_1)
	s_or_b32 s2, s2, vcc_lo
	s_and_saveexec_b32 s42, s2
	s_delay_alu instid0(SALU_CYCLE_1)
	s_xor_b32 s2, exec_lo, s42
; %bb.38:                               ;   in Loop: Header=BB100_10 Depth=1
	v_min_i32_e32 v1, 15, v1
	s_delay_alu instid0(VALU_DEP_1) | instskip(NEXT) | instid1(VALU_DEP_1)
	v_lshl_or_b32 v1, v1, 3, v11
                                        ; implicit-def: $vgpr11
	v_and_or_b32 v6, v5, 7, v1
; %bb.39:                               ;   in Loop: Header=BB100_10 Depth=1
	s_and_not1_saveexec_b32 s2, s2
; %bb.40:                               ;   in Loop: Header=BB100_10 Depth=1
	v_mov_b32_e32 v6, v11
; %bb.41:                               ;   in Loop: Header=BB100_10 Depth=1
	s_or_b32 exec_lo, exec_lo, s2
.LBB100_42:                             ;   in Loop: Header=BB100_10 Depth=1
	s_delay_alu instid0(SALU_CYCLE_1)
	s_or_b32 exec_lo, exec_lo, s41
.LBB100_43:                             ;   in Loop: Header=BB100_10 Depth=1
	s_and_not1_saveexec_b32 s2, s40
	s_delay_alu instid0(SALU_CYCLE_1)
	s_or_b32 exec_lo, exec_lo, s2
                                        ; implicit-def: $vgpr8
.LBB100_44:                             ;   in Loop: Header=BB100_10 Depth=1
	s_and_not1_saveexec_b32 s2, s39
	s_cbranch_execz .LBB100_9
; %bb.45:                               ;   in Loop: Header=BB100_10 Depth=1
	v_cmp_eq_u64_e32 vcc_lo, 0, v[1:2]
	v_or_b32_e32 v5, 0x7f, v8
	s_delay_alu instid0(VALU_DEP_1)
	v_cndmask_b32_e32 v6, v5, v6, vcc_lo
	s_branch .LBB100_9
.LBB100_46:
	s_or_b32 exec_lo, exec_lo, s35
	s_delay_alu instid0(SALU_CYCLE_1)
	s_mov_b32 s2, exec_lo
	v_cmpx_gt_i32_e64 s6, v0
	s_cbranch_execz .LBB100_67
; %bb.47:
	s_mul_i32 s3, s16, s11
	s_mul_hi_u32 s8, s16, s10
	s_mul_i32 s2, s16, s10
	s_add_i32 s3, s8, s3
	s_load_b32 s0, s[0:1], 0x8c
	s_lshl_b64 s[2:3], s[2:3], 1
	v_mov_b32_e32 v3, 0
	s_add_u32 s1, s14, s2
	s_addc_u32 s2, s15, s3
	s_waitcnt lgkmcnt(0)
	s_load_b32 s3, s[24:25], 0x0
	s_ashr_i32 s4, s4, 31
	s_delay_alu instid0(SALU_CYCLE_1) | instskip(NEXT) | instid1(SALU_CYCLE_1)
	s_mul_i32 s4, s22, s4
	s_add_i32 s4, s30, s4
	s_delay_alu instid0(SALU_CYCLE_1) | instskip(SKIP_3) | instid1(SALU_CYCLE_1)
	s_add_i32 s4, s4, s31
	s_add_u32 s8, s18, s34
	s_addc_u32 s9, s19, s4
	s_ashr_i32 s4, s5, 31
	s_mul_i32 s7, s7, s4
	s_delay_alu instid0(SALU_CYCLE_1) | instskip(NEXT) | instid1(SALU_CYCLE_1)
	s_add_i32 s4, s29, s7
	s_add_i32 s5, s4, s23
	s_add_u32 s4, s8, s28
	s_addc_u32 s5, s9, s5
	s_and_b32 s7, s0, 0xffff
	s_mov_b32 s8, 0
	s_branch .LBB100_49
.LBB100_48:                             ;   in Loop: Header=BB100_49 Depth=1
	s_or_b32 exec_lo, exec_lo, s0
	v_add_co_u32 v6, vcc_lo, s4, v0
	v_add_nc_u32_e32 v0, s7, v0
	v_add_co_ci_u32_e32 v7, vcc_lo, s5, v1, vcc_lo
	s_delay_alu instid0(VALU_DEP_2) | instskip(SKIP_2) | instid1(SALU_CYCLE_1)
	v_cmp_le_i32_e32 vcc_lo, s6, v0
	global_store_b8 v[6:7], v5, off
	s_or_b32 s8, vcc_lo, s8
	s_and_not1_b32 exec_lo, exec_lo, s8
	s_cbranch_execz .LBB100_67
.LBB100_49:                             ; =>This Inner Loop Header: Depth=1
	v_ashrrev_i32_e32 v1, 31, v0
	s_mov_b32 s0, exec_lo
	v_mov_b32_e32 v10, v3
	s_delay_alu instid0(VALU_DEP_2) | instskip(NEXT) | instid1(VALU_DEP_1)
	v_lshlrev_b64 v[4:5], 1, v[0:1]
	v_add_co_u32 v4, vcc_lo, s1, v4
	s_delay_alu instid0(VALU_DEP_2) | instskip(SKIP_4) | instid1(VALU_DEP_1)
	v_add_co_ci_u32_e32 v5, vcc_lo, s2, v5, vcc_lo
	global_load_u16 v2, v[4:5], off
	s_waitcnt vmcnt(0)
	v_lshlrev_b32_e32 v2, 16, v2
	s_waitcnt lgkmcnt(0)
	v_div_scale_f32 v4, null, s3, s3, v2
	s_delay_alu instid0(VALU_DEP_1) | instskip(SKIP_2) | instid1(VALU_DEP_1)
	v_rcp_f32_e32 v5, v4
	s_waitcnt_depctr 0xfff
	v_fma_f32 v6, -v4, v5, 1.0
	v_fmac_f32_e32 v5, v6, v5
	v_div_scale_f32 v6, vcc_lo, v2, s3, v2
	s_delay_alu instid0(VALU_DEP_1) | instskip(NEXT) | instid1(VALU_DEP_1)
	v_mul_f32_e32 v7, v6, v5
	v_fma_f32 v8, -v4, v7, v6
	s_delay_alu instid0(VALU_DEP_1) | instskip(NEXT) | instid1(VALU_DEP_1)
	v_fmac_f32_e32 v7, v8, v5
	v_fma_f32 v4, -v4, v7, v6
	s_delay_alu instid0(VALU_DEP_1) | instskip(NEXT) | instid1(VALU_DEP_1)
	v_div_fmas_f32 v4, v4, v5, v7
	v_div_fixup_f32 v4, v4, s3, v2
	s_delay_alu instid0(VALU_DEP_1) | instskip(SKIP_2) | instid1(VALU_DEP_3)
	v_lshrrev_b32_e32 v6, 24, v4
	v_and_b32_e32 v9, 0x7f800000, v4
	v_and_b32_e32 v2, 0x7fffff, v4
	;; [unrolled: 1-line block ×3, first 2 shown]
	s_delay_alu instid0(VALU_DEP_1) | instskip(NEXT) | instid1(VALU_DEP_4)
	v_or_b32_e32 v5, 0x7e, v8
	v_cmpx_ne_u64_e32 0x7f800000, v[9:10]
	s_xor_b32 s9, exec_lo, s0
	s_cbranch_execz .LBB100_65
; %bb.50:                               ;   in Loop: Header=BB100_49 Depth=1
	v_dual_mov_b32 v7, v3 :: v_dual_and_b32 v6, 0x7fffffff, v4
	s_mov_b32 s0, exec_lo
	s_delay_alu instid0(VALU_DEP_1)
	v_cmpx_gt_u64_e32 0x43e00001, v[6:7]
	s_xor_b32 s10, exec_lo, s0
	s_cbranch_execz .LBB100_64
; %bb.51:                               ;   in Loop: Header=BB100_49 Depth=1
	v_mov_b32_e32 v5, 0
	s_mov_b32 s11, exec_lo
	v_cmpx_ne_u32_e32 0, v4
	s_cbranch_execz .LBB100_63
; %bb.52:                               ;   in Loop: Header=BB100_49 Depth=1
	v_bfe_u32 v9, v4, 23, 8
	v_or_b32_e32 v6, 0x800000, v2
	s_delay_alu instid0(VALU_DEP_2) | instskip(SKIP_1) | instid1(VALU_DEP_2)
	v_sub_nc_u32_e32 v4, 0x79, v9
	v_cmp_gt_u32_e32 vcc_lo, 0x7a, v9
	v_cndmask_b32_e32 v4, 0, v4, vcc_lo
	v_cmp_eq_u32_e32 vcc_lo, 0, v9
	s_delay_alu instid0(VALU_DEP_2) | instskip(SKIP_1) | instid1(VALU_DEP_2)
	v_cndmask_b32_e64 v10, v4, 0x78, vcc_lo
	v_cndmask_b32_e32 v2, v6, v2, vcc_lo
	v_add_nc_u32_e32 v4, 20, v10
	v_add_nc_u32_e32 v6, 19, v10
	s_delay_alu instid0(VALU_DEP_2) | instskip(NEXT) | instid1(VALU_DEP_2)
	v_lshlrev_b64 v[4:5], v4, -1
	v_lshlrev_b64 v[6:7], v6, 1
	s_delay_alu instid0(VALU_DEP_2) | instskip(NEXT) | instid1(VALU_DEP_3)
	v_not_b32_e32 v5, v5
	v_not_b32_e32 v4, v4
	s_delay_alu instid0(VALU_DEP_2) | instskip(NEXT) | instid1(VALU_DEP_2)
	v_and_b32_e32 v12, 0, v5
	v_and_b32_e32 v11, v2, v4
	v_lshrrev_b64 v[4:5], v10, v[2:3]
	s_delay_alu instid0(VALU_DEP_2) | instskip(NEXT) | instid1(VALU_DEP_2)
	v_cmp_eq_u64_e64 s0, v[11:12], v[6:7]
	v_dual_mov_b32 v7, v5 :: v_dual_mov_b32 v6, v4
	s_delay_alu instid0(VALU_DEP_2)
	s_and_saveexec_b32 s12, s0
; %bb.53:                               ;   in Loop: Header=BB100_49 Depth=1
	v_bfe_u32 v2, v4, 20, 1
	s_delay_alu instid0(VALU_DEP_1) | instskip(NEXT) | instid1(VALU_DEP_1)
	v_add_co_u32 v2, s0, v4, v2
	v_add_co_u32 v6, s0, v2, -1
; %bb.54:                               ;   in Loop: Header=BB100_49 Depth=1
	s_or_b32 exec_lo, exec_lo, s12
	v_add_nc_u32_e32 v2, 0xffffff81, v9
	v_lshrrev_b32_e32 v7, 23, v4
	s_mov_b32 s0, exec_lo
	s_delay_alu instid0(VALU_DEP_2) | instskip(NEXT) | instid1(VALU_DEP_1)
	v_cndmask_b32_e64 v2, v2, 0xffffff82, vcc_lo
	v_add3_u32 v7, v10, v2, v7
	v_and_b32_e32 v2, 0xfffff, v6
	s_delay_alu instid0(VALU_DEP_2) | instskip(NEXT) | instid1(VALU_DEP_2)
	v_add_nc_u32_e32 v6, 6, v7
	v_add_co_u32 v4, vcc_lo, v2, v4
	v_add_co_ci_u32_e32 v5, vcc_lo, 0, v5, vcc_lo
                                        ; implicit-def: $vgpr2
	s_delay_alu instid0(VALU_DEP_3)
	v_cmpx_ne_u32_e32 0, v6
	s_xor_b32 s0, exec_lo, s0
; %bb.55:                               ;   in Loop: Header=BB100_49 Depth=1
	s_delay_alu instid0(VALU_DEP_2) | instskip(SKIP_1) | instid1(VALU_DEP_1)
	v_cmp_lt_u64_e32 vcc_lo, 0xffffff, v[4:5]
	v_add_nc_u32_e32 v2, 7, v7
	v_cndmask_b32_e32 v2, v6, v2, vcc_lo
	v_cndmask_b32_e64 v6, 0, 1, vcc_lo
	s_delay_alu instid0(VALU_DEP_1)
	v_lshrrev_b64 v[4:5], v6, v[4:5]
; %bb.56:                               ;   in Loop: Header=BB100_49 Depth=1
	s_and_not1_saveexec_b32 s0, s0
; %bb.57:                               ;   in Loop: Header=BB100_49 Depth=1
	s_delay_alu instid0(VALU_DEP_1)
	v_bfe_u32 v2, v4, 23, 1
; %bb.58:                               ;   in Loop: Header=BB100_49 Depth=1
	s_or_b32 exec_lo, exec_lo, s0
	s_delay_alu instid0(VALU_DEP_2) | instskip(NEXT) | instid1(VALU_DEP_2)
	v_lshrrev_b64 v[4:5], 20, v[4:5]
	v_cmp_gt_i32_e32 vcc_lo, 16, v2
	v_cmp_ne_u32_e64 s0, 0, v2
	s_delay_alu instid0(VALU_DEP_3) | instskip(NEXT) | instid1(VALU_DEP_1)
	v_dual_cndmask_b32 v5, 0, v5 :: v_dual_cndmask_b32 v4, 7, v4
	v_cmp_ne_u64_e32 vcc_lo, 0, v[4:5]
                                        ; implicit-def: $vgpr5
	s_delay_alu instid0(VALU_DEP_3) | instskip(NEXT) | instid1(SALU_CYCLE_1)
	s_or_b32 s0, s0, vcc_lo
	s_and_saveexec_b32 s12, s0
	s_delay_alu instid0(SALU_CYCLE_1)
	s_xor_b32 s0, exec_lo, s12
; %bb.59:                               ;   in Loop: Header=BB100_49 Depth=1
	v_min_i32_e32 v2, 15, v2
	s_delay_alu instid0(VALU_DEP_1) | instskip(NEXT) | instid1(VALU_DEP_1)
	v_lshl_or_b32 v2, v2, 3, v8
                                        ; implicit-def: $vgpr8
	v_and_or_b32 v5, v4, 7, v2
; %bb.60:                               ;   in Loop: Header=BB100_49 Depth=1
	s_and_not1_saveexec_b32 s0, s0
; %bb.61:                               ;   in Loop: Header=BB100_49 Depth=1
	v_mov_b32_e32 v5, v8
; %bb.62:                               ;   in Loop: Header=BB100_49 Depth=1
	s_or_b32 exec_lo, exec_lo, s0
.LBB100_63:                             ;   in Loop: Header=BB100_49 Depth=1
	s_delay_alu instid0(SALU_CYCLE_1)
	s_or_b32 exec_lo, exec_lo, s11
.LBB100_64:                             ;   in Loop: Header=BB100_49 Depth=1
	s_and_not1_saveexec_b32 s0, s10
	s_delay_alu instid0(SALU_CYCLE_1)
	s_or_b32 exec_lo, exec_lo, s0
                                        ; implicit-def: $vgpr6
.LBB100_65:                             ;   in Loop: Header=BB100_49 Depth=1
	s_and_not1_saveexec_b32 s0, s9
	s_cbranch_execz .LBB100_48
; %bb.66:                               ;   in Loop: Header=BB100_49 Depth=1
	v_cmp_eq_u64_e32 vcc_lo, 0, v[2:3]
	v_or_b32_e32 v4, 0x7f, v6
	s_delay_alu instid0(VALU_DEP_1)
	v_cndmask_b32_e32 v5, v4, v5, vcc_lo
	s_branch .LBB100_48
.LBB100_67:
	s_nop 0
	s_sendmsg sendmsg(MSG_DEALLOC_VGPRS)
	s_endpgm
.LBB100_68:
                                        ; implicit-def: $sgpr22_sgpr23
	s_branch .LBB100_6
	.section	.rodata,"a",@progbits
	.p2align	6, 0x0
	.amdhsa_kernel _ZN4vllm38concat_and_cache_mla_rope_fused_kernelIN3c104HalfENS1_8BFloat16ELb1E14__hip_bfloat16hLNS_18Fp8KVCacheDataTypeE1EEEvPKlPT_S9_PKS8_PKT0_illlliPT3_S7_iiiiPKf
		.amdhsa_group_segment_fixed_size 0
		.amdhsa_private_segment_fixed_size 0
		.amdhsa_kernarg_size 384
		.amdhsa_user_sgpr_count 15
		.amdhsa_user_sgpr_dispatch_ptr 0
		.amdhsa_user_sgpr_queue_ptr 0
		.amdhsa_user_sgpr_kernarg_segment_ptr 1
		.amdhsa_user_sgpr_dispatch_id 0
		.amdhsa_user_sgpr_private_segment_size 0
		.amdhsa_wavefront_size32 1
		.amdhsa_uses_dynamic_stack 0
		.amdhsa_enable_private_segment 0
		.amdhsa_system_sgpr_workgroup_id_x 1
		.amdhsa_system_sgpr_workgroup_id_y 0
		.amdhsa_system_sgpr_workgroup_id_z 0
		.amdhsa_system_sgpr_workgroup_info 0
		.amdhsa_system_vgpr_workitem_id 0
		.amdhsa_next_free_vgpr 21
		.amdhsa_next_free_sgpr 46
		.amdhsa_reserve_vcc 1
		.amdhsa_float_round_mode_32 0
		.amdhsa_float_round_mode_16_64 0
		.amdhsa_float_denorm_mode_32 3
		.amdhsa_float_denorm_mode_16_64 3
		.amdhsa_dx10_clamp 1
		.amdhsa_ieee_mode 1
		.amdhsa_fp16_overflow 0
		.amdhsa_workgroup_processor_mode 1
		.amdhsa_memory_ordered 1
		.amdhsa_forward_progress 0
		.amdhsa_shared_vgpr_count 0
		.amdhsa_exception_fp_ieee_invalid_op 0
		.amdhsa_exception_fp_denorm_src 0
		.amdhsa_exception_fp_ieee_div_zero 0
		.amdhsa_exception_fp_ieee_overflow 0
		.amdhsa_exception_fp_ieee_underflow 0
		.amdhsa_exception_fp_ieee_inexact 0
		.amdhsa_exception_int_div_zero 0
	.end_amdhsa_kernel
	.section	.text._ZN4vllm38concat_and_cache_mla_rope_fused_kernelIN3c104HalfENS1_8BFloat16ELb1E14__hip_bfloat16hLNS_18Fp8KVCacheDataTypeE1EEEvPKlPT_S9_PKS8_PKT0_illlliPT3_S7_iiiiPKf,"axG",@progbits,_ZN4vllm38concat_and_cache_mla_rope_fused_kernelIN3c104HalfENS1_8BFloat16ELb1E14__hip_bfloat16hLNS_18Fp8KVCacheDataTypeE1EEEvPKlPT_S9_PKS8_PKT0_illlliPT3_S7_iiiiPKf,comdat
.Lfunc_end100:
	.size	_ZN4vllm38concat_and_cache_mla_rope_fused_kernelIN3c104HalfENS1_8BFloat16ELb1E14__hip_bfloat16hLNS_18Fp8KVCacheDataTypeE1EEEvPKlPT_S9_PKS8_PKT0_illlliPT3_S7_iiiiPKf, .Lfunc_end100-_ZN4vllm38concat_and_cache_mla_rope_fused_kernelIN3c104HalfENS1_8BFloat16ELb1E14__hip_bfloat16hLNS_18Fp8KVCacheDataTypeE1EEEvPKlPT_S9_PKS8_PKT0_illlliPT3_S7_iiiiPKf
                                        ; -- End function
	.section	.AMDGPU.csdata,"",@progbits
; Kernel info:
; codeLenInByte = 4448
; NumSgprs: 48
; NumVgprs: 21
; ScratchSize: 0
; MemoryBound: 0
; FloatMode: 240
; IeeeMode: 1
; LDSByteSize: 0 bytes/workgroup (compile time only)
; SGPRBlocks: 5
; VGPRBlocks: 2
; NumSGPRsForWavesPerEU: 48
; NumVGPRsForWavesPerEU: 21
; Occupancy: 16
; WaveLimiterHint : 1
; COMPUTE_PGM_RSRC2:SCRATCH_EN: 0
; COMPUTE_PGM_RSRC2:USER_SGPR: 15
; COMPUTE_PGM_RSRC2:TRAP_HANDLER: 0
; COMPUTE_PGM_RSRC2:TGID_X_EN: 1
; COMPUTE_PGM_RSRC2:TGID_Y_EN: 0
; COMPUTE_PGM_RSRC2:TGID_Z_EN: 0
; COMPUTE_PGM_RSRC2:TIDIG_COMP_CNT: 0
	.section	.text._ZN4vllm38concat_and_cache_mla_rope_fused_kernelIN3c104HalfENS1_8BFloat16ELb0E14__hip_bfloat16hLNS_18Fp8KVCacheDataTypeE1EEEvPKlPT_S9_PKS8_PKT0_illlliPT3_S7_iiiiPKf,"axG",@progbits,_ZN4vllm38concat_and_cache_mla_rope_fused_kernelIN3c104HalfENS1_8BFloat16ELb0E14__hip_bfloat16hLNS_18Fp8KVCacheDataTypeE1EEEvPKlPT_S9_PKS8_PKT0_illlliPT3_S7_iiiiPKf,comdat
	.protected	_ZN4vllm38concat_and_cache_mla_rope_fused_kernelIN3c104HalfENS1_8BFloat16ELb0E14__hip_bfloat16hLNS_18Fp8KVCacheDataTypeE1EEEvPKlPT_S9_PKS8_PKT0_illlliPT3_S7_iiiiPKf ; -- Begin function _ZN4vllm38concat_and_cache_mla_rope_fused_kernelIN3c104HalfENS1_8BFloat16ELb0E14__hip_bfloat16hLNS_18Fp8KVCacheDataTypeE1EEEvPKlPT_S9_PKS8_PKT0_illlliPT3_S7_iiiiPKf
	.globl	_ZN4vllm38concat_and_cache_mla_rope_fused_kernelIN3c104HalfENS1_8BFloat16ELb0E14__hip_bfloat16hLNS_18Fp8KVCacheDataTypeE1EEEvPKlPT_S9_PKS8_PKT0_illlliPT3_S7_iiiiPKf
	.p2align	8
	.type	_ZN4vllm38concat_and_cache_mla_rope_fused_kernelIN3c104HalfENS1_8BFloat16ELb0E14__hip_bfloat16hLNS_18Fp8KVCacheDataTypeE1EEEvPKlPT_S9_PKS8_PKT0_illlliPT3_S7_iiiiPKf,@function
_ZN4vllm38concat_and_cache_mla_rope_fused_kernelIN3c104HalfENS1_8BFloat16ELb0E14__hip_bfloat16hLNS_18Fp8KVCacheDataTypeE1EEEvPKlPT_S9_PKS8_PKT0_illlliPT3_S7_iiiiPKf: ; @_ZN4vllm38concat_and_cache_mla_rope_fused_kernelIN3c104HalfENS1_8BFloat16ELb0E14__hip_bfloat16hLNS_18Fp8KVCacheDataTypeE1EEEvPKlPT_S9_PKS8_PKT0_illlliPT3_S7_iiiiPKf
; %bb.0:
	s_load_b64 s[4:5], s[0:1], 0x60
	s_mov_b32 s16, s15
	s_mov_b32 s17, 0
	s_delay_alu instid0(SALU_CYCLE_1)
	s_lshl_b64 s[2:3], s[16:17], 3
	s_waitcnt lgkmcnt(0)
	s_add_u32 s4, s4, s2
	s_addc_u32 s5, s5, s3
	s_load_b64 s[26:27], s[4:5], 0x0
	s_waitcnt lgkmcnt(0)
	v_cmp_lt_i64_e64 s4, s[26:27], 0
	s_delay_alu instid0(VALU_DEP_1)
	s_and_b32 vcc_lo, exec_lo, s4
	s_cbranch_vccnz .LBB101_67
; %bb.1:
	s_clause 0x3
	s_load_b32 s21, s[0:1], 0x28
	s_load_b64 s[4:5], s[0:1], 0x0
	s_load_b128 s[12:15], s[0:1], 0x10
	s_load_b32 s17, s[0:1], 0x50
	v_lshlrev_b32_e32 v3, 1, v0
	s_waitcnt lgkmcnt(0)
	s_ashr_i32 s24, s21, 31
	s_add_u32 s2, s4, s2
	s_addc_u32 s3, s5, s3
	s_lshr_b32 s20, s21, 31
	s_load_b64 s[22:23], s[2:3], 0x0
	s_clause 0x2
	s_load_b64 s[2:3], s[0:1], 0x20
	s_load_b64 s[18:19], s[0:1], 0x58
	s_load_b256 s[4:11], s[0:1], 0x30
	s_add_i32 s20, s21, s20
	s_delay_alu instid0(SALU_CYCLE_1) | instskip(NEXT) | instid1(SALU_CYCLE_1)
	s_ashr_i32 s20, s20, 1
	s_mul_i32 s17, s20, s17
	s_waitcnt lgkmcnt(0)
	s_mul_i32 s24, s22, s24
	s_mul_hi_u32 s25, s22, s21
	s_mul_i32 s23, s23, s21
	s_add_i32 s24, s25, s24
	s_mul_i32 s28, s22, s21
	s_add_i32 s29, s24, s23
	s_mov_b32 s22, exec_lo
	v_cmpx_gt_i32_e64 s17, v0
	s_cbranch_execz .LBB101_4
; %bb.2:
	s_clause 0x1
	s_load_b64 s[30:31], s[0:1], 0x8
	s_load_b32 s34, s[0:1], 0x8c
	s_lshl_b64 s[24:25], s[28:29], 1
	s_mul_i32 s5, s16, s5
	s_mul_hi_u32 s21, s16, s4
	s_add_u32 s23, s2, s24
	s_mul_i32 s4, s16, s4
	s_addc_u32 s24, s3, s25
	s_add_i32 s5, s21, s5
	s_ashr_i32 s21, s20, 31
	s_lshl_b64 s[4:5], s[4:5], 1
	s_mov_b32 s33, 0
	s_waitcnt lgkmcnt(0)
	s_add_u32 s25, s30, s4
	s_addc_u32 s30, s31, s5
	s_abs_i32 s31, s20
	s_and_b32 s34, s34, 0xffff
	v_cvt_f32_u32_e32 v1, s31
	s_sub_i32 s4, 0, s31
	s_sub_i32 s35, 0, s20
	s_lshl_b32 s37, s34, 1
	s_delay_alu instid0(VALU_DEP_1) | instskip(SKIP_2) | instid1(VALU_DEP_1)
	v_rcp_iflag_f32_e32 v1, v1
	s_waitcnt_depctr 0xfff
	v_mul_f32_e32 v1, 0x4f7ffffe, v1
	v_cvt_u32_f32_e32 v2, v1
	s_delay_alu instid0(VALU_DEP_1) | instskip(SKIP_1) | instid1(SALU_CYCLE_1)
	v_mul_lo_u32 v1, s4, v2
	s_lshl_b32 s4, s20, 1
	s_sub_i32 s36, 0, s4
	s_lshl_b64 s[4:5], s[20:21], 1
	s_delay_alu instid0(VALU_DEP_1) | instskip(NEXT) | instid1(VALU_DEP_1)
	v_mul_hi_u32 v4, v2, v1
	v_dual_mov_b32 v1, v3 :: v_dual_add_nc_u32 v4, v2, v4
	v_mov_b32_e32 v2, v0
.LBB101_3:                              ; =>This Inner Loop Header: Depth=1
	s_delay_alu instid0(VALU_DEP_1) | instskip(SKIP_1) | instid1(VALU_DEP_2)
	v_sub_nc_u32_e32 v5, 0, v2
	v_ashrrev_i32_e32 v6, 31, v2
	v_max_i32_e32 v5, v2, v5
	s_delay_alu instid0(VALU_DEP_2) | instskip(NEXT) | instid1(VALU_DEP_2)
	v_xor_b32_e32 v6, s21, v6
	v_mul_hi_u32 v7, v5, v4
	s_delay_alu instid0(VALU_DEP_1) | instskip(SKIP_1) | instid1(VALU_DEP_2)
	v_mul_lo_u32 v8, v7, s31
	v_add_nc_u32_e32 v9, 1, v7
	v_sub_nc_u32_e32 v5, v5, v8
	s_delay_alu instid0(VALU_DEP_1) | instskip(SKIP_1) | instid1(VALU_DEP_4)
	v_subrev_nc_u32_e32 v8, s31, v5
	v_cmp_le_u32_e32 vcc_lo, s31, v5
	v_cndmask_b32_e32 v7, v7, v9, vcc_lo
	s_delay_alu instid0(VALU_DEP_1) | instskip(NEXT) | instid1(VALU_DEP_1)
	v_dual_cndmask_b32 v5, v5, v8 :: v_dual_add_nc_u32 v8, 1, v7
	v_cmp_le_u32_e32 vcc_lo, s31, v5
	s_delay_alu instid0(VALU_DEP_2) | instskip(NEXT) | instid1(VALU_DEP_1)
	v_cndmask_b32_e32 v5, v7, v8, vcc_lo
	v_xor_b32_e32 v5, v5, v6
	s_delay_alu instid0(VALU_DEP_1) | instskip(NEXT) | instid1(VALU_DEP_1)
	v_sub_nc_u32_e32 v11, v5, v6
	v_mad_u64_u32 v[5:6], null, s35, v11, v[2:3]
	v_ashrrev_i32_e32 v6, 31, v11
	v_mul_lo_u32 v12, v11, s7
	v_mad_u64_u32 v[7:8], null, v11, s6, 0
	v_mad_u64_u32 v[9:10], null, s36, v11, v[1:2]
	v_add_nc_u32_e32 v2, s34, v2
	v_mul_lo_u32 v11, v6, s6
	v_ashrrev_i32_e32 v6, 31, v5
	v_add_nc_u32_e32 v1, s37, v1
	v_ashrrev_i32_e32 v10, 31, v9
	s_delay_alu instid0(VALU_DEP_3) | instskip(SKIP_1) | instid1(VALU_DEP_3)
	v_lshlrev_b64 v[5:6], 1, v[5:6]
	v_add3_u32 v8, v8, v12, v11
	v_lshlrev_b64 v[9:10], 1, v[9:10]
	s_delay_alu instid0(VALU_DEP_3) | instskip(NEXT) | instid1(VALU_DEP_3)
	v_add_co_u32 v5, vcc_lo, s23, v5
	v_lshlrev_b64 v[7:8], 1, v[7:8]
	v_add_co_ci_u32_e32 v6, vcc_lo, s24, v6, vcc_lo
	s_delay_alu instid0(VALU_DEP_3) | instskip(NEXT) | instid1(VALU_DEP_2)
	v_add_co_u32 v11, vcc_lo, v5, s4
	v_add_co_ci_u32_e32 v12, vcc_lo, s5, v6, vcc_lo
	s_delay_alu instid0(VALU_DEP_4)
	v_add_co_u32 v7, vcc_lo, s25, v7
	v_add_co_ci_u32_e32 v8, vcc_lo, s30, v8, vcc_lo
	s_clause 0x1
	global_load_u16 v13, v[5:6], off
	global_load_u16 v11, v[11:12], off
	v_add_co_u32 v5, vcc_lo, v7, v9
	v_add_co_ci_u32_e32 v6, vcc_lo, v8, v10, vcc_lo
	v_cmp_le_i32_e32 vcc_lo, s17, v2
	global_load_b32 v7, v[5:6], off
	s_or_b32 s33, vcc_lo, s33
	s_waitcnt vmcnt(2)
	v_lshlrev_b32_e32 v9, 16, v13
	s_waitcnt vmcnt(1)
	v_lshlrev_b32_e32 v8, 16, v11
	s_delay_alu instid0(VALU_DEP_2) | instskip(NEXT) | instid1(VALU_DEP_2)
	v_cvt_f16_f32_e32 v9, v9
	v_cvt_f16_f32_e32 v8, v8
	s_waitcnt vmcnt(0)
	v_lshrrev_b32_e32 v10, 16, v7
	s_delay_alu instid0(VALU_DEP_1) | instskip(SKIP_1) | instid1(VALU_DEP_2)
	v_mul_f16_e32 v11, v10, v8
	v_mul_f16_e32 v8, v7, v8
	v_fma_f16 v7, v7, v9, -v11
	s_delay_alu instid0(VALU_DEP_2) | instskip(NEXT) | instid1(VALU_DEP_1)
	v_fmac_f16_e32 v8, v10, v9
	v_pack_b32_f16 v7, v7, v8
	global_store_b32 v[5:6], v7, off
	s_and_not1_b32 exec_lo, exec_lo, s33
	s_cbranch_execnz .LBB101_3
.LBB101_4:
	s_or_b32 exec_lo, exec_lo, s22
	s_load_b128 s[4:7], s[0:1], 0x68
	s_waitcnt lgkmcnt(0)
	s_ashr_i32 s31, s7, 31
	s_mov_b32 s30, s7
	s_delay_alu instid0(SALU_CYCLE_1) | instskip(SKIP_1) | instid1(SALU_CYCLE_1)
	s_or_b64 s[24:25], s[26:27], s[30:31]
	s_mov_b32 s24, 0
	s_cmp_lg_u64 s[24:25], 0
	s_cbranch_scc0 .LBB101_68
; %bb.5:
	s_add_u32 s34, s30, s31
	s_mov_b32 s22, s31
	s_mov_b32 s23, s31
	s_addc_u32 s35, s31, s31
	s_delay_alu instid0(SALU_CYCLE_1) | instskip(NEXT) | instid1(SALU_CYCLE_1)
	s_xor_b64 s[34:35], s[34:35], s[22:23]
	v_cvt_f32_u32_e32 v1, s34
	v_cvt_f32_u32_e32 v2, s35
	s_sub_u32 s21, 0, s34
	s_subb_u32 s25, 0, s35
	s_delay_alu instid0(VALU_DEP_1) | instskip(NEXT) | instid1(VALU_DEP_1)
	v_fmamk_f32 v1, v2, 0x4f800000, v1
	v_rcp_f32_e32 v1, v1
	s_waitcnt_depctr 0xfff
	v_mul_f32_e32 v1, 0x5f7ffffc, v1
	s_delay_alu instid0(VALU_DEP_1) | instskip(NEXT) | instid1(VALU_DEP_1)
	v_mul_f32_e32 v2, 0x2f800000, v1
	v_trunc_f32_e32 v2, v2
	s_delay_alu instid0(VALU_DEP_1) | instskip(SKIP_1) | instid1(VALU_DEP_2)
	v_fmamk_f32 v1, v2, 0xcf800000, v1
	v_cvt_u32_f32_e32 v2, v2
	v_cvt_u32_f32_e32 v1, v1
	s_delay_alu instid0(VALU_DEP_2) | instskip(NEXT) | instid1(VALU_DEP_2)
	v_readfirstlane_b32 s7, v2
	v_readfirstlane_b32 s17, v1
	s_delay_alu instid0(VALU_DEP_2) | instskip(NEXT) | instid1(VALU_DEP_1)
	s_mul_i32 s33, s21, s7
	s_mul_hi_u32 s37, s21, s17
	s_mul_i32 s36, s25, s17
	s_add_i32 s33, s37, s33
	s_mul_i32 s38, s21, s17
	s_add_i32 s33, s33, s36
	s_mul_hi_u32 s37, s17, s38
	s_mul_hi_u32 s39, s7, s38
	s_mul_i32 s36, s7, s38
	s_mul_hi_u32 s38, s17, s33
	s_mul_i32 s17, s17, s33
	s_mul_hi_u32 s40, s7, s33
	s_add_u32 s17, s37, s17
	s_addc_u32 s37, 0, s38
	s_add_u32 s17, s17, s36
	s_mul_i32 s33, s7, s33
	s_addc_u32 s17, s37, s39
	s_addc_u32 s36, s40, 0
	s_add_u32 s17, s17, s33
	s_addc_u32 s33, 0, s36
	v_add_co_u32 v1, s17, v1, s17
	s_delay_alu instid0(VALU_DEP_1) | instskip(SKIP_1) | instid1(VALU_DEP_1)
	s_cmp_lg_u32 s17, 0
	s_addc_u32 s7, s7, s33
	v_readfirstlane_b32 s17, v1
	s_mul_i32 s33, s21, s7
	s_delay_alu instid0(VALU_DEP_1)
	s_mul_hi_u32 s36, s21, s17
	s_mul_i32 s25, s25, s17
	s_add_i32 s33, s36, s33
	s_mul_i32 s21, s21, s17
	s_add_i32 s33, s33, s25
	s_mul_hi_u32 s36, s7, s21
	s_mul_i32 s37, s7, s21
	s_mul_hi_u32 s21, s17, s21
	s_mul_hi_u32 s38, s17, s33
	s_mul_i32 s17, s17, s33
	s_mul_hi_u32 s25, s7, s33
	s_add_u32 s17, s21, s17
	s_addc_u32 s21, 0, s38
	s_add_u32 s17, s17, s37
	s_mul_i32 s33, s7, s33
	s_addc_u32 s17, s21, s36
	s_addc_u32 s21, s25, 0
	s_add_u32 s17, s17, s33
	s_addc_u32 s21, 0, s21
	v_add_co_u32 v1, s17, v1, s17
	s_delay_alu instid0(VALU_DEP_1) | instskip(SKIP_2) | instid1(VALU_DEP_1)
	s_cmp_lg_u32 s17, 0
	s_addc_u32 s7, s7, s21
	s_ashr_i32 s36, s27, 31
	v_readfirstlane_b32 s17, v1
	s_add_u32 s38, s26, s36
	s_mov_b32 s37, s36
	s_addc_u32 s39, s27, s36
	s_delay_alu instid0(SALU_CYCLE_1) | instskip(NEXT) | instid1(SALU_CYCLE_1)
	s_xor_b64 s[38:39], s[38:39], s[36:37]
	s_mul_i32 s25, s38, s7
	s_mul_hi_u32 s33, s38, s17
	s_mul_hi_u32 s21, s38, s7
	;; [unrolled: 1-line block ×3, first 2 shown]
	s_mul_i32 s17, s39, s17
	s_add_u32 s25, s33, s25
	s_addc_u32 s21, 0, s21
	s_mul_hi_u32 s40, s39, s7
	s_add_u32 s17, s25, s17
	s_mul_i32 s7, s39, s7
	s_addc_u32 s17, s21, s41
	s_addc_u32 s21, s40, 0
	s_add_u32 s7, s17, s7
	s_addc_u32 s17, 0, s21
	s_mul_hi_u32 s21, s34, s7
	s_mul_i32 s33, s34, s17
	s_mul_i32 s40, s34, s7
	s_add_i32 s21, s21, s33
	v_sub_co_u32 v1, s33, s38, s40
	s_mul_i32 s25, s35, s7
	s_delay_alu instid0(SALU_CYCLE_1) | instskip(NEXT) | instid1(VALU_DEP_1)
	s_add_i32 s21, s21, s25
	v_sub_co_u32 v2, s38, v1, s34
	s_sub_i32 s25, s39, s21
	s_cmp_lg_u32 s33, 0
	s_subb_u32 s25, s25, s35
	s_cmp_lg_u32 s38, 0
	v_readfirstlane_b32 s38, v2
	s_subb_u32 s25, s25, 0
	s_delay_alu instid0(SALU_CYCLE_1) | instskip(SKIP_1) | instid1(VALU_DEP_1)
	s_cmp_ge_u32 s25, s35
	s_cselect_b32 s40, -1, 0
	s_cmp_ge_u32 s38, s34
	s_cselect_b32 s38, -1, 0
	s_cmp_eq_u32 s25, s35
	s_cselect_b32 s25, s38, s40
	s_add_u32 s38, s7, 1
	s_addc_u32 s40, s17, 0
	s_add_u32 s41, s7, 2
	s_addc_u32 s42, s17, 0
	s_cmp_lg_u32 s25, 0
	s_cselect_b32 s25, s41, s38
	s_cselect_b32 s38, s42, s40
	s_cmp_lg_u32 s33, 0
	v_readfirstlane_b32 s33, v1
	s_subb_u32 s21, s39, s21
	s_delay_alu instid0(SALU_CYCLE_1) | instskip(SKIP_1) | instid1(VALU_DEP_1)
	s_cmp_ge_u32 s21, s35
	s_cselect_b32 s39, -1, 0
	s_cmp_ge_u32 s33, s34
	s_cselect_b32 s33, -1, 0
	s_cmp_eq_u32 s21, s35
	s_cselect_b32 s21, s33, s39
	s_delay_alu instid0(SALU_CYCLE_1) | instskip(SKIP_3) | instid1(SALU_CYCLE_1)
	s_cmp_lg_u32 s21, 0
	s_cselect_b32 s35, s38, s17
	s_cselect_b32 s34, s25, s7
	s_xor_b64 s[22:23], s[36:37], s[22:23]
	s_xor_b64 s[34:35], s[34:35], s[22:23]
	s_delay_alu instid0(SALU_CYCLE_1)
	s_sub_u32 s22, s34, s22
	s_subb_u32 s23, s35, s23
	s_and_not1_b32 vcc_lo, exec_lo, s24
	s_cbranch_vccnz .LBB101_7
.LBB101_6:
	v_cvt_f32_u32_e32 v1, s30
	s_sub_i32 s17, 0, s30
	s_mov_b32 s23, 0
	s_delay_alu instid0(VALU_DEP_1) | instskip(SKIP_2) | instid1(VALU_DEP_1)
	v_rcp_iflag_f32_e32 v1, v1
	s_waitcnt_depctr 0xfff
	v_mul_f32_e32 v1, 0x4f7ffffe, v1
	v_cvt_u32_f32_e32 v1, v1
	s_delay_alu instid0(VALU_DEP_1) | instskip(NEXT) | instid1(VALU_DEP_1)
	v_readfirstlane_b32 s7, v1
	s_mul_i32 s17, s17, s7
	s_delay_alu instid0(SALU_CYCLE_1) | instskip(NEXT) | instid1(SALU_CYCLE_1)
	s_mul_hi_u32 s17, s7, s17
	s_add_i32 s7, s7, s17
	s_delay_alu instid0(SALU_CYCLE_1) | instskip(NEXT) | instid1(SALU_CYCLE_1)
	s_mul_hi_u32 s7, s26, s7
	s_mul_i32 s17, s7, s30
	s_add_i32 s21, s7, 1
	s_sub_i32 s17, s26, s17
	s_delay_alu instid0(SALU_CYCLE_1)
	s_sub_i32 s22, s17, s30
	s_cmp_ge_u32 s17, s30
	s_cselect_b32 s7, s21, s7
	s_cselect_b32 s17, s22, s17
	s_add_i32 s21, s7, 1
	s_cmp_ge_u32 s17, s30
	s_cselect_b32 s22, s21, s7
.LBB101_7:
	s_load_b64 s[24:25], s[0:1], 0x78
	s_mul_i32 s7, s22, s31
	s_mul_hi_u32 s17, s22, s30
	s_mul_i32 s21, s22, s30
	s_add_i32 s7, s17, s7
	s_mul_i32 s17, s23, s30
	s_mul_i32 s30, s23, s4
	s_add_i32 s17, s7, s17
	s_sub_u32 s7, s26, s21
	s_subb_u32 s17, s27, s17
	s_mul_hi_u32 s27, s22, s4
	s_mul_i32 s31, s22, s4
	s_mul_hi_u32 s26, s7, s5
	s_mul_i32 s17, s17, s5
	s_mul_i32 s23, s7, s5
	s_mov_b32 s33, exec_lo
	v_cmpx_gt_i32_e64 s20, v0
	s_cbranch_execz .LBB101_46
; %bb.8:
	s_load_b32 s35, s[0:1], 0x8c
	s_ashr_i32 s38, s4, 31
	s_ashr_i32 s39, s5, 31
	s_lshl_b64 s[36:37], s[28:29], 1
	s_mul_i32 s28, s22, s38
	s_mul_i32 s29, s7, s39
	s_add_i32 s28, s27, s28
	s_add_i32 s29, s26, s29
	s_ashr_i32 s21, s20, 31
	s_ashr_i32 s40, s6, 31
	s_add_i32 s38, s28, s30
	s_add_i32 s29, s29, s17
	s_waitcnt lgkmcnt(0)
	s_load_b32 s34, s[24:25], 0x0
	s_mul_i32 s9, s9, s16
	v_lshlrev_b32_e32 v1, 2, v0
	v_mov_b32_e32 v17, v0
	s_and_b32 s28, s35, 0xffff
	s_add_u32 s2, s2, s36
	s_addc_u32 s35, s3, s37
	s_lshl_b32 s3, s28, 1
	s_lshl_b64 s[36:37], s[20:21], 1
	v_add_co_u32 v11, s2, s2, v3
	s_add_u32 s21, s31, s23
	v_add_co_ci_u32_e64 v12, null, s35, 0, s2
	s_addc_u32 s2, s38, s29
	s_add_u32 s29, s18, s6
	s_addc_u32 s35, s19, s40
	s_add_u32 s21, s29, s21
	s_mul_hi_u32 s29, s8, s16
	s_addc_u32 s2, s35, s2
	s_add_i32 s9, s29, s9
	s_mul_i32 s8, s8, s16
	v_add_co_u32 v2, s21, s21, v3
	s_lshl_b64 s[8:9], s[8:9], 1
	v_add_co_ci_u32_e64 v3, null, s2, 0, s21
	s_add_u32 s2, s12, s8
	v_add_co_u32 v13, vcc_lo, v11, s36
	s_addc_u32 s8, s13, s9
	v_add_co_u32 v1, s2, s2, v1
	v_add_co_ci_u32_e32 v14, vcc_lo, s37, v12, vcc_lo
	v_add_co_ci_u32_e64 v4, null, s8, 0, s2
	v_add_co_u32 v15, vcc_lo, v2, 1
	v_add_co_ci_u32_e32 v16, vcc_lo, 0, v3, vcc_lo
	v_add_co_u32 v1, vcc_lo, v1, 2
	s_delay_alu instid0(VALU_DEP_4)
	v_add_co_ci_u32_e32 v2, vcc_lo, 0, v4, vcc_lo
	v_mov_b32_e32 v4, 0
	s_mov_b32 s12, 0
	s_lshl_b32 s13, s28, 2
	s_mov_b64 s[8:9], 0
	s_branch .LBB101_10
.LBB101_9:                              ;   in Loop: Header=BB101_10 Depth=1
	s_or_b32 exec_lo, exec_lo, s2
	v_add_nc_u32_e32 v17, s28, v17
	v_add_co_u32 v1, s2, v1, s13
	s_delay_alu instid0(VALU_DEP_1) | instskip(NEXT) | instid1(VALU_DEP_3)
	v_add_co_ci_u32_e64 v2, s2, 0, v2, s2
	v_cmp_le_i32_e32 vcc_lo, s20, v17
	s_add_u32 s8, s8, s3
	s_addc_u32 s9, s9, 0
	global_store_b8 v[5:6], v8, off
	s_or_b32 s12, vcc_lo, s12
	s_delay_alu instid0(SALU_CYCLE_1)
	s_and_not1_b32 exec_lo, exec_lo, s12
	s_cbranch_execz .LBB101_46
.LBB101_10:                             ; =>This Inner Loop Header: Depth=1
	v_add_co_u32 v5, vcc_lo, v13, s8
	v_add_co_ci_u32_e32 v6, vcc_lo, s9, v14, vcc_lo
	v_add_co_u32 v7, vcc_lo, v11, s8
	v_add_co_ci_u32_e32 v8, vcc_lo, s9, v12, vcc_lo
	global_load_u16 v3, v[5:6], off
	global_load_b32 v6, v[1:2], off offset:-2
	global_load_u16 v5, v[7:8], off
	s_waitcnt vmcnt(2)
	v_lshlrev_b32_e32 v3, 16, v3
	s_waitcnt vmcnt(1)
	v_lshrrev_b32_e32 v7, 16, v6
	s_waitcnt vmcnt(0)
	v_lshlrev_b32_e32 v5, 16, v5
	v_cvt_f16_f32_e32 v3, v3
	s_delay_alu instid0(VALU_DEP_2) | instskip(NEXT) | instid1(VALU_DEP_2)
	v_cvt_f16_f32_e32 v8, v5
	v_mul_f16_e32 v5, v7, v3
	s_delay_alu instid0(VALU_DEP_1) | instskip(NEXT) | instid1(VALU_DEP_1)
	v_fma_f16 v18, v6, v8, -v5
	v_lshlrev_b32_e32 v5, 16, v18
	s_waitcnt lgkmcnt(0)
	s_delay_alu instid0(VALU_DEP_1) | instskip(NEXT) | instid1(VALU_DEP_1)
	v_div_scale_f32 v9, null, s34, s34, v5
	v_rcp_f32_e32 v10, v9
	s_waitcnt_depctr 0xfff
	v_fma_f32 v19, -v9, v10, 1.0
	s_delay_alu instid0(VALU_DEP_1) | instskip(SKIP_1) | instid1(VALU_DEP_1)
	v_fmac_f32_e32 v10, v19, v10
	v_div_scale_f32 v19, vcc_lo, v5, s34, v5
	v_mul_f32_e32 v20, v19, v10
	s_delay_alu instid0(VALU_DEP_1) | instskip(NEXT) | instid1(VALU_DEP_1)
	v_fma_f32 v21, -v9, v20, v19
	v_fmac_f32_e32 v20, v21, v10
	s_delay_alu instid0(VALU_DEP_1) | instskip(NEXT) | instid1(VALU_DEP_1)
	v_fma_f32 v9, -v9, v20, v19
	v_div_fmas_f32 v9, v9, v10, v20
	s_delay_alu instid0(VALU_DEP_1) | instskip(SKIP_1) | instid1(VALU_DEP_2)
	v_div_fixup_f32 v5, v9, s34, v5
	v_mul_f16_e32 v9, v6, v3
	v_lshrrev_b32_e32 v6, 24, v5
	s_delay_alu instid0(VALU_DEP_2) | instskip(SKIP_2) | instid1(VALU_DEP_4)
	v_fmac_f16_e32 v9, v7, v8
	v_dual_mov_b32 v8, v4 :: v_dual_and_b32 v7, 0x7f800000, v5
	v_and_b32_e32 v3, 0x7fffff, v5
	v_and_b32_e32 v10, 0x80, v6
	s_delay_alu instid0(VALU_DEP_4) | instskip(NEXT) | instid1(VALU_DEP_4)
	v_pack_b32_f16 v18, v18, v9
	v_cmp_ne_u64_e32 vcc_lo, 0x7f800000, v[7:8]
	s_delay_alu instid0(VALU_DEP_3) | instskip(SKIP_2) | instid1(SALU_CYCLE_1)
	v_or_b32_e32 v7, 0x7e, v10
	global_store_b32 v[1:2], v18, off offset:-2
	s_and_saveexec_b32 s2, vcc_lo
	s_xor_b32 s21, exec_lo, s2
	s_cbranch_execz .LBB101_26
; %bb.11:                               ;   in Loop: Header=BB101_10 Depth=1
	v_dual_mov_b32 v19, v4 :: v_dual_and_b32 v18, 0x7fffffff, v5
	s_mov_b32 s2, exec_lo
	s_delay_alu instid0(VALU_DEP_1)
	v_cmpx_gt_u64_e32 0x43e00001, v[18:19]
	s_xor_b32 s29, exec_lo, s2
	s_cbranch_execz .LBB101_25
; %bb.12:                               ;   in Loop: Header=BB101_10 Depth=1
	v_mov_b32_e32 v7, 0
	s_mov_b32 s35, exec_lo
	v_cmpx_ne_u32_e32 0, v5
	s_cbranch_execz .LBB101_24
; %bb.13:                               ;   in Loop: Header=BB101_10 Depth=1
	v_bfe_u32 v18, v5, 23, 8
	v_or_b32_e32 v7, 0x800000, v3
	s_delay_alu instid0(VALU_DEP_2) | instskip(SKIP_1) | instid1(VALU_DEP_2)
	v_sub_nc_u32_e32 v5, 0x79, v18
	v_cmp_gt_u32_e32 vcc_lo, 0x7a, v18
	v_cndmask_b32_e32 v5, 0, v5, vcc_lo
	v_cmp_eq_u32_e32 vcc_lo, 0, v18
	s_delay_alu instid0(VALU_DEP_2) | instskip(SKIP_1) | instid1(VALU_DEP_2)
	v_cndmask_b32_e64 v19, v5, 0x78, vcc_lo
	v_cndmask_b32_e32 v3, v7, v3, vcc_lo
	v_add_nc_u32_e32 v5, 20, v19
	v_add_nc_u32_e32 v7, 19, v19
	s_delay_alu instid0(VALU_DEP_2) | instskip(NEXT) | instid1(VALU_DEP_2)
	v_lshlrev_b64 v[5:6], v5, -1
	v_lshlrev_b64 v[7:8], v7, 1
	s_delay_alu instid0(VALU_DEP_2) | instskip(NEXT) | instid1(VALU_DEP_3)
	v_not_b32_e32 v6, v6
	v_not_b32_e32 v5, v5
	s_delay_alu instid0(VALU_DEP_2) | instskip(NEXT) | instid1(VALU_DEP_2)
	v_and_b32_e32 v21, 0, v6
	v_and_b32_e32 v20, v3, v5
	v_lshrrev_b64 v[5:6], v19, v[3:4]
	s_delay_alu instid0(VALU_DEP_2) | instskip(NEXT) | instid1(VALU_DEP_2)
	v_cmp_eq_u64_e64 s2, v[20:21], v[7:8]
	v_dual_mov_b32 v8, v6 :: v_dual_mov_b32 v7, v5
	s_delay_alu instid0(VALU_DEP_2)
	s_and_saveexec_b32 s36, s2
; %bb.14:                               ;   in Loop: Header=BB101_10 Depth=1
	v_bfe_u32 v3, v5, 20, 1
	s_delay_alu instid0(VALU_DEP_1) | instskip(NEXT) | instid1(VALU_DEP_1)
	v_add_co_u32 v3, s2, v5, v3
	v_add_co_u32 v7, s2, v3, -1
; %bb.15:                               ;   in Loop: Header=BB101_10 Depth=1
	s_or_b32 exec_lo, exec_lo, s36
	v_add_nc_u32_e32 v3, 0xffffff81, v18
	v_lshrrev_b32_e32 v8, 23, v5
	s_mov_b32 s2, exec_lo
	s_delay_alu instid0(VALU_DEP_2) | instskip(NEXT) | instid1(VALU_DEP_1)
	v_cndmask_b32_e64 v3, v3, 0xffffff82, vcc_lo
	v_add3_u32 v8, v19, v3, v8
	v_and_b32_e32 v3, 0xfffff, v7
	s_delay_alu instid0(VALU_DEP_2) | instskip(NEXT) | instid1(VALU_DEP_2)
	v_add_nc_u32_e32 v7, 6, v8
	v_add_co_u32 v5, vcc_lo, v3, v5
	v_add_co_ci_u32_e32 v6, vcc_lo, 0, v6, vcc_lo
                                        ; implicit-def: $vgpr3
	s_delay_alu instid0(VALU_DEP_3)
	v_cmpx_ne_u32_e32 0, v7
	s_xor_b32 s2, exec_lo, s2
; %bb.16:                               ;   in Loop: Header=BB101_10 Depth=1
	s_delay_alu instid0(VALU_DEP_2) | instskip(SKIP_1) | instid1(VALU_DEP_1)
	v_cmp_lt_u64_e32 vcc_lo, 0xffffff, v[5:6]
	v_add_nc_u32_e32 v3, 7, v8
	v_cndmask_b32_e32 v3, v7, v3, vcc_lo
	v_cndmask_b32_e64 v7, 0, 1, vcc_lo
	s_delay_alu instid0(VALU_DEP_1)
	v_lshrrev_b64 v[5:6], v7, v[5:6]
; %bb.17:                               ;   in Loop: Header=BB101_10 Depth=1
	s_and_not1_saveexec_b32 s2, s2
; %bb.18:                               ;   in Loop: Header=BB101_10 Depth=1
	s_delay_alu instid0(VALU_DEP_1)
	v_bfe_u32 v3, v5, 23, 1
; %bb.19:                               ;   in Loop: Header=BB101_10 Depth=1
	s_or_b32 exec_lo, exec_lo, s2
	s_delay_alu instid0(VALU_DEP_2) | instskip(NEXT) | instid1(VALU_DEP_2)
	v_lshrrev_b64 v[5:6], 20, v[5:6]
	v_cmp_gt_i32_e32 vcc_lo, 16, v3
	v_cmp_ne_u32_e64 s2, 0, v3
                                        ; implicit-def: $vgpr7
	s_delay_alu instid0(VALU_DEP_3) | instskip(NEXT) | instid1(VALU_DEP_1)
	v_dual_cndmask_b32 v6, 0, v6 :: v_dual_cndmask_b32 v5, 7, v5
	v_cmp_ne_u64_e32 vcc_lo, 0, v[5:6]
	s_delay_alu instid0(VALU_DEP_3) | instskip(NEXT) | instid1(SALU_CYCLE_1)
	s_or_b32 s2, s2, vcc_lo
	s_and_saveexec_b32 s36, s2
	s_delay_alu instid0(SALU_CYCLE_1)
	s_xor_b32 s2, exec_lo, s36
; %bb.20:                               ;   in Loop: Header=BB101_10 Depth=1
	v_min_i32_e32 v3, 15, v3
	s_delay_alu instid0(VALU_DEP_1) | instskip(NEXT) | instid1(VALU_DEP_1)
	v_lshl_or_b32 v3, v3, 3, v10
                                        ; implicit-def: $vgpr10
	v_and_or_b32 v7, v5, 7, v3
; %bb.21:                               ;   in Loop: Header=BB101_10 Depth=1
	s_and_not1_saveexec_b32 s2, s2
; %bb.22:                               ;   in Loop: Header=BB101_10 Depth=1
	v_mov_b32_e32 v7, v10
; %bb.23:                               ;   in Loop: Header=BB101_10 Depth=1
	s_or_b32 exec_lo, exec_lo, s2
.LBB101_24:                             ;   in Loop: Header=BB101_10 Depth=1
	s_delay_alu instid0(SALU_CYCLE_1)
	s_or_b32 exec_lo, exec_lo, s35
.LBB101_25:                             ;   in Loop: Header=BB101_10 Depth=1
	s_and_not1_saveexec_b32 s2, s29
	s_delay_alu instid0(SALU_CYCLE_1)
	s_or_b32 exec_lo, exec_lo, s2
                                        ; implicit-def: $vgpr6
.LBB101_26:                             ;   in Loop: Header=BB101_10 Depth=1
	s_and_not1_saveexec_b32 s2, s21
; %bb.27:                               ;   in Loop: Header=BB101_10 Depth=1
	v_cmp_eq_u64_e32 vcc_lo, 0, v[3:4]
	v_or_b32_e32 v5, 0x7f, v6
	s_delay_alu instid0(VALU_DEP_1)
	v_cndmask_b32_e32 v7, v5, v7, vcc_lo
; %bb.28:                               ;   in Loop: Header=BB101_10 Depth=1
	s_or_b32 exec_lo, exec_lo, s2
	v_dual_mov_b32 v20, v4 :: v_dual_lshlrev_b32 v3, 16, v9
	s_mov_b32 s2, exec_lo
	s_delay_alu instid0(VALU_DEP_1) | instskip(NEXT) | instid1(VALU_DEP_1)
	v_div_scale_f32 v5, null, s34, s34, v3
	v_rcp_f32_e32 v6, v5
	s_waitcnt_depctr 0xfff
	v_fma_f32 v8, -v5, v6, 1.0
	s_delay_alu instid0(VALU_DEP_1) | instskip(SKIP_1) | instid1(VALU_DEP_1)
	v_fmac_f32_e32 v6, v8, v6
	v_div_scale_f32 v9, vcc_lo, v3, s34, v3
	v_mul_f32_e32 v8, v9, v6
	s_delay_alu instid0(VALU_DEP_1) | instskip(NEXT) | instid1(VALU_DEP_1)
	v_fma_f32 v10, -v5, v8, v9
	v_fmac_f32_e32 v8, v10, v6
	s_delay_alu instid0(VALU_DEP_1) | instskip(NEXT) | instid1(VALU_DEP_1)
	v_fma_f32 v5, -v5, v8, v9
	v_div_fmas_f32 v5, v5, v6, v8
	s_delay_alu instid0(VALU_DEP_1) | instskip(SKIP_2) | instid1(VALU_DEP_3)
	v_div_fixup_f32 v9, v5, s34, v3
	v_add_co_u32 v5, vcc_lo, v15, s8
	v_add_co_ci_u32_e32 v6, vcc_lo, s9, v16, vcc_lo
	v_and_b32_e32 v3, 0x7fffff, v9
	v_lshrrev_b32_e32 v10, 24, v9
	v_and_b32_e32 v19, 0x7f800000, v9
	global_store_b8 v[5:6], v7, off offset:-1
	v_and_b32_e32 v18, 0x80, v10
	s_delay_alu instid0(VALU_DEP_1)
	v_or_b32_e32 v8, 0x7e, v18
	v_cmpx_ne_u64_e32 0x7f800000, v[19:20]
	s_xor_b32 s21, exec_lo, s2
	s_cbranch_execz .LBB101_44
; %bb.29:                               ;   in Loop: Header=BB101_10 Depth=1
	v_dual_mov_b32 v20, v4 :: v_dual_and_b32 v19, 0x7fffffff, v9
	s_mov_b32 s2, exec_lo
	s_delay_alu instid0(VALU_DEP_1)
	v_cmpx_gt_u64_e32 0x43e00001, v[19:20]
	s_xor_b32 s29, exec_lo, s2
	s_cbranch_execz .LBB101_43
; %bb.30:                               ;   in Loop: Header=BB101_10 Depth=1
	v_mov_b32_e32 v8, 0
	s_mov_b32 s35, exec_lo
	v_cmpx_ne_u32_e32 0, v9
	s_cbranch_execz .LBB101_42
; %bb.31:                               ;   in Loop: Header=BB101_10 Depth=1
	v_bfe_u32 v19, v9, 23, 8
	v_or_b32_e32 v9, 0x800000, v3
	s_delay_alu instid0(VALU_DEP_2) | instskip(SKIP_1) | instid1(VALU_DEP_2)
	v_sub_nc_u32_e32 v7, 0x79, v19
	v_cmp_gt_u32_e32 vcc_lo, 0x7a, v19
	v_cndmask_b32_e32 v7, 0, v7, vcc_lo
	v_cmp_eq_u32_e32 vcc_lo, 0, v19
	s_delay_alu instid0(VALU_DEP_2) | instskip(SKIP_1) | instid1(VALU_DEP_2)
	v_cndmask_b32_e64 v20, v7, 0x78, vcc_lo
	v_cndmask_b32_e32 v3, v9, v3, vcc_lo
	v_add_nc_u32_e32 v7, 20, v20
	v_add_nc_u32_e32 v9, 19, v20
	s_delay_alu instid0(VALU_DEP_2) | instskip(NEXT) | instid1(VALU_DEP_2)
	v_lshlrev_b64 v[7:8], v7, -1
	v_lshlrev_b64 v[9:10], v9, 1
	s_delay_alu instid0(VALU_DEP_2) | instskip(NEXT) | instid1(VALU_DEP_3)
	v_not_b32_e32 v8, v8
	v_not_b32_e32 v7, v7
	s_delay_alu instid0(VALU_DEP_2) | instskip(NEXT) | instid1(VALU_DEP_2)
	v_and_b32_e32 v22, 0, v8
	v_and_b32_e32 v21, v3, v7
	v_lshrrev_b64 v[7:8], v20, v[3:4]
	s_delay_alu instid0(VALU_DEP_2) | instskip(NEXT) | instid1(VALU_DEP_2)
	v_cmp_eq_u64_e64 s2, v[21:22], v[9:10]
	v_dual_mov_b32 v10, v8 :: v_dual_mov_b32 v9, v7
	s_delay_alu instid0(VALU_DEP_2)
	s_and_saveexec_b32 s36, s2
; %bb.32:                               ;   in Loop: Header=BB101_10 Depth=1
	v_bfe_u32 v3, v7, 20, 1
	s_delay_alu instid0(VALU_DEP_1) | instskip(NEXT) | instid1(VALU_DEP_1)
	v_add_co_u32 v3, s2, v7, v3
	v_add_co_u32 v9, s2, v3, -1
; %bb.33:                               ;   in Loop: Header=BB101_10 Depth=1
	s_or_b32 exec_lo, exec_lo, s36
	v_add_nc_u32_e32 v3, 0xffffff81, v19
	v_lshrrev_b32_e32 v10, 23, v7
	s_mov_b32 s2, exec_lo
	s_delay_alu instid0(VALU_DEP_2) | instskip(NEXT) | instid1(VALU_DEP_1)
	v_cndmask_b32_e64 v3, v3, 0xffffff82, vcc_lo
	v_add3_u32 v10, v20, v3, v10
	v_and_b32_e32 v3, 0xfffff, v9
	s_delay_alu instid0(VALU_DEP_2) | instskip(NEXT) | instid1(VALU_DEP_2)
	v_add_nc_u32_e32 v9, 6, v10
	v_add_co_u32 v7, vcc_lo, v3, v7
	v_add_co_ci_u32_e32 v8, vcc_lo, 0, v8, vcc_lo
                                        ; implicit-def: $vgpr3
	s_delay_alu instid0(VALU_DEP_3)
	v_cmpx_ne_u32_e32 0, v9
	s_xor_b32 s2, exec_lo, s2
; %bb.34:                               ;   in Loop: Header=BB101_10 Depth=1
	s_delay_alu instid0(VALU_DEP_2) | instskip(SKIP_1) | instid1(VALU_DEP_1)
	v_cmp_lt_u64_e32 vcc_lo, 0xffffff, v[7:8]
	v_add_nc_u32_e32 v3, 7, v10
	v_cndmask_b32_e32 v3, v9, v3, vcc_lo
	v_cndmask_b32_e64 v9, 0, 1, vcc_lo
	s_delay_alu instid0(VALU_DEP_1)
	v_lshrrev_b64 v[7:8], v9, v[7:8]
; %bb.35:                               ;   in Loop: Header=BB101_10 Depth=1
	s_and_not1_saveexec_b32 s2, s2
; %bb.36:                               ;   in Loop: Header=BB101_10 Depth=1
	s_delay_alu instid0(VALU_DEP_1)
	v_bfe_u32 v3, v7, 23, 1
; %bb.37:                               ;   in Loop: Header=BB101_10 Depth=1
	s_or_b32 exec_lo, exec_lo, s2
	s_delay_alu instid0(VALU_DEP_2) | instskip(NEXT) | instid1(VALU_DEP_2)
	v_lshrrev_b64 v[7:8], 20, v[7:8]
	v_cmp_gt_i32_e32 vcc_lo, 16, v3
	v_cmp_ne_u32_e64 s2, 0, v3
	s_delay_alu instid0(VALU_DEP_3) | instskip(NEXT) | instid1(VALU_DEP_1)
	v_dual_cndmask_b32 v8, 0, v8 :: v_dual_cndmask_b32 v7, 7, v7
	v_cmp_ne_u64_e32 vcc_lo, 0, v[7:8]
                                        ; implicit-def: $vgpr8
	s_delay_alu instid0(VALU_DEP_3) | instskip(NEXT) | instid1(SALU_CYCLE_1)
	s_or_b32 s2, s2, vcc_lo
	s_and_saveexec_b32 s36, s2
	s_delay_alu instid0(SALU_CYCLE_1)
	s_xor_b32 s2, exec_lo, s36
; %bb.38:                               ;   in Loop: Header=BB101_10 Depth=1
	v_min_i32_e32 v3, 15, v3
	s_delay_alu instid0(VALU_DEP_1) | instskip(NEXT) | instid1(VALU_DEP_1)
	v_lshl_or_b32 v3, v3, 3, v18
                                        ; implicit-def: $vgpr18
	v_and_or_b32 v8, v7, 7, v3
; %bb.39:                               ;   in Loop: Header=BB101_10 Depth=1
	s_and_not1_saveexec_b32 s2, s2
; %bb.40:                               ;   in Loop: Header=BB101_10 Depth=1
	v_mov_b32_e32 v8, v18
; %bb.41:                               ;   in Loop: Header=BB101_10 Depth=1
	s_or_b32 exec_lo, exec_lo, s2
.LBB101_42:                             ;   in Loop: Header=BB101_10 Depth=1
	s_delay_alu instid0(SALU_CYCLE_1)
	s_or_b32 exec_lo, exec_lo, s35
.LBB101_43:                             ;   in Loop: Header=BB101_10 Depth=1
	s_and_not1_saveexec_b32 s2, s29
	s_delay_alu instid0(SALU_CYCLE_1)
	s_or_b32 exec_lo, exec_lo, s2
                                        ; implicit-def: $vgpr10
.LBB101_44:                             ;   in Loop: Header=BB101_10 Depth=1
	s_and_not1_saveexec_b32 s2, s21
	s_cbranch_execz .LBB101_9
; %bb.45:                               ;   in Loop: Header=BB101_10 Depth=1
	v_cmp_eq_u64_e32 vcc_lo, 0, v[3:4]
	v_or_b32_e32 v7, 0x7f, v10
	s_delay_alu instid0(VALU_DEP_1)
	v_cndmask_b32_e32 v8, v7, v8, vcc_lo
	s_branch .LBB101_9
.LBB101_46:
	s_or_b32 exec_lo, exec_lo, s33
	s_delay_alu instid0(SALU_CYCLE_1)
	s_mov_b32 s2, exec_lo
	v_cmpx_gt_i32_e64 s6, v0
	s_cbranch_execz .LBB101_67
; %bb.47:
	s_mul_i32 s3, s16, s11
	s_mul_hi_u32 s8, s16, s10
	s_mul_i32 s2, s16, s10
	s_add_i32 s3, s8, s3
	s_load_b32 s0, s[0:1], 0x8c
	s_lshl_b64 s[2:3], s[2:3], 1
	v_mov_b32_e32 v3, 0
	s_add_u32 s1, s14, s2
	s_addc_u32 s2, s15, s3
	s_waitcnt lgkmcnt(0)
	s_load_b32 s3, s[24:25], 0x0
	s_ashr_i32 s4, s4, 31
	s_delay_alu instid0(SALU_CYCLE_1) | instskip(NEXT) | instid1(SALU_CYCLE_1)
	s_mul_i32 s4, s22, s4
	s_add_i32 s4, s27, s4
	s_delay_alu instid0(SALU_CYCLE_1) | instskip(SKIP_3) | instid1(SALU_CYCLE_1)
	s_add_i32 s4, s4, s30
	s_add_u32 s8, s18, s31
	s_addc_u32 s9, s19, s4
	s_ashr_i32 s4, s5, 31
	s_mul_i32 s7, s7, s4
	s_delay_alu instid0(SALU_CYCLE_1) | instskip(NEXT) | instid1(SALU_CYCLE_1)
	s_add_i32 s4, s26, s7
	s_add_i32 s5, s4, s17
	s_add_u32 s4, s8, s23
	s_addc_u32 s5, s9, s5
	s_and_b32 s7, s0, 0xffff
	s_mov_b32 s8, 0
	s_branch .LBB101_49
.LBB101_48:                             ;   in Loop: Header=BB101_49 Depth=1
	s_or_b32 exec_lo, exec_lo, s0
	v_add_co_u32 v6, vcc_lo, s4, v0
	v_add_nc_u32_e32 v0, s7, v0
	v_add_co_ci_u32_e32 v7, vcc_lo, s5, v1, vcc_lo
	s_delay_alu instid0(VALU_DEP_2) | instskip(SKIP_2) | instid1(SALU_CYCLE_1)
	v_cmp_le_i32_e32 vcc_lo, s6, v0
	global_store_b8 v[6:7], v5, off
	s_or_b32 s8, vcc_lo, s8
	s_and_not1_b32 exec_lo, exec_lo, s8
	s_cbranch_execz .LBB101_67
.LBB101_49:                             ; =>This Inner Loop Header: Depth=1
	v_ashrrev_i32_e32 v1, 31, v0
	s_mov_b32 s0, exec_lo
	v_mov_b32_e32 v10, v3
	s_delay_alu instid0(VALU_DEP_2) | instskip(NEXT) | instid1(VALU_DEP_1)
	v_lshlrev_b64 v[4:5], 1, v[0:1]
	v_add_co_u32 v4, vcc_lo, s1, v4
	s_delay_alu instid0(VALU_DEP_2) | instskip(SKIP_4) | instid1(VALU_DEP_1)
	v_add_co_ci_u32_e32 v5, vcc_lo, s2, v5, vcc_lo
	global_load_u16 v2, v[4:5], off
	s_waitcnt vmcnt(0)
	v_lshlrev_b32_e32 v2, 16, v2
	s_waitcnt lgkmcnt(0)
	v_div_scale_f32 v4, null, s3, s3, v2
	s_delay_alu instid0(VALU_DEP_1) | instskip(SKIP_2) | instid1(VALU_DEP_1)
	v_rcp_f32_e32 v5, v4
	s_waitcnt_depctr 0xfff
	v_fma_f32 v6, -v4, v5, 1.0
	v_fmac_f32_e32 v5, v6, v5
	v_div_scale_f32 v6, vcc_lo, v2, s3, v2
	s_delay_alu instid0(VALU_DEP_1) | instskip(NEXT) | instid1(VALU_DEP_1)
	v_mul_f32_e32 v7, v6, v5
	v_fma_f32 v8, -v4, v7, v6
	s_delay_alu instid0(VALU_DEP_1) | instskip(NEXT) | instid1(VALU_DEP_1)
	v_fmac_f32_e32 v7, v8, v5
	v_fma_f32 v4, -v4, v7, v6
	s_delay_alu instid0(VALU_DEP_1) | instskip(NEXT) | instid1(VALU_DEP_1)
	v_div_fmas_f32 v4, v4, v5, v7
	v_div_fixup_f32 v4, v4, s3, v2
	s_delay_alu instid0(VALU_DEP_1) | instskip(SKIP_2) | instid1(VALU_DEP_3)
	v_lshrrev_b32_e32 v6, 24, v4
	v_and_b32_e32 v9, 0x7f800000, v4
	v_and_b32_e32 v2, 0x7fffff, v4
	;; [unrolled: 1-line block ×3, first 2 shown]
	s_delay_alu instid0(VALU_DEP_1) | instskip(NEXT) | instid1(VALU_DEP_4)
	v_or_b32_e32 v5, 0x7e, v8
	v_cmpx_ne_u64_e32 0x7f800000, v[9:10]
	s_xor_b32 s9, exec_lo, s0
	s_cbranch_execz .LBB101_65
; %bb.50:                               ;   in Loop: Header=BB101_49 Depth=1
	v_dual_mov_b32 v7, v3 :: v_dual_and_b32 v6, 0x7fffffff, v4
	s_mov_b32 s0, exec_lo
	s_delay_alu instid0(VALU_DEP_1)
	v_cmpx_gt_u64_e32 0x43e00001, v[6:7]
	s_xor_b32 s10, exec_lo, s0
	s_cbranch_execz .LBB101_64
; %bb.51:                               ;   in Loop: Header=BB101_49 Depth=1
	v_mov_b32_e32 v5, 0
	s_mov_b32 s11, exec_lo
	v_cmpx_ne_u32_e32 0, v4
	s_cbranch_execz .LBB101_63
; %bb.52:                               ;   in Loop: Header=BB101_49 Depth=1
	v_bfe_u32 v9, v4, 23, 8
	v_or_b32_e32 v6, 0x800000, v2
	s_delay_alu instid0(VALU_DEP_2) | instskip(SKIP_1) | instid1(VALU_DEP_2)
	v_sub_nc_u32_e32 v4, 0x79, v9
	v_cmp_gt_u32_e32 vcc_lo, 0x7a, v9
	v_cndmask_b32_e32 v4, 0, v4, vcc_lo
	v_cmp_eq_u32_e32 vcc_lo, 0, v9
	s_delay_alu instid0(VALU_DEP_2) | instskip(SKIP_1) | instid1(VALU_DEP_2)
	v_cndmask_b32_e64 v10, v4, 0x78, vcc_lo
	v_cndmask_b32_e32 v2, v6, v2, vcc_lo
	v_add_nc_u32_e32 v4, 20, v10
	v_add_nc_u32_e32 v6, 19, v10
	s_delay_alu instid0(VALU_DEP_2) | instskip(NEXT) | instid1(VALU_DEP_2)
	v_lshlrev_b64 v[4:5], v4, -1
	v_lshlrev_b64 v[6:7], v6, 1
	s_delay_alu instid0(VALU_DEP_2) | instskip(NEXT) | instid1(VALU_DEP_3)
	v_not_b32_e32 v5, v5
	v_not_b32_e32 v4, v4
	s_delay_alu instid0(VALU_DEP_2) | instskip(NEXT) | instid1(VALU_DEP_2)
	v_and_b32_e32 v12, 0, v5
	v_and_b32_e32 v11, v2, v4
	v_lshrrev_b64 v[4:5], v10, v[2:3]
	s_delay_alu instid0(VALU_DEP_2) | instskip(NEXT) | instid1(VALU_DEP_2)
	v_cmp_eq_u64_e64 s0, v[11:12], v[6:7]
	v_dual_mov_b32 v7, v5 :: v_dual_mov_b32 v6, v4
	s_delay_alu instid0(VALU_DEP_2)
	s_and_saveexec_b32 s12, s0
; %bb.53:                               ;   in Loop: Header=BB101_49 Depth=1
	v_bfe_u32 v2, v4, 20, 1
	s_delay_alu instid0(VALU_DEP_1) | instskip(NEXT) | instid1(VALU_DEP_1)
	v_add_co_u32 v2, s0, v4, v2
	v_add_co_u32 v6, s0, v2, -1
; %bb.54:                               ;   in Loop: Header=BB101_49 Depth=1
	s_or_b32 exec_lo, exec_lo, s12
	v_add_nc_u32_e32 v2, 0xffffff81, v9
	v_lshrrev_b32_e32 v7, 23, v4
	s_mov_b32 s0, exec_lo
	s_delay_alu instid0(VALU_DEP_2) | instskip(NEXT) | instid1(VALU_DEP_1)
	v_cndmask_b32_e64 v2, v2, 0xffffff82, vcc_lo
	v_add3_u32 v7, v10, v2, v7
	v_and_b32_e32 v2, 0xfffff, v6
	s_delay_alu instid0(VALU_DEP_2) | instskip(NEXT) | instid1(VALU_DEP_2)
	v_add_nc_u32_e32 v6, 6, v7
	v_add_co_u32 v4, vcc_lo, v2, v4
	v_add_co_ci_u32_e32 v5, vcc_lo, 0, v5, vcc_lo
                                        ; implicit-def: $vgpr2
	s_delay_alu instid0(VALU_DEP_3)
	v_cmpx_ne_u32_e32 0, v6
	s_xor_b32 s0, exec_lo, s0
; %bb.55:                               ;   in Loop: Header=BB101_49 Depth=1
	s_delay_alu instid0(VALU_DEP_2) | instskip(SKIP_1) | instid1(VALU_DEP_1)
	v_cmp_lt_u64_e32 vcc_lo, 0xffffff, v[4:5]
	v_add_nc_u32_e32 v2, 7, v7
	v_cndmask_b32_e32 v2, v6, v2, vcc_lo
	v_cndmask_b32_e64 v6, 0, 1, vcc_lo
	s_delay_alu instid0(VALU_DEP_1)
	v_lshrrev_b64 v[4:5], v6, v[4:5]
; %bb.56:                               ;   in Loop: Header=BB101_49 Depth=1
	s_and_not1_saveexec_b32 s0, s0
; %bb.57:                               ;   in Loop: Header=BB101_49 Depth=1
	s_delay_alu instid0(VALU_DEP_1)
	v_bfe_u32 v2, v4, 23, 1
; %bb.58:                               ;   in Loop: Header=BB101_49 Depth=1
	s_or_b32 exec_lo, exec_lo, s0
	s_delay_alu instid0(VALU_DEP_2) | instskip(NEXT) | instid1(VALU_DEP_2)
	v_lshrrev_b64 v[4:5], 20, v[4:5]
	v_cmp_gt_i32_e32 vcc_lo, 16, v2
	v_cmp_ne_u32_e64 s0, 0, v2
	s_delay_alu instid0(VALU_DEP_3) | instskip(NEXT) | instid1(VALU_DEP_1)
	v_dual_cndmask_b32 v5, 0, v5 :: v_dual_cndmask_b32 v4, 7, v4
	v_cmp_ne_u64_e32 vcc_lo, 0, v[4:5]
                                        ; implicit-def: $vgpr5
	s_delay_alu instid0(VALU_DEP_3) | instskip(NEXT) | instid1(SALU_CYCLE_1)
	s_or_b32 s0, s0, vcc_lo
	s_and_saveexec_b32 s12, s0
	s_delay_alu instid0(SALU_CYCLE_1)
	s_xor_b32 s0, exec_lo, s12
; %bb.59:                               ;   in Loop: Header=BB101_49 Depth=1
	v_min_i32_e32 v2, 15, v2
	s_delay_alu instid0(VALU_DEP_1) | instskip(NEXT) | instid1(VALU_DEP_1)
	v_lshl_or_b32 v2, v2, 3, v8
                                        ; implicit-def: $vgpr8
	v_and_or_b32 v5, v4, 7, v2
; %bb.60:                               ;   in Loop: Header=BB101_49 Depth=1
	s_and_not1_saveexec_b32 s0, s0
; %bb.61:                               ;   in Loop: Header=BB101_49 Depth=1
	v_mov_b32_e32 v5, v8
; %bb.62:                               ;   in Loop: Header=BB101_49 Depth=1
	s_or_b32 exec_lo, exec_lo, s0
.LBB101_63:                             ;   in Loop: Header=BB101_49 Depth=1
	s_delay_alu instid0(SALU_CYCLE_1)
	s_or_b32 exec_lo, exec_lo, s11
.LBB101_64:                             ;   in Loop: Header=BB101_49 Depth=1
	s_and_not1_saveexec_b32 s0, s10
	s_delay_alu instid0(SALU_CYCLE_1)
	s_or_b32 exec_lo, exec_lo, s0
                                        ; implicit-def: $vgpr6
.LBB101_65:                             ;   in Loop: Header=BB101_49 Depth=1
	s_and_not1_saveexec_b32 s0, s9
	s_cbranch_execz .LBB101_48
; %bb.66:                               ;   in Loop: Header=BB101_49 Depth=1
	v_cmp_eq_u64_e32 vcc_lo, 0, v[2:3]
	v_or_b32_e32 v4, 0x7f, v6
	s_delay_alu instid0(VALU_DEP_1)
	v_cndmask_b32_e32 v5, v4, v5, vcc_lo
	s_branch .LBB101_48
.LBB101_67:
	s_nop 0
	s_sendmsg sendmsg(MSG_DEALLOC_VGPRS)
	s_endpgm
.LBB101_68:
                                        ; implicit-def: $sgpr22_sgpr23
	s_branch .LBB101_6
	.section	.rodata,"a",@progbits
	.p2align	6, 0x0
	.amdhsa_kernel _ZN4vllm38concat_and_cache_mla_rope_fused_kernelIN3c104HalfENS1_8BFloat16ELb0E14__hip_bfloat16hLNS_18Fp8KVCacheDataTypeE1EEEvPKlPT_S9_PKS8_PKT0_illlliPT3_S7_iiiiPKf
		.amdhsa_group_segment_fixed_size 0
		.amdhsa_private_segment_fixed_size 0
		.amdhsa_kernarg_size 384
		.amdhsa_user_sgpr_count 15
		.amdhsa_user_sgpr_dispatch_ptr 0
		.amdhsa_user_sgpr_queue_ptr 0
		.amdhsa_user_sgpr_kernarg_segment_ptr 1
		.amdhsa_user_sgpr_dispatch_id 0
		.amdhsa_user_sgpr_private_segment_size 0
		.amdhsa_wavefront_size32 1
		.amdhsa_uses_dynamic_stack 0
		.amdhsa_enable_private_segment 0
		.amdhsa_system_sgpr_workgroup_id_x 1
		.amdhsa_system_sgpr_workgroup_id_y 0
		.amdhsa_system_sgpr_workgroup_id_z 0
		.amdhsa_system_sgpr_workgroup_info 0
		.amdhsa_system_vgpr_workitem_id 0
		.amdhsa_next_free_vgpr 23
		.amdhsa_next_free_sgpr 43
		.amdhsa_reserve_vcc 1
		.amdhsa_float_round_mode_32 0
		.amdhsa_float_round_mode_16_64 0
		.amdhsa_float_denorm_mode_32 3
		.amdhsa_float_denorm_mode_16_64 3
		.amdhsa_dx10_clamp 1
		.amdhsa_ieee_mode 1
		.amdhsa_fp16_overflow 0
		.amdhsa_workgroup_processor_mode 1
		.amdhsa_memory_ordered 1
		.amdhsa_forward_progress 0
		.amdhsa_shared_vgpr_count 0
		.amdhsa_exception_fp_ieee_invalid_op 0
		.amdhsa_exception_fp_denorm_src 0
		.amdhsa_exception_fp_ieee_div_zero 0
		.amdhsa_exception_fp_ieee_overflow 0
		.amdhsa_exception_fp_ieee_underflow 0
		.amdhsa_exception_fp_ieee_inexact 0
		.amdhsa_exception_int_div_zero 0
	.end_amdhsa_kernel
	.section	.text._ZN4vllm38concat_and_cache_mla_rope_fused_kernelIN3c104HalfENS1_8BFloat16ELb0E14__hip_bfloat16hLNS_18Fp8KVCacheDataTypeE1EEEvPKlPT_S9_PKS8_PKT0_illlliPT3_S7_iiiiPKf,"axG",@progbits,_ZN4vllm38concat_and_cache_mla_rope_fused_kernelIN3c104HalfENS1_8BFloat16ELb0E14__hip_bfloat16hLNS_18Fp8KVCacheDataTypeE1EEEvPKlPT_S9_PKS8_PKT0_illlliPT3_S7_iiiiPKf,comdat
.Lfunc_end101:
	.size	_ZN4vllm38concat_and_cache_mla_rope_fused_kernelIN3c104HalfENS1_8BFloat16ELb0E14__hip_bfloat16hLNS_18Fp8KVCacheDataTypeE1EEEvPKlPT_S9_PKS8_PKT0_illlliPT3_S7_iiiiPKf, .Lfunc_end101-_ZN4vllm38concat_and_cache_mla_rope_fused_kernelIN3c104HalfENS1_8BFloat16ELb0E14__hip_bfloat16hLNS_18Fp8KVCacheDataTypeE1EEEvPKlPT_S9_PKS8_PKT0_illlliPT3_S7_iiiiPKf
                                        ; -- End function
	.section	.AMDGPU.csdata,"",@progbits
; Kernel info:
; codeLenInByte = 4436
; NumSgprs: 45
; NumVgprs: 23
; ScratchSize: 0
; MemoryBound: 0
; FloatMode: 240
; IeeeMode: 1
; LDSByteSize: 0 bytes/workgroup (compile time only)
; SGPRBlocks: 5
; VGPRBlocks: 2
; NumSGPRsForWavesPerEU: 45
; NumVGPRsForWavesPerEU: 23
; Occupancy: 16
; WaveLimiterHint : 1
; COMPUTE_PGM_RSRC2:SCRATCH_EN: 0
; COMPUTE_PGM_RSRC2:USER_SGPR: 15
; COMPUTE_PGM_RSRC2:TRAP_HANDLER: 0
; COMPUTE_PGM_RSRC2:TGID_X_EN: 1
; COMPUTE_PGM_RSRC2:TGID_Y_EN: 0
; COMPUTE_PGM_RSRC2:TGID_Z_EN: 0
; COMPUTE_PGM_RSRC2:TIDIG_COMP_CNT: 0
	.section	.text._ZN4vllm38concat_and_cache_mla_rope_fused_kernelIN3c108BFloat16EfLb1E14__hip_bfloat16hLNS_18Fp8KVCacheDataTypeE1EEEvPKlPT_S8_PKS7_PKT0_illlliPT3_S6_iiiiPKf,"axG",@progbits,_ZN4vllm38concat_and_cache_mla_rope_fused_kernelIN3c108BFloat16EfLb1E14__hip_bfloat16hLNS_18Fp8KVCacheDataTypeE1EEEvPKlPT_S8_PKS7_PKT0_illlliPT3_S6_iiiiPKf,comdat
	.protected	_ZN4vllm38concat_and_cache_mla_rope_fused_kernelIN3c108BFloat16EfLb1E14__hip_bfloat16hLNS_18Fp8KVCacheDataTypeE1EEEvPKlPT_S8_PKS7_PKT0_illlliPT3_S6_iiiiPKf ; -- Begin function _ZN4vllm38concat_and_cache_mla_rope_fused_kernelIN3c108BFloat16EfLb1E14__hip_bfloat16hLNS_18Fp8KVCacheDataTypeE1EEEvPKlPT_S8_PKS7_PKT0_illlliPT3_S6_iiiiPKf
	.globl	_ZN4vllm38concat_and_cache_mla_rope_fused_kernelIN3c108BFloat16EfLb1E14__hip_bfloat16hLNS_18Fp8KVCacheDataTypeE1EEEvPKlPT_S8_PKS7_PKT0_illlliPT3_S6_iiiiPKf
	.p2align	8
	.type	_ZN4vllm38concat_and_cache_mla_rope_fused_kernelIN3c108BFloat16EfLb1E14__hip_bfloat16hLNS_18Fp8KVCacheDataTypeE1EEEvPKlPT_S8_PKS7_PKT0_illlliPT3_S6_iiiiPKf,@function
_ZN4vllm38concat_and_cache_mla_rope_fused_kernelIN3c108BFloat16EfLb1E14__hip_bfloat16hLNS_18Fp8KVCacheDataTypeE1EEEvPKlPT_S8_PKS7_PKT0_illlliPT3_S6_iiiiPKf: ; @_ZN4vllm38concat_and_cache_mla_rope_fused_kernelIN3c108BFloat16EfLb1E14__hip_bfloat16hLNS_18Fp8KVCacheDataTypeE1EEEvPKlPT_S8_PKS7_PKT0_illlliPT3_S6_iiiiPKf
; %bb.0:
	s_load_b64 s[4:5], s[0:1], 0x60
	s_mov_b32 s16, s15
	s_mov_b32 s17, 0
	s_delay_alu instid0(SALU_CYCLE_1)
	s_lshl_b64 s[2:3], s[16:17], 3
	s_waitcnt lgkmcnt(0)
	s_add_u32 s4, s4, s2
	s_addc_u32 s5, s5, s3
	s_load_b64 s[30:31], s[4:5], 0x0
	s_waitcnt lgkmcnt(0)
	v_cmp_lt_i64_e64 s4, s[30:31], 0
	s_delay_alu instid0(VALU_DEP_1)
	s_and_b32 vcc_lo, exec_lo, s4
	s_cbranch_vccnz .LBB102_67
; %bb.1:
	s_clause 0x3
	s_load_b32 s21, s[0:1], 0x28
	s_load_b64 s[4:5], s[0:1], 0x0
	s_load_b128 s[12:15], s[0:1], 0x10
	s_load_b32 s17, s[0:1], 0x50
	s_mov_b32 s24, exec_lo
	s_waitcnt lgkmcnt(0)
	s_ashr_i32 s22, s21, 31
	s_add_u32 s2, s4, s2
	s_addc_u32 s3, s5, s3
	s_lshr_b32 s20, s21, 31
	s_load_b64 s[2:3], s[2:3], 0x0
	s_clause 0x2
	s_load_b64 s[26:27], s[0:1], 0x20
	s_load_b64 s[18:19], s[0:1], 0x58
	s_load_b256 s[4:11], s[0:1], 0x30
	s_add_i32 s20, s21, s20
	s_delay_alu instid0(SALU_CYCLE_1) | instskip(NEXT) | instid1(SALU_CYCLE_1)
	s_ashr_i32 s20, s20, 1
	s_mul_i32 s17, s20, s17
	s_waitcnt lgkmcnt(0)
	s_mul_i32 s22, s2, s22
	s_mul_hi_u32 s23, s2, s21
	s_mul_i32 s3, s3, s21
	s_add_i32 s22, s23, s22
	s_mul_i32 s28, s2, s21
	s_add_i32 s29, s22, s3
	v_cmpx_gt_i32_e64 s17, v0
	s_cbranch_execz .LBB102_4
; %bb.2:
	s_load_b64 s[2:3], s[0:1], 0x8
	s_lshl_b64 s[22:23], s[28:29], 2
	s_mul_i32 s5, s16, s5
	s_mul_hi_u32 s21, s16, s4
	s_add_u32 s25, s26, s22
	s_load_b32 s22, s[0:1], 0x8c
	s_mul_i32 s4, s16, s4
	s_addc_u32 s33, s27, s23
	s_add_i32 s5, s21, s5
	s_ashr_i32 s21, s20, 31
	s_lshl_b64 s[4:5], s[4:5], 1
	s_mov_b32 s37, 0
	s_waitcnt lgkmcnt(0)
	s_add_u32 s34, s2, s4
	s_addc_u32 s35, s3, s5
	s_abs_i32 s36, s20
	s_sub_i32 s39, 0, s20
	v_cvt_f32_u32_e32 v1, s36
	s_sub_i32 s2, 0, s36
	s_and_b32 s38, s22, 0xffff
	s_lshl_b64 s[4:5], s[20:21], 2
	s_lshl_b64 s[22:23], s[20:21], 1
	v_rcp_iflag_f32_e32 v1, v1
	s_waitcnt_depctr 0xfff
	v_mul_f32_e32 v1, 0x4f7ffffe, v1
	s_delay_alu instid0(VALU_DEP_1) | instskip(NEXT) | instid1(VALU_DEP_1)
	v_cvt_u32_f32_e32 v1, v1
	v_mul_lo_u32 v2, s2, v1
	s_delay_alu instid0(VALU_DEP_1) | instskip(NEXT) | instid1(VALU_DEP_1)
	v_mul_hi_u32 v2, v1, v2
	v_dual_mov_b32 v1, v0 :: v_dual_add_nc_u32 v2, v1, v2
.LBB102_3:                              ; =>This Inner Loop Header: Depth=1
	s_delay_alu instid0(VALU_DEP_1) | instskip(SKIP_1) | instid1(VALU_DEP_2)
	v_sub_nc_u32_e32 v3, 0, v1
	v_ashrrev_i32_e32 v4, 31, v1
	v_max_i32_e32 v3, v1, v3
	s_delay_alu instid0(VALU_DEP_2) | instskip(NEXT) | instid1(VALU_DEP_2)
	v_xor_b32_e32 v4, s21, v4
	v_mul_hi_u32 v5, v3, v2
	s_delay_alu instid0(VALU_DEP_1) | instskip(SKIP_1) | instid1(VALU_DEP_2)
	v_mul_lo_u32 v6, v5, s36
	v_add_nc_u32_e32 v7, 1, v5
	v_sub_nc_u32_e32 v3, v3, v6
	s_delay_alu instid0(VALU_DEP_1) | instskip(SKIP_1) | instid1(VALU_DEP_4)
	v_subrev_nc_u32_e32 v6, s36, v3
	v_cmp_le_u32_e32 vcc_lo, s36, v3
	v_cndmask_b32_e32 v5, v5, v7, vcc_lo
	s_delay_alu instid0(VALU_DEP_1) | instskip(NEXT) | instid1(VALU_DEP_1)
	v_dual_cndmask_b32 v3, v3, v6 :: v_dual_add_nc_u32 v6, 1, v5
	v_cmp_le_u32_e32 vcc_lo, s36, v3
	s_delay_alu instid0(VALU_DEP_2) | instskip(NEXT) | instid1(VALU_DEP_1)
	v_cndmask_b32_e32 v3, v5, v6, vcc_lo
	v_xor_b32_e32 v3, v3, v4
	s_delay_alu instid0(VALU_DEP_1) | instskip(NEXT) | instid1(VALU_DEP_1)
	v_sub_nc_u32_e32 v7, v3, v4
	v_ashrrev_i32_e32 v8, 31, v7
	v_mad_u64_u32 v[3:4], null, s39, v7, v[1:2]
	v_mul_lo_u32 v9, v7, s7
	v_mad_u64_u32 v[5:6], null, v7, s6, 0
	s_delay_alu instid0(VALU_DEP_4) | instskip(SKIP_2) | instid1(VALU_DEP_3)
	v_mul_lo_u32 v7, v8, s6
	v_add_nc_u32_e32 v1, s38, v1
	v_ashrrev_i32_e32 v4, 31, v3
	v_add3_u32 v6, v6, v9, v7
	s_delay_alu instid0(VALU_DEP_2) | instskip(SKIP_1) | instid1(VALU_DEP_3)
	v_lshlrev_b64 v[7:8], 2, v[3:4]
	v_lshlrev_b64 v[3:4], 1, v[3:4]
	;; [unrolled: 1-line block ×3, first 2 shown]
	s_delay_alu instid0(VALU_DEP_3) | instskip(NEXT) | instid1(VALU_DEP_4)
	v_add_co_u32 v7, vcc_lo, s25, v7
	v_add_co_ci_u32_e32 v8, vcc_lo, s33, v8, vcc_lo
	global_load_b32 v9, v[7:8], off
	v_add_co_u32 v7, vcc_lo, v7, s4
	v_add_co_ci_u32_e32 v8, vcc_lo, s5, v8, vcc_lo
	v_add_co_u32 v5, vcc_lo, s34, v5
	v_add_co_ci_u32_e32 v6, vcc_lo, s35, v6, vcc_lo
	global_load_b32 v7, v[7:8], off
	v_add_co_u32 v3, vcc_lo, v5, v3
	v_add_co_ci_u32_e32 v4, vcc_lo, v6, v4, vcc_lo
	s_delay_alu instid0(VALU_DEP_2) | instskip(NEXT) | instid1(VALU_DEP_2)
	v_add_co_u32 v5, vcc_lo, v3, s22
	v_add_co_ci_u32_e32 v6, vcc_lo, s23, v4, vcc_lo
	s_clause 0x1
	global_load_u16 v8, v[3:4], off
	global_load_u16 v10, v[5:6], off
	s_waitcnt vmcnt(3)
	v_bfe_u32 v11, v9, 16, 1
	v_cmp_o_f32_e32 vcc_lo, v9, v9
	s_delay_alu instid0(VALU_DEP_2) | instskip(SKIP_2) | instid1(VALU_DEP_2)
	v_add3_u32 v11, v9, v11, 0x7fff
	s_waitcnt vmcnt(2)
	v_bfe_u32 v12, v7, 16, 1
	v_and_b32_e32 v11, 0xffff0000, v11
	s_delay_alu instid0(VALU_DEP_2) | instskip(NEXT) | instid1(VALU_DEP_2)
	v_add3_u32 v12, v7, v12, 0x7fff
	v_cndmask_b32_e32 v9, 0x7fc00000, v11, vcc_lo
	v_cmp_o_f32_e32 vcc_lo, v7, v7
	s_delay_alu instid0(VALU_DEP_3) | instskip(SKIP_3) | instid1(VALU_DEP_2)
	v_and_b32_e32 v11, 0xffff0000, v12
	s_waitcnt vmcnt(1)
	v_lshlrev_b32_e32 v8, 16, v8
	s_waitcnt vmcnt(0)
	v_dual_cndmask_b32 v11, 0x7fc00000, v11 :: v_dual_lshlrev_b32 v10, 16, v10
	s_delay_alu instid0(VALU_DEP_2) | instskip(NEXT) | instid1(VALU_DEP_2)
	v_mul_f32_e32 v7, v9, v8
	v_mul_f32_e32 v8, v11, v8
	s_delay_alu instid0(VALU_DEP_2) | instskip(SKIP_1) | instid1(VALU_DEP_3)
	v_bfe_u32 v12, v7, 16, 1
	v_cmp_o_f32_e64 s2, v7, v7
	v_bfe_u32 v14, v8, 16, 1
	s_delay_alu instid0(VALU_DEP_3) | instskip(SKIP_2) | instid1(VALU_DEP_4)
	v_add3_u32 v12, v7, v12, 0x7fff
	v_mul_f32_e32 v9, v9, v10
	v_mul_f32_e32 v10, v11, v10
	v_add3_u32 v14, v8, v14, 0x7fff
	s_delay_alu instid0(VALU_DEP_4) | instskip(NEXT) | instid1(VALU_DEP_4)
	v_and_b32_e32 v12, 0xffff0000, v12
	v_bfe_u32 v11, v9, 16, 1
	s_delay_alu instid0(VALU_DEP_4) | instskip(SKIP_1) | instid1(VALU_DEP_3)
	v_bfe_u32 v13, v10, 16, 1
	v_cmp_o_f32_e32 vcc_lo, v9, v9
	v_add3_u32 v11, v9, v11, 0x7fff
	s_delay_alu instid0(VALU_DEP_3) | instskip(SKIP_4) | instid1(VALU_DEP_1)
	v_add3_u32 v13, v10, v13, 0x7fff
	v_cndmask_b32_e64 v9, 0x7fc00000, v12, s2
	v_and_b32_e32 v12, 0xffff0000, v14
	v_cmp_o_f32_e64 s2, v10, v10
	v_and_b32_e32 v11, 0xffff0000, v11
	v_cndmask_b32_e32 v11, 0x7fc00000, v11, vcc_lo
	v_cmp_o_f32_e32 vcc_lo, v8, v8
	v_cndmask_b32_e32 v8, 0x7fc00000, v12, vcc_lo
	v_and_b32_e32 v7, 0xffff0000, v13
	v_cmp_le_i32_e32 vcc_lo, s17, v1
	s_delay_alu instid0(VALU_DEP_3) | instskip(NEXT) | instid1(VALU_DEP_3)
	v_add_f32_e32 v8, v11, v8
	v_cndmask_b32_e64 v7, 0x7fc00000, v7, s2
	s_or_b32 s37, vcc_lo, s37
	s_delay_alu instid0(VALU_DEP_2) | instskip(NEXT) | instid1(VALU_DEP_2)
	v_bfe_u32 v10, v8, 16, 1
	v_sub_f32_e32 v7, v9, v7
	v_cmp_o_f32_e64 s2, v8, v8
	s_delay_alu instid0(VALU_DEP_3) | instskip(NEXT) | instid1(VALU_DEP_3)
	v_add3_u32 v10, v8, v10, 0x7fff
	v_bfe_u32 v9, v7, 16, 1
	v_cmp_o_f32_e64 s3, v7, v7
	s_delay_alu instid0(VALU_DEP_3) | instskip(NEXT) | instid1(VALU_DEP_3)
	v_lshrrev_b32_e32 v10, 16, v10
	v_add3_u32 v9, v7, v9, 0x7fff
	s_delay_alu instid0(VALU_DEP_2) | instskip(NEXT) | instid1(VALU_DEP_2)
	v_cndmask_b32_e64 v8, 0x7fc0, v10, s2
	v_lshrrev_b32_e32 v9, 16, v9
	s_delay_alu instid0(VALU_DEP_1)
	v_cndmask_b32_e64 v7, 0x7fc0, v9, s3
	s_clause 0x1
	global_store_b16 v[3:4], v7, off
	global_store_b16 v[5:6], v8, off
	s_and_not1_b32 exec_lo, exec_lo, s37
	s_cbranch_execnz .LBB102_3
.LBB102_4:
	s_or_b32 exec_lo, exec_lo, s24
	s_load_b128 s[4:7], s[0:1], 0x68
	s_waitcnt lgkmcnt(0)
	s_ashr_i32 s3, s7, 31
	s_mov_b32 s2, s7
	s_delay_alu instid0(SALU_CYCLE_1) | instskip(SKIP_1) | instid1(SALU_CYCLE_1)
	s_or_b64 s[24:25], s[30:31], s[2:3]
	s_mov_b32 s24, 0
	s_cmp_lg_u64 s[24:25], 0
	s_cbranch_scc0 .LBB102_68
; %bb.5:
	s_add_u32 s34, s2, s3
	s_mov_b32 s22, s3
	s_mov_b32 s23, s3
	s_addc_u32 s35, s3, s3
	s_delay_alu instid0(SALU_CYCLE_1) | instskip(NEXT) | instid1(SALU_CYCLE_1)
	s_xor_b64 s[34:35], s[34:35], s[22:23]
	v_cvt_f32_u32_e32 v1, s34
	v_cvt_f32_u32_e32 v2, s35
	s_sub_u32 s21, 0, s34
	s_subb_u32 s25, 0, s35
	s_delay_alu instid0(VALU_DEP_1) | instskip(NEXT) | instid1(VALU_DEP_1)
	v_fmamk_f32 v1, v2, 0x4f800000, v1
	v_rcp_f32_e32 v1, v1
	s_waitcnt_depctr 0xfff
	v_mul_f32_e32 v1, 0x5f7ffffc, v1
	s_delay_alu instid0(VALU_DEP_1) | instskip(NEXT) | instid1(VALU_DEP_1)
	v_mul_f32_e32 v2, 0x2f800000, v1
	v_trunc_f32_e32 v2, v2
	s_delay_alu instid0(VALU_DEP_1) | instskip(SKIP_1) | instid1(VALU_DEP_2)
	v_fmamk_f32 v1, v2, 0xcf800000, v1
	v_cvt_u32_f32_e32 v2, v2
	v_cvt_u32_f32_e32 v1, v1
	s_delay_alu instid0(VALU_DEP_2) | instskip(NEXT) | instid1(VALU_DEP_2)
	v_readfirstlane_b32 s7, v2
	v_readfirstlane_b32 s17, v1
	s_delay_alu instid0(VALU_DEP_2) | instskip(NEXT) | instid1(VALU_DEP_1)
	s_mul_i32 s33, s21, s7
	s_mul_hi_u32 s37, s21, s17
	s_mul_i32 s36, s25, s17
	s_add_i32 s33, s37, s33
	s_mul_i32 s38, s21, s17
	s_add_i32 s33, s33, s36
	s_mul_hi_u32 s37, s17, s38
	s_mul_hi_u32 s39, s7, s38
	s_mul_i32 s36, s7, s38
	s_mul_hi_u32 s38, s17, s33
	s_mul_i32 s17, s17, s33
	s_mul_hi_u32 s40, s7, s33
	s_add_u32 s17, s37, s17
	s_addc_u32 s37, 0, s38
	s_add_u32 s17, s17, s36
	s_mul_i32 s33, s7, s33
	s_addc_u32 s17, s37, s39
	s_addc_u32 s36, s40, 0
	s_add_u32 s17, s17, s33
	s_addc_u32 s33, 0, s36
	v_add_co_u32 v1, s17, v1, s17
	s_delay_alu instid0(VALU_DEP_1) | instskip(SKIP_1) | instid1(VALU_DEP_1)
	s_cmp_lg_u32 s17, 0
	s_addc_u32 s7, s7, s33
	v_readfirstlane_b32 s17, v1
	s_mul_i32 s33, s21, s7
	s_delay_alu instid0(VALU_DEP_1)
	s_mul_hi_u32 s36, s21, s17
	s_mul_i32 s25, s25, s17
	s_add_i32 s33, s36, s33
	s_mul_i32 s21, s21, s17
	s_add_i32 s33, s33, s25
	s_mul_hi_u32 s36, s7, s21
	s_mul_i32 s37, s7, s21
	s_mul_hi_u32 s21, s17, s21
	s_mul_hi_u32 s38, s17, s33
	s_mul_i32 s17, s17, s33
	s_mul_hi_u32 s25, s7, s33
	s_add_u32 s17, s21, s17
	s_addc_u32 s21, 0, s38
	s_add_u32 s17, s17, s37
	s_mul_i32 s33, s7, s33
	s_addc_u32 s17, s21, s36
	s_addc_u32 s21, s25, 0
	s_add_u32 s17, s17, s33
	s_addc_u32 s21, 0, s21
	v_add_co_u32 v1, s17, v1, s17
	s_delay_alu instid0(VALU_DEP_1) | instskip(SKIP_2) | instid1(VALU_DEP_1)
	s_cmp_lg_u32 s17, 0
	s_addc_u32 s7, s7, s21
	s_ashr_i32 s36, s31, 31
	v_readfirstlane_b32 s17, v1
	s_add_u32 s38, s30, s36
	s_mov_b32 s37, s36
	s_addc_u32 s39, s31, s36
	s_delay_alu instid0(SALU_CYCLE_1) | instskip(NEXT) | instid1(SALU_CYCLE_1)
	s_xor_b64 s[38:39], s[38:39], s[36:37]
	s_mul_i32 s25, s38, s7
	s_mul_hi_u32 s33, s38, s17
	s_mul_hi_u32 s21, s38, s7
	s_mul_hi_u32 s41, s39, s17
	s_mul_i32 s17, s39, s17
	s_add_u32 s25, s33, s25
	s_addc_u32 s21, 0, s21
	s_mul_hi_u32 s40, s39, s7
	s_add_u32 s17, s25, s17
	s_mul_i32 s7, s39, s7
	s_addc_u32 s17, s21, s41
	s_addc_u32 s21, s40, 0
	s_add_u32 s7, s17, s7
	s_addc_u32 s17, 0, s21
	s_mul_hi_u32 s21, s34, s7
	s_mul_i32 s33, s34, s17
	s_mul_i32 s40, s34, s7
	s_add_i32 s21, s21, s33
	v_sub_co_u32 v1, s33, s38, s40
	s_mul_i32 s25, s35, s7
	s_delay_alu instid0(SALU_CYCLE_1) | instskip(NEXT) | instid1(VALU_DEP_1)
	s_add_i32 s21, s21, s25
	v_sub_co_u32 v2, s38, v1, s34
	s_sub_i32 s25, s39, s21
	s_cmp_lg_u32 s33, 0
	s_subb_u32 s25, s25, s35
	s_cmp_lg_u32 s38, 0
	v_readfirstlane_b32 s38, v2
	s_subb_u32 s25, s25, 0
	s_delay_alu instid0(SALU_CYCLE_1) | instskip(SKIP_1) | instid1(VALU_DEP_1)
	s_cmp_ge_u32 s25, s35
	s_cselect_b32 s40, -1, 0
	s_cmp_ge_u32 s38, s34
	s_cselect_b32 s38, -1, 0
	s_cmp_eq_u32 s25, s35
	s_cselect_b32 s25, s38, s40
	s_add_u32 s38, s7, 1
	s_addc_u32 s40, s17, 0
	s_add_u32 s41, s7, 2
	s_addc_u32 s42, s17, 0
	s_cmp_lg_u32 s25, 0
	s_cselect_b32 s25, s41, s38
	s_cselect_b32 s38, s42, s40
	s_cmp_lg_u32 s33, 0
	v_readfirstlane_b32 s33, v1
	s_subb_u32 s21, s39, s21
	s_delay_alu instid0(SALU_CYCLE_1) | instskip(SKIP_1) | instid1(VALU_DEP_1)
	s_cmp_ge_u32 s21, s35
	s_cselect_b32 s39, -1, 0
	s_cmp_ge_u32 s33, s34
	s_cselect_b32 s33, -1, 0
	s_cmp_eq_u32 s21, s35
	s_cselect_b32 s21, s33, s39
	s_delay_alu instid0(SALU_CYCLE_1) | instskip(SKIP_3) | instid1(SALU_CYCLE_1)
	s_cmp_lg_u32 s21, 0
	s_cselect_b32 s35, s38, s17
	s_cselect_b32 s34, s25, s7
	s_xor_b64 s[22:23], s[36:37], s[22:23]
	s_xor_b64 s[34:35], s[34:35], s[22:23]
	s_delay_alu instid0(SALU_CYCLE_1)
	s_sub_u32 s22, s34, s22
	s_subb_u32 s23, s35, s23
	s_and_not1_b32 vcc_lo, exec_lo, s24
	s_cbranch_vccnz .LBB102_7
.LBB102_6:
	v_cvt_f32_u32_e32 v1, s2
	s_sub_i32 s17, 0, s2
	s_mov_b32 s23, 0
	s_delay_alu instid0(VALU_DEP_1) | instskip(SKIP_2) | instid1(VALU_DEP_1)
	v_rcp_iflag_f32_e32 v1, v1
	s_waitcnt_depctr 0xfff
	v_mul_f32_e32 v1, 0x4f7ffffe, v1
	v_cvt_u32_f32_e32 v1, v1
	s_delay_alu instid0(VALU_DEP_1) | instskip(NEXT) | instid1(VALU_DEP_1)
	v_readfirstlane_b32 s7, v1
	s_mul_i32 s17, s17, s7
	s_delay_alu instid0(SALU_CYCLE_1) | instskip(NEXT) | instid1(SALU_CYCLE_1)
	s_mul_hi_u32 s17, s7, s17
	s_add_i32 s7, s7, s17
	s_delay_alu instid0(SALU_CYCLE_1) | instskip(NEXT) | instid1(SALU_CYCLE_1)
	s_mul_hi_u32 s7, s30, s7
	s_mul_i32 s17, s7, s2
	s_add_i32 s21, s7, 1
	s_sub_i32 s17, s30, s17
	s_delay_alu instid0(SALU_CYCLE_1)
	s_sub_i32 s22, s17, s2
	s_cmp_ge_u32 s17, s2
	s_cselect_b32 s7, s21, s7
	s_cselect_b32 s17, s22, s17
	s_add_i32 s21, s7, 1
	s_cmp_ge_u32 s17, s2
	s_cselect_b32 s22, s21, s7
.LBB102_7:
	s_load_b64 s[24:25], s[0:1], 0x78
	s_mul_i32 s3, s22, s3
	s_mul_hi_u32 s7, s22, s2
	s_mul_i32 s33, s22, s4
	s_add_i32 s3, s7, s3
	s_mul_i32 s7, s23, s2
	s_mul_i32 s2, s22, s2
	s_add_i32 s7, s3, s7
	s_sub_u32 s3, s30, s2
	s_subb_u32 s7, s31, s7
	s_mul_hi_u32 s30, s22, s4
	s_mul_i32 s31, s23, s4
	s_mul_hi_u32 s23, s3, s5
	s_mul_i32 s7, s7, s5
	s_mul_i32 s17, s3, s5
	s_mov_b32 s34, exec_lo
	v_cmpx_gt_i32_e64 s20, v0
	s_cbranch_execz .LBB102_46
; %bb.8:
	s_load_b32 s2, s[0:1], 0x8c
	s_ashr_i32 s37, s4, 31
	s_ashr_i32 s38, s5, 31
	s_mul_i32 s37, s22, s37
	s_mul_i32 s38, s3, s38
	s_add_i32 s37, s30, s37
	s_add_i32 s38, s23, s38
	s_ashr_i32 s21, s20, 31
	s_add_i32 s37, s37, s31
	s_add_i32 s38, s38, s7
	s_add_u32 s42, s33, s17
	s_addc_u32 s43, s37, s38
	s_add_u32 s37, s42, s18
	s_addc_u32 s38, s43, s19
	s_ashr_i32 s44, s6, 31
	s_add_u32 s37, s37, s6
	v_dual_mov_b32 v2, 0 :: v_dual_lshlrev_b32 v1, 2, v0
	s_addc_u32 s38, s38, s44
	s_lshl_b64 s[40:41], s[28:29], 2
	s_waitcnt lgkmcnt(0)
	s_and_b32 s28, s2, 0xffff
	s_add_u32 s2, s26, s40
	s_load_b32 s35, s[24:25], 0x0
	s_addc_u32 s26, s27, s41
	v_add_co_u32 v3, s2, s2, v1
	s_delay_alu instid0(VALU_DEP_1)
	v_add_co_ci_u32_e64 v4, null, s26, 0, s2
	s_mul_i32 s2, s9, s16
	s_mul_hi_u32 s9, s8, s16
	s_mul_i32 s26, s8, s16
	s_add_i32 s27, s9, s2
	v_lshlrev_b32_e32 v1, 1, v0
	s_lshl_b64 s[40:41], s[26:27], 1
	s_lshl_b32 s29, s28, 2
	s_lshl_b64 s[8:9], s[20:21], 2
	s_lshl_b64 s[26:27], s[20:21], 1
	s_add_u32 s2, s12, s40
	s_addc_u32 s12, s13, s41
	v_add_co_u32 v5, s2, s2, v1
	s_lshl_b32 s39, s28, 1
	v_add_co_ci_u32_e64 v6, null, s12, 0, s2
	s_add_u32 s2, s42, s20
	s_addc_u32 s12, s43, s21
	s_add_u32 s2, s2, s6
	s_addc_u32 s12, s12, s44
	s_add_u32 s21, s18, s2
	s_mov_b32 s36, 0
	s_addc_u32 s40, s19, s12
	s_mov_b64 s[12:13], 0
	s_branch .LBB102_10
.LBB102_9:                              ;   in Loop: Header=BB102_10 Depth=1
	s_or_b32 exec_lo, exec_lo, s2
	s_add_u32 s12, s12, s28
	v_add_co_u32 v3, vcc_lo, v3, s29
	v_add_nc_u32_e32 v1, s12, v0
	v_add_co_ci_u32_e32 v4, vcc_lo, 0, v4, vcc_lo
	v_add_co_u32 v5, vcc_lo, v5, s39
	v_add_co_ci_u32_e32 v6, vcc_lo, 0, v6, vcc_lo
	v_add_co_u32 v7, s2, s21, v0
	s_addc_u32 s13, s13, 0
	v_cmp_le_i32_e32 vcc_lo, s20, v1
	s_add_u32 s21, s21, s28
	v_add_co_ci_u32_e64 v8, null, s40, 0, s2
	s_addc_u32 s40, s40, 0
	s_add_u32 s37, s37, s28
	s_addc_u32 s38, s38, 0
	s_or_b32 s36, vcc_lo, s36
	global_store_b8 v[7:8], v9, off
	s_and_not1_b32 exec_lo, exec_lo, s36
	s_cbranch_execz .LBB102_46
.LBB102_10:                             ; =>This Inner Loop Header: Depth=1
	v_add_co_u32 v7, vcc_lo, v3, s8
	v_add_co_ci_u32_e32 v8, vcc_lo, s9, v4, vcc_lo
	v_add_co_u32 v13, vcc_lo, v5, s26
	s_clause 0x1
	global_load_b32 v1, v[3:4], off
	global_load_b32 v7, v[7:8], off
	v_add_co_ci_u32_e32 v14, vcc_lo, s27, v6, vcc_lo
	s_clause 0x1
	global_load_u16 v8, v[5:6], off
	global_load_u16 v9, v[13:14], off
	s_waitcnt vmcnt(3)
	v_bfe_u32 v10, v1, 16, 1
	s_waitcnt vmcnt(2)
	v_bfe_u32 v11, v7, 16, 1
	v_cmp_o_f32_e32 vcc_lo, v1, v1
	s_delay_alu instid0(VALU_DEP_3) | instskip(SKIP_3) | instid1(VALU_DEP_3)
	v_add3_u32 v10, v1, v10, 0x7fff
	s_waitcnt vmcnt(0)
	v_lshlrev_b32_e32 v9, 16, v9
	v_add3_u32 v11, v7, v11, 0x7fff
	v_and_b32_e32 v10, 0xffff0000, v10
	s_delay_alu instid0(VALU_DEP_1) | instskip(NEXT) | instid1(VALU_DEP_3)
	v_dual_cndmask_b32 v1, 0x7fc00000, v10 :: v_dual_lshlrev_b32 v8, 16, v8
	v_and_b32_e32 v11, 0xffff0000, v11
	v_cmp_o_f32_e32 vcc_lo, v7, v7
	s_delay_alu instid0(VALU_DEP_2) | instskip(NEXT) | instid1(VALU_DEP_1)
	v_dual_mul_f32 v10, v1, v8 :: v_dual_cndmask_b32 v7, 0x7fc00000, v11
	v_bfe_u32 v12, v10, 16, 1
	v_cmp_o_f32_e32 vcc_lo, v10, v10
	s_delay_alu instid0(VALU_DEP_2) | instskip(NEXT) | instid1(VALU_DEP_1)
	v_add3_u32 v12, v10, v12, 0x7fff
	v_and_b32_e32 v12, 0xffff0000, v12
	s_delay_alu instid0(VALU_DEP_1) | instskip(NEXT) | instid1(VALU_DEP_1)
	v_dual_cndmask_b32 v10, 0x7fc00000, v12 :: v_dual_mul_f32 v1, v1, v9
	v_bfe_u32 v16, v1, 16, 1
	v_cmp_o_f32_e64 s2, v1, v1
	s_delay_alu instid0(VALU_DEP_2) | instskip(NEXT) | instid1(VALU_DEP_1)
	v_add3_u32 v16, v1, v16, 0x7fff
	v_and_b32_e32 v16, 0xffff0000, v16
	s_delay_alu instid0(VALU_DEP_1) | instskip(SKIP_2) | instid1(VALU_DEP_2)
	v_cndmask_b32_e64 v1, 0x7fc00000, v16, s2
	v_dual_mov_b32 v16, v2 :: v_dual_mul_f32 v11, v7, v9
	v_mul_f32_e32 v7, v7, v8
	v_bfe_u32 v15, v11, 16, 1
	v_cmp_o_f32_e32 vcc_lo, v11, v11
	s_delay_alu instid0(VALU_DEP_3) | instskip(NEXT) | instid1(VALU_DEP_3)
	v_cmp_o_f32_e64 s2, v7, v7
	v_add3_u32 v15, v11, v15, 0x7fff
	s_delay_alu instid0(VALU_DEP_1) | instskip(NEXT) | instid1(VALU_DEP_1)
	v_and_b32_e32 v15, 0xffff0000, v15
	v_cndmask_b32_e32 v11, 0x7fc00000, v15, vcc_lo
	s_delay_alu instid0(VALU_DEP_1) | instskip(NEXT) | instid1(VALU_DEP_1)
	v_sub_f32_e32 v10, v10, v11
	v_bfe_u32 v11, v10, 16, 1
	v_cmp_o_f32_e32 vcc_lo, v10, v10
	s_delay_alu instid0(VALU_DEP_2) | instskip(NEXT) | instid1(VALU_DEP_1)
	v_add3_u32 v11, v10, v11, 0x7fff
	v_lshrrev_b32_e32 v11, 16, v11
	s_delay_alu instid0(VALU_DEP_1) | instskip(NEXT) | instid1(VALU_DEP_1)
	v_cndmask_b32_e32 v10, 0x7fc0, v11, vcc_lo
	v_lshlrev_b32_e32 v11, 16, v10
	s_waitcnt lgkmcnt(0)
	s_delay_alu instid0(VALU_DEP_1) | instskip(SKIP_1) | instid1(VALU_DEP_2)
	v_div_scale_f32 v12, null, s35, s35, v11
	v_div_scale_f32 v8, vcc_lo, v11, s35, v11
	v_rcp_f32_e32 v15, v12
	s_waitcnt_depctr 0xfff
	v_fma_f32 v9, -v12, v15, 1.0
	s_delay_alu instid0(VALU_DEP_1) | instskip(SKIP_1) | instid1(VALU_DEP_2)
	v_fmac_f32_e32 v15, v9, v15
	v_bfe_u32 v9, v7, 16, 1
	v_mul_f32_e32 v17, v8, v15
	s_delay_alu instid0(VALU_DEP_2) | instskip(NEXT) | instid1(VALU_DEP_2)
	v_add3_u32 v9, v7, v9, 0x7fff
	v_fma_f32 v18, -v12, v17, v8
	s_delay_alu instid0(VALU_DEP_2) | instskip(NEXT) | instid1(VALU_DEP_2)
	v_and_b32_e32 v9, 0xffff0000, v9
	v_fmac_f32_e32 v17, v18, v15
	s_delay_alu instid0(VALU_DEP_2) | instskip(SKIP_1) | instid1(VALU_DEP_2)
	v_cndmask_b32_e64 v7, 0x7fc00000, v9, s2
	s_mov_b32 s2, exec_lo
	v_fma_f32 v8, -v12, v17, v8
	s_delay_alu instid0(VALU_DEP_2) | instskip(NEXT) | instid1(VALU_DEP_2)
	v_add_f32_e32 v1, v1, v7
	v_div_fmas_f32 v7, v8, v15, v17
	s_delay_alu instid0(VALU_DEP_2) | instskip(SKIP_1) | instid1(VALU_DEP_3)
	v_bfe_u32 v8, v1, 16, 1
	v_cmp_o_f32_e32 vcc_lo, v1, v1
	v_div_fixup_f32 v7, v7, s35, v11
	s_delay_alu instid0(VALU_DEP_3) | instskip(NEXT) | instid1(VALU_DEP_2)
	v_add3_u32 v8, v1, v8, 0x7fff
	v_lshrrev_b32_e32 v9, 24, v7
	s_delay_alu instid0(VALU_DEP_2) | instskip(SKIP_2) | instid1(VALU_DEP_4)
	v_lshrrev_b32_e32 v8, 16, v8
	v_and_b32_e32 v15, 0x7f800000, v7
	v_and_b32_e32 v1, 0x7fffff, v7
	;; [unrolled: 1-line block ×3, first 2 shown]
	s_delay_alu instid0(VALU_DEP_4)
	v_cndmask_b32_e32 v11, 0x7fc0, v8, vcc_lo
	s_clause 0x1
	global_store_b16 v[5:6], v10, off
	global_store_b16 v[13:14], v11, off
	v_or_b32_e32 v8, 0x7e, v12
	v_cmpx_ne_u64_e32 0x7f800000, v[15:16]
	s_xor_b32 s41, exec_lo, s2
	s_cbranch_execz .LBB102_26
; %bb.11:                               ;   in Loop: Header=BB102_10 Depth=1
	v_dual_mov_b32 v10, v2 :: v_dual_and_b32 v9, 0x7fffffff, v7
	s_mov_b32 s2, exec_lo
	s_delay_alu instid0(VALU_DEP_1)
	v_cmpx_gt_u64_e32 0x43e00001, v[9:10]
	s_xor_b32 s42, exec_lo, s2
	s_cbranch_execz .LBB102_25
; %bb.12:                               ;   in Loop: Header=BB102_10 Depth=1
	v_mov_b32_e32 v8, 0
	s_mov_b32 s43, exec_lo
	v_cmpx_ne_u32_e32 0, v7
	s_cbranch_execz .LBB102_24
; %bb.13:                               ;   in Loop: Header=BB102_10 Depth=1
	v_bfe_u32 v13, v7, 23, 8
	v_or_b32_e32 v9, 0x800000, v1
	s_delay_alu instid0(VALU_DEP_2) | instskip(SKIP_1) | instid1(VALU_DEP_2)
	v_sub_nc_u32_e32 v7, 0x79, v13
	v_cmp_gt_u32_e32 vcc_lo, 0x7a, v13
	v_cndmask_b32_e32 v7, 0, v7, vcc_lo
	v_cmp_eq_u32_e32 vcc_lo, 0, v13
	s_delay_alu instid0(VALU_DEP_2) | instskip(SKIP_1) | instid1(VALU_DEP_2)
	v_cndmask_b32_e64 v14, v7, 0x78, vcc_lo
	v_cndmask_b32_e32 v1, v9, v1, vcc_lo
	v_add_nc_u32_e32 v7, 20, v14
	v_add_nc_u32_e32 v9, 19, v14
	s_delay_alu instid0(VALU_DEP_2) | instskip(NEXT) | instid1(VALU_DEP_2)
	v_lshlrev_b64 v[7:8], v7, -1
	v_lshlrev_b64 v[9:10], v9, 1
	s_delay_alu instid0(VALU_DEP_2) | instskip(NEXT) | instid1(VALU_DEP_3)
	v_not_b32_e32 v8, v8
	v_not_b32_e32 v7, v7
	s_delay_alu instid0(VALU_DEP_2) | instskip(NEXT) | instid1(VALU_DEP_2)
	v_and_b32_e32 v16, 0, v8
	v_and_b32_e32 v15, v1, v7
	v_lshrrev_b64 v[7:8], v14, v[1:2]
	s_delay_alu instid0(VALU_DEP_2) | instskip(NEXT) | instid1(VALU_DEP_2)
	v_cmp_eq_u64_e64 s2, v[15:16], v[9:10]
	v_dual_mov_b32 v10, v8 :: v_dual_mov_b32 v9, v7
	s_delay_alu instid0(VALU_DEP_2)
	s_and_saveexec_b32 s44, s2
; %bb.14:                               ;   in Loop: Header=BB102_10 Depth=1
	v_bfe_u32 v1, v7, 20, 1
	s_delay_alu instid0(VALU_DEP_1) | instskip(NEXT) | instid1(VALU_DEP_1)
	v_add_co_u32 v1, s2, v7, v1
	v_add_co_u32 v9, s2, v1, -1
; %bb.15:                               ;   in Loop: Header=BB102_10 Depth=1
	s_or_b32 exec_lo, exec_lo, s44
	v_add_nc_u32_e32 v1, 0xffffff81, v13
	v_lshrrev_b32_e32 v10, 23, v7
	s_mov_b32 s2, exec_lo
	s_delay_alu instid0(VALU_DEP_2) | instskip(NEXT) | instid1(VALU_DEP_1)
	v_cndmask_b32_e64 v1, v1, 0xffffff82, vcc_lo
	v_add3_u32 v10, v14, v1, v10
	v_and_b32_e32 v1, 0xfffff, v9
	s_delay_alu instid0(VALU_DEP_2) | instskip(NEXT) | instid1(VALU_DEP_2)
	v_add_nc_u32_e32 v9, 6, v10
	v_add_co_u32 v7, vcc_lo, v1, v7
	v_add_co_ci_u32_e32 v8, vcc_lo, 0, v8, vcc_lo
                                        ; implicit-def: $vgpr1
	s_delay_alu instid0(VALU_DEP_3)
	v_cmpx_ne_u32_e32 0, v9
	s_xor_b32 s2, exec_lo, s2
; %bb.16:                               ;   in Loop: Header=BB102_10 Depth=1
	s_delay_alu instid0(VALU_DEP_2) | instskip(SKIP_1) | instid1(VALU_DEP_1)
	v_cmp_lt_u64_e32 vcc_lo, 0xffffff, v[7:8]
	v_add_nc_u32_e32 v1, 7, v10
	v_cndmask_b32_e32 v1, v9, v1, vcc_lo
	v_cndmask_b32_e64 v9, 0, 1, vcc_lo
	s_delay_alu instid0(VALU_DEP_1)
	v_lshrrev_b64 v[7:8], v9, v[7:8]
; %bb.17:                               ;   in Loop: Header=BB102_10 Depth=1
	s_and_not1_saveexec_b32 s2, s2
; %bb.18:                               ;   in Loop: Header=BB102_10 Depth=1
	s_delay_alu instid0(VALU_DEP_1)
	v_bfe_u32 v1, v7, 23, 1
; %bb.19:                               ;   in Loop: Header=BB102_10 Depth=1
	s_or_b32 exec_lo, exec_lo, s2
	s_delay_alu instid0(VALU_DEP_2) | instskip(NEXT) | instid1(VALU_DEP_2)
	v_lshrrev_b64 v[7:8], 20, v[7:8]
	v_cmp_gt_i32_e32 vcc_lo, 16, v1
	v_cmp_ne_u32_e64 s2, 0, v1
	s_delay_alu instid0(VALU_DEP_3) | instskip(NEXT) | instid1(VALU_DEP_1)
	v_dual_cndmask_b32 v8, 0, v8 :: v_dual_cndmask_b32 v7, 7, v7
	v_cmp_ne_u64_e32 vcc_lo, 0, v[7:8]
                                        ; implicit-def: $vgpr8
	s_delay_alu instid0(VALU_DEP_3) | instskip(NEXT) | instid1(SALU_CYCLE_1)
	s_or_b32 s2, s2, vcc_lo
	s_and_saveexec_b32 s44, s2
	s_delay_alu instid0(SALU_CYCLE_1)
	s_xor_b32 s2, exec_lo, s44
; %bb.20:                               ;   in Loop: Header=BB102_10 Depth=1
	v_min_i32_e32 v1, 15, v1
	s_delay_alu instid0(VALU_DEP_1) | instskip(NEXT) | instid1(VALU_DEP_1)
	v_lshl_or_b32 v1, v1, 3, v12
                                        ; implicit-def: $vgpr12
	v_and_or_b32 v8, v7, 7, v1
; %bb.21:                               ;   in Loop: Header=BB102_10 Depth=1
	s_and_not1_saveexec_b32 s2, s2
; %bb.22:                               ;   in Loop: Header=BB102_10 Depth=1
	v_mov_b32_e32 v8, v12
; %bb.23:                               ;   in Loop: Header=BB102_10 Depth=1
	s_or_b32 exec_lo, exec_lo, s2
.LBB102_24:                             ;   in Loop: Header=BB102_10 Depth=1
	s_delay_alu instid0(SALU_CYCLE_1)
	s_or_b32 exec_lo, exec_lo, s43
.LBB102_25:                             ;   in Loop: Header=BB102_10 Depth=1
	s_and_not1_saveexec_b32 s2, s42
	s_delay_alu instid0(SALU_CYCLE_1)
	s_or_b32 exec_lo, exec_lo, s2
                                        ; implicit-def: $vgpr9
.LBB102_26:                             ;   in Loop: Header=BB102_10 Depth=1
	s_and_not1_saveexec_b32 s2, s41
; %bb.27:                               ;   in Loop: Header=BB102_10 Depth=1
	v_cmp_eq_u64_e32 vcc_lo, 0, v[1:2]
	v_or_b32_e32 v7, 0x7f, v9
	s_delay_alu instid0(VALU_DEP_1)
	v_cndmask_b32_e32 v8, v7, v8, vcc_lo
; %bb.28:                               ;   in Loop: Header=BB102_10 Depth=1
	s_or_b32 exec_lo, exec_lo, s2
	v_lshlrev_b32_e32 v1, 16, v11
	v_add_co_u32 v14, s2, s37, v0
	s_delay_alu instid0(VALU_DEP_1) | instskip(NEXT) | instid1(VALU_DEP_3)
	v_add_co_ci_u32_e64 v15, null, s38, 0, s2
	v_div_scale_f32 v7, null, s35, s35, v1
	v_div_scale_f32 v11, vcc_lo, v1, s35, v1
	global_store_b8 v[14:15], v8, off
	v_rcp_f32_e32 v9, v7
	s_mov_b32 s2, exec_lo
	v_mov_b32_e32 v13, v2
	s_waitcnt_depctr 0xfff
	v_fma_f32 v10, -v7, v9, 1.0
	s_delay_alu instid0(VALU_DEP_1) | instskip(NEXT) | instid1(VALU_DEP_1)
	v_fmac_f32_e32 v9, v10, v9
	v_mul_f32_e32 v10, v11, v9
	s_delay_alu instid0(VALU_DEP_1) | instskip(NEXT) | instid1(VALU_DEP_1)
	v_fma_f32 v12, -v7, v10, v11
	v_fmac_f32_e32 v10, v12, v9
	s_delay_alu instid0(VALU_DEP_1) | instskip(NEXT) | instid1(VALU_DEP_1)
	v_fma_f32 v7, -v7, v10, v11
	v_div_fmas_f32 v7, v7, v9, v10
	s_delay_alu instid0(VALU_DEP_1) | instskip(NEXT) | instid1(VALU_DEP_1)
	v_div_fixup_f32 v7, v7, s35, v1
	v_lshrrev_b32_e32 v10, 24, v7
	v_and_b32_e32 v12, 0x7f800000, v7
	v_and_b32_e32 v1, 0x7fffff, v7
	s_delay_alu instid0(VALU_DEP_3) | instskip(NEXT) | instid1(VALU_DEP_1)
	v_and_b32_e32 v11, 0x80, v10
	v_or_b32_e32 v9, 0x7e, v11
	s_delay_alu instid0(VALU_DEP_4)
	v_cmpx_ne_u64_e32 0x7f800000, v[12:13]
	s_xor_b32 s41, exec_lo, s2
	s_cbranch_execz .LBB102_44
; %bb.29:                               ;   in Loop: Header=BB102_10 Depth=1
	v_dual_mov_b32 v13, v2 :: v_dual_and_b32 v12, 0x7fffffff, v7
	s_mov_b32 s2, exec_lo
	s_delay_alu instid0(VALU_DEP_1)
	v_cmpx_gt_u64_e32 0x43e00001, v[12:13]
	s_xor_b32 s42, exec_lo, s2
	s_cbranch_execz .LBB102_43
; %bb.30:                               ;   in Loop: Header=BB102_10 Depth=1
	v_mov_b32_e32 v9, 0
	s_mov_b32 s43, exec_lo
	v_cmpx_ne_u32_e32 0, v7
	s_cbranch_execz .LBB102_42
; %bb.31:                               ;   in Loop: Header=BB102_10 Depth=1
	v_bfe_u32 v12, v7, 23, 8
	v_or_b32_e32 v9, 0x800000, v1
	s_delay_alu instid0(VALU_DEP_2) | instskip(SKIP_1) | instid1(VALU_DEP_2)
	v_sub_nc_u32_e32 v7, 0x79, v12
	v_cmp_gt_u32_e32 vcc_lo, 0x7a, v12
	v_cndmask_b32_e32 v7, 0, v7, vcc_lo
	v_cmp_eq_u32_e32 vcc_lo, 0, v12
	s_delay_alu instid0(VALU_DEP_2) | instskip(SKIP_1) | instid1(VALU_DEP_2)
	v_cndmask_b32_e64 v13, v7, 0x78, vcc_lo
	v_cndmask_b32_e32 v1, v9, v1, vcc_lo
	v_add_nc_u32_e32 v7, 20, v13
	v_add_nc_u32_e32 v9, 19, v13
	s_delay_alu instid0(VALU_DEP_2) | instskip(NEXT) | instid1(VALU_DEP_2)
	v_lshlrev_b64 v[7:8], v7, -1
	v_lshlrev_b64 v[9:10], v9, 1
	s_delay_alu instid0(VALU_DEP_2) | instskip(NEXT) | instid1(VALU_DEP_3)
	v_not_b32_e32 v8, v8
	v_not_b32_e32 v7, v7
	s_delay_alu instid0(VALU_DEP_2) | instskip(NEXT) | instid1(VALU_DEP_2)
	v_and_b32_e32 v15, 0, v8
	v_and_b32_e32 v14, v1, v7
	v_lshrrev_b64 v[7:8], v13, v[1:2]
	s_delay_alu instid0(VALU_DEP_2) | instskip(NEXT) | instid1(VALU_DEP_2)
	v_cmp_eq_u64_e64 s2, v[14:15], v[9:10]
	v_dual_mov_b32 v10, v8 :: v_dual_mov_b32 v9, v7
	s_delay_alu instid0(VALU_DEP_2)
	s_and_saveexec_b32 s44, s2
; %bb.32:                               ;   in Loop: Header=BB102_10 Depth=1
	v_bfe_u32 v1, v7, 20, 1
	s_delay_alu instid0(VALU_DEP_1) | instskip(NEXT) | instid1(VALU_DEP_1)
	v_add_co_u32 v1, s2, v7, v1
	v_add_co_u32 v9, s2, v1, -1
; %bb.33:                               ;   in Loop: Header=BB102_10 Depth=1
	s_or_b32 exec_lo, exec_lo, s44
	v_add_nc_u32_e32 v1, 0xffffff81, v12
	v_lshrrev_b32_e32 v10, 23, v7
	s_mov_b32 s2, exec_lo
	s_delay_alu instid0(VALU_DEP_2) | instskip(NEXT) | instid1(VALU_DEP_1)
	v_cndmask_b32_e64 v1, v1, 0xffffff82, vcc_lo
	v_add3_u32 v10, v13, v1, v10
	v_and_b32_e32 v1, 0xfffff, v9
	s_delay_alu instid0(VALU_DEP_2) | instskip(NEXT) | instid1(VALU_DEP_2)
	v_add_nc_u32_e32 v9, 6, v10
	v_add_co_u32 v7, vcc_lo, v1, v7
	v_add_co_ci_u32_e32 v8, vcc_lo, 0, v8, vcc_lo
                                        ; implicit-def: $vgpr1
	s_delay_alu instid0(VALU_DEP_3)
	v_cmpx_ne_u32_e32 0, v9
	s_xor_b32 s2, exec_lo, s2
; %bb.34:                               ;   in Loop: Header=BB102_10 Depth=1
	s_delay_alu instid0(VALU_DEP_2) | instskip(SKIP_1) | instid1(VALU_DEP_1)
	v_cmp_lt_u64_e32 vcc_lo, 0xffffff, v[7:8]
	v_add_nc_u32_e32 v1, 7, v10
	v_cndmask_b32_e32 v1, v9, v1, vcc_lo
	v_cndmask_b32_e64 v9, 0, 1, vcc_lo
	s_delay_alu instid0(VALU_DEP_1)
	v_lshrrev_b64 v[7:8], v9, v[7:8]
; %bb.35:                               ;   in Loop: Header=BB102_10 Depth=1
	s_and_not1_saveexec_b32 s2, s2
; %bb.36:                               ;   in Loop: Header=BB102_10 Depth=1
	s_delay_alu instid0(VALU_DEP_1)
	v_bfe_u32 v1, v7, 23, 1
; %bb.37:                               ;   in Loop: Header=BB102_10 Depth=1
	s_or_b32 exec_lo, exec_lo, s2
	s_delay_alu instid0(VALU_DEP_2) | instskip(NEXT) | instid1(VALU_DEP_2)
	v_lshrrev_b64 v[7:8], 20, v[7:8]
	v_cmp_gt_i32_e32 vcc_lo, 16, v1
	v_cmp_ne_u32_e64 s2, 0, v1
                                        ; implicit-def: $vgpr9
	s_delay_alu instid0(VALU_DEP_3) | instskip(NEXT) | instid1(VALU_DEP_1)
	v_dual_cndmask_b32 v8, 0, v8 :: v_dual_cndmask_b32 v7, 7, v7
	v_cmp_ne_u64_e32 vcc_lo, 0, v[7:8]
	s_delay_alu instid0(VALU_DEP_3) | instskip(NEXT) | instid1(SALU_CYCLE_1)
	s_or_b32 s2, s2, vcc_lo
	s_and_saveexec_b32 s44, s2
	s_delay_alu instid0(SALU_CYCLE_1)
	s_xor_b32 s2, exec_lo, s44
; %bb.38:                               ;   in Loop: Header=BB102_10 Depth=1
	v_min_i32_e32 v1, 15, v1
	s_delay_alu instid0(VALU_DEP_1) | instskip(NEXT) | instid1(VALU_DEP_1)
	v_lshl_or_b32 v1, v1, 3, v11
                                        ; implicit-def: $vgpr11
	v_and_or_b32 v9, v7, 7, v1
; %bb.39:                               ;   in Loop: Header=BB102_10 Depth=1
	s_and_not1_saveexec_b32 s2, s2
; %bb.40:                               ;   in Loop: Header=BB102_10 Depth=1
	v_mov_b32_e32 v9, v11
; %bb.41:                               ;   in Loop: Header=BB102_10 Depth=1
	s_or_b32 exec_lo, exec_lo, s2
.LBB102_42:                             ;   in Loop: Header=BB102_10 Depth=1
	s_delay_alu instid0(SALU_CYCLE_1)
	s_or_b32 exec_lo, exec_lo, s43
.LBB102_43:                             ;   in Loop: Header=BB102_10 Depth=1
	s_and_not1_saveexec_b32 s2, s42
	s_delay_alu instid0(SALU_CYCLE_1)
	s_or_b32 exec_lo, exec_lo, s2
                                        ; implicit-def: $vgpr10
.LBB102_44:                             ;   in Loop: Header=BB102_10 Depth=1
	s_and_not1_saveexec_b32 s2, s41
	s_cbranch_execz .LBB102_9
; %bb.45:                               ;   in Loop: Header=BB102_10 Depth=1
	v_cmp_eq_u64_e32 vcc_lo, 0, v[1:2]
	v_or_b32_e32 v7, 0x7f, v10
	s_delay_alu instid0(VALU_DEP_1)
	v_cndmask_b32_e32 v9, v7, v9, vcc_lo
	s_branch .LBB102_9
.LBB102_46:
	s_or_b32 exec_lo, exec_lo, s34
	s_delay_alu instid0(SALU_CYCLE_1)
	s_mov_b32 s2, exec_lo
	v_cmpx_gt_i32_e64 s6, v0
	s_cbranch_execz .LBB102_67
; %bb.47:
	s_mul_i32 s2, s16, s11
	s_mul_hi_u32 s9, s16, s10
	s_mul_i32 s8, s16, s10
	s_add_i32 s9, s9, s2
	s_load_b32 s0, s[0:1], 0x8c
	s_lshl_b64 s[8:9], s[8:9], 1
	v_mov_b32_e32 v3, 0
	s_add_u32 s1, s14, s8
	s_addc_u32 s2, s15, s9
	s_ashr_i32 s8, s4, 31
	s_waitcnt lgkmcnt(0)
	s_load_b32 s4, s[24:25], 0x0
	s_mul_i32 s8, s22, s8
	s_delay_alu instid0(SALU_CYCLE_1) | instskip(NEXT) | instid1(SALU_CYCLE_1)
	s_add_i32 s8, s30, s8
	s_add_i32 s8, s8, s31
	s_add_u32 s9, s18, s33
	s_addc_u32 s8, s19, s8
	s_ashr_i32 s5, s5, 31
	s_delay_alu instid0(SALU_CYCLE_1) | instskip(NEXT) | instid1(SALU_CYCLE_1)
	s_mul_i32 s3, s3, s5
	s_add_i32 s3, s23, s3
	s_delay_alu instid0(SALU_CYCLE_1)
	s_add_i32 s5, s3, s7
	s_add_u32 s3, s9, s17
	s_addc_u32 s5, s8, s5
	s_and_b32 s7, s0, 0xffff
	s_mov_b32 s8, 0
	s_branch .LBB102_49
.LBB102_48:                             ;   in Loop: Header=BB102_49 Depth=1
	s_or_b32 exec_lo, exec_lo, s0
	v_add_co_u32 v6, vcc_lo, s3, v0
	v_add_nc_u32_e32 v0, s7, v0
	v_add_co_ci_u32_e32 v7, vcc_lo, s5, v1, vcc_lo
	s_delay_alu instid0(VALU_DEP_2) | instskip(SKIP_2) | instid1(SALU_CYCLE_1)
	v_cmp_le_i32_e32 vcc_lo, s6, v0
	global_store_b8 v[6:7], v5, off
	s_or_b32 s8, vcc_lo, s8
	s_and_not1_b32 exec_lo, exec_lo, s8
	s_cbranch_execz .LBB102_67
.LBB102_49:                             ; =>This Inner Loop Header: Depth=1
	v_ashrrev_i32_e32 v1, 31, v0
	s_mov_b32 s0, exec_lo
	v_mov_b32_e32 v10, v3
	s_delay_alu instid0(VALU_DEP_2) | instskip(NEXT) | instid1(VALU_DEP_1)
	v_lshlrev_b64 v[4:5], 1, v[0:1]
	v_add_co_u32 v4, vcc_lo, s1, v4
	s_delay_alu instid0(VALU_DEP_2) | instskip(SKIP_4) | instid1(VALU_DEP_1)
	v_add_co_ci_u32_e32 v5, vcc_lo, s2, v5, vcc_lo
	global_load_u16 v2, v[4:5], off
	s_waitcnt vmcnt(0)
	v_lshlrev_b32_e32 v2, 16, v2
	s_waitcnt lgkmcnt(0)
	v_div_scale_f32 v4, null, s4, s4, v2
	s_delay_alu instid0(VALU_DEP_1) | instskip(SKIP_2) | instid1(VALU_DEP_1)
	v_rcp_f32_e32 v5, v4
	s_waitcnt_depctr 0xfff
	v_fma_f32 v6, -v4, v5, 1.0
	v_fmac_f32_e32 v5, v6, v5
	v_div_scale_f32 v6, vcc_lo, v2, s4, v2
	s_delay_alu instid0(VALU_DEP_1) | instskip(NEXT) | instid1(VALU_DEP_1)
	v_mul_f32_e32 v7, v6, v5
	v_fma_f32 v8, -v4, v7, v6
	s_delay_alu instid0(VALU_DEP_1) | instskip(NEXT) | instid1(VALU_DEP_1)
	v_fmac_f32_e32 v7, v8, v5
	v_fma_f32 v4, -v4, v7, v6
	s_delay_alu instid0(VALU_DEP_1) | instskip(NEXT) | instid1(VALU_DEP_1)
	v_div_fmas_f32 v4, v4, v5, v7
	v_div_fixup_f32 v4, v4, s4, v2
	s_delay_alu instid0(VALU_DEP_1) | instskip(SKIP_2) | instid1(VALU_DEP_3)
	v_lshrrev_b32_e32 v6, 24, v4
	v_and_b32_e32 v9, 0x7f800000, v4
	v_and_b32_e32 v2, 0x7fffff, v4
	;; [unrolled: 1-line block ×3, first 2 shown]
	s_delay_alu instid0(VALU_DEP_1) | instskip(NEXT) | instid1(VALU_DEP_4)
	v_or_b32_e32 v5, 0x7e, v8
	v_cmpx_ne_u64_e32 0x7f800000, v[9:10]
	s_xor_b32 s9, exec_lo, s0
	s_cbranch_execz .LBB102_65
; %bb.50:                               ;   in Loop: Header=BB102_49 Depth=1
	v_dual_mov_b32 v7, v3 :: v_dual_and_b32 v6, 0x7fffffff, v4
	s_mov_b32 s0, exec_lo
	s_delay_alu instid0(VALU_DEP_1)
	v_cmpx_gt_u64_e32 0x43e00001, v[6:7]
	s_xor_b32 s10, exec_lo, s0
	s_cbranch_execz .LBB102_64
; %bb.51:                               ;   in Loop: Header=BB102_49 Depth=1
	v_mov_b32_e32 v5, 0
	s_mov_b32 s11, exec_lo
	v_cmpx_ne_u32_e32 0, v4
	s_cbranch_execz .LBB102_63
; %bb.52:                               ;   in Loop: Header=BB102_49 Depth=1
	v_bfe_u32 v9, v4, 23, 8
	v_or_b32_e32 v6, 0x800000, v2
	s_delay_alu instid0(VALU_DEP_2) | instskip(SKIP_1) | instid1(VALU_DEP_2)
	v_sub_nc_u32_e32 v4, 0x79, v9
	v_cmp_gt_u32_e32 vcc_lo, 0x7a, v9
	v_cndmask_b32_e32 v4, 0, v4, vcc_lo
	v_cmp_eq_u32_e32 vcc_lo, 0, v9
	s_delay_alu instid0(VALU_DEP_2) | instskip(SKIP_1) | instid1(VALU_DEP_2)
	v_cndmask_b32_e64 v10, v4, 0x78, vcc_lo
	v_cndmask_b32_e32 v2, v6, v2, vcc_lo
	v_add_nc_u32_e32 v4, 20, v10
	v_add_nc_u32_e32 v6, 19, v10
	s_delay_alu instid0(VALU_DEP_2) | instskip(NEXT) | instid1(VALU_DEP_2)
	v_lshlrev_b64 v[4:5], v4, -1
	v_lshlrev_b64 v[6:7], v6, 1
	s_delay_alu instid0(VALU_DEP_2) | instskip(NEXT) | instid1(VALU_DEP_3)
	v_not_b32_e32 v5, v5
	v_not_b32_e32 v4, v4
	s_delay_alu instid0(VALU_DEP_2) | instskip(NEXT) | instid1(VALU_DEP_2)
	v_and_b32_e32 v12, 0, v5
	v_and_b32_e32 v11, v2, v4
	v_lshrrev_b64 v[4:5], v10, v[2:3]
	s_delay_alu instid0(VALU_DEP_2) | instskip(NEXT) | instid1(VALU_DEP_2)
	v_cmp_eq_u64_e64 s0, v[11:12], v[6:7]
	v_dual_mov_b32 v7, v5 :: v_dual_mov_b32 v6, v4
	s_delay_alu instid0(VALU_DEP_2)
	s_and_saveexec_b32 s12, s0
; %bb.53:                               ;   in Loop: Header=BB102_49 Depth=1
	v_bfe_u32 v2, v4, 20, 1
	s_delay_alu instid0(VALU_DEP_1) | instskip(NEXT) | instid1(VALU_DEP_1)
	v_add_co_u32 v2, s0, v4, v2
	v_add_co_u32 v6, s0, v2, -1
; %bb.54:                               ;   in Loop: Header=BB102_49 Depth=1
	s_or_b32 exec_lo, exec_lo, s12
	v_add_nc_u32_e32 v2, 0xffffff81, v9
	v_lshrrev_b32_e32 v7, 23, v4
	s_mov_b32 s0, exec_lo
	s_delay_alu instid0(VALU_DEP_2) | instskip(NEXT) | instid1(VALU_DEP_1)
	v_cndmask_b32_e64 v2, v2, 0xffffff82, vcc_lo
	v_add3_u32 v7, v10, v2, v7
	v_and_b32_e32 v2, 0xfffff, v6
	s_delay_alu instid0(VALU_DEP_2) | instskip(NEXT) | instid1(VALU_DEP_2)
	v_add_nc_u32_e32 v6, 6, v7
	v_add_co_u32 v4, vcc_lo, v2, v4
	v_add_co_ci_u32_e32 v5, vcc_lo, 0, v5, vcc_lo
                                        ; implicit-def: $vgpr2
	s_delay_alu instid0(VALU_DEP_3)
	v_cmpx_ne_u32_e32 0, v6
	s_xor_b32 s0, exec_lo, s0
; %bb.55:                               ;   in Loop: Header=BB102_49 Depth=1
	s_delay_alu instid0(VALU_DEP_2) | instskip(SKIP_1) | instid1(VALU_DEP_1)
	v_cmp_lt_u64_e32 vcc_lo, 0xffffff, v[4:5]
	v_add_nc_u32_e32 v2, 7, v7
	v_cndmask_b32_e32 v2, v6, v2, vcc_lo
	v_cndmask_b32_e64 v6, 0, 1, vcc_lo
	s_delay_alu instid0(VALU_DEP_1)
	v_lshrrev_b64 v[4:5], v6, v[4:5]
; %bb.56:                               ;   in Loop: Header=BB102_49 Depth=1
	s_and_not1_saveexec_b32 s0, s0
; %bb.57:                               ;   in Loop: Header=BB102_49 Depth=1
	s_delay_alu instid0(VALU_DEP_1)
	v_bfe_u32 v2, v4, 23, 1
; %bb.58:                               ;   in Loop: Header=BB102_49 Depth=1
	s_or_b32 exec_lo, exec_lo, s0
	s_delay_alu instid0(VALU_DEP_2) | instskip(NEXT) | instid1(VALU_DEP_2)
	v_lshrrev_b64 v[4:5], 20, v[4:5]
	v_cmp_gt_i32_e32 vcc_lo, 16, v2
	v_cmp_ne_u32_e64 s0, 0, v2
	s_delay_alu instid0(VALU_DEP_3) | instskip(NEXT) | instid1(VALU_DEP_1)
	v_dual_cndmask_b32 v5, 0, v5 :: v_dual_cndmask_b32 v4, 7, v4
	v_cmp_ne_u64_e32 vcc_lo, 0, v[4:5]
                                        ; implicit-def: $vgpr5
	s_delay_alu instid0(VALU_DEP_3) | instskip(NEXT) | instid1(SALU_CYCLE_1)
	s_or_b32 s0, s0, vcc_lo
	s_and_saveexec_b32 s12, s0
	s_delay_alu instid0(SALU_CYCLE_1)
	s_xor_b32 s0, exec_lo, s12
; %bb.59:                               ;   in Loop: Header=BB102_49 Depth=1
	v_min_i32_e32 v2, 15, v2
	s_delay_alu instid0(VALU_DEP_1) | instskip(NEXT) | instid1(VALU_DEP_1)
	v_lshl_or_b32 v2, v2, 3, v8
                                        ; implicit-def: $vgpr8
	v_and_or_b32 v5, v4, 7, v2
; %bb.60:                               ;   in Loop: Header=BB102_49 Depth=1
	s_and_not1_saveexec_b32 s0, s0
; %bb.61:                               ;   in Loop: Header=BB102_49 Depth=1
	v_mov_b32_e32 v5, v8
; %bb.62:                               ;   in Loop: Header=BB102_49 Depth=1
	s_or_b32 exec_lo, exec_lo, s0
.LBB102_63:                             ;   in Loop: Header=BB102_49 Depth=1
	s_delay_alu instid0(SALU_CYCLE_1)
	s_or_b32 exec_lo, exec_lo, s11
.LBB102_64:                             ;   in Loop: Header=BB102_49 Depth=1
	s_and_not1_saveexec_b32 s0, s10
	s_delay_alu instid0(SALU_CYCLE_1)
	s_or_b32 exec_lo, exec_lo, s0
                                        ; implicit-def: $vgpr6
.LBB102_65:                             ;   in Loop: Header=BB102_49 Depth=1
	s_and_not1_saveexec_b32 s0, s9
	s_cbranch_execz .LBB102_48
; %bb.66:                               ;   in Loop: Header=BB102_49 Depth=1
	v_cmp_eq_u64_e32 vcc_lo, 0, v[2:3]
	v_or_b32_e32 v4, 0x7f, v6
	s_delay_alu instid0(VALU_DEP_1)
	v_cndmask_b32_e32 v5, v4, v5, vcc_lo
	s_branch .LBB102_48
.LBB102_67:
	s_nop 0
	s_sendmsg sendmsg(MSG_DEALLOC_VGPRS)
	s_endpgm
.LBB102_68:
                                        ; implicit-def: $sgpr22_sgpr23
	s_branch .LBB102_6
	.section	.rodata,"a",@progbits
	.p2align	6, 0x0
	.amdhsa_kernel _ZN4vllm38concat_and_cache_mla_rope_fused_kernelIN3c108BFloat16EfLb1E14__hip_bfloat16hLNS_18Fp8KVCacheDataTypeE1EEEvPKlPT_S8_PKS7_PKT0_illlliPT3_S6_iiiiPKf
		.amdhsa_group_segment_fixed_size 0
		.amdhsa_private_segment_fixed_size 0
		.amdhsa_kernarg_size 384
		.amdhsa_user_sgpr_count 15
		.amdhsa_user_sgpr_dispatch_ptr 0
		.amdhsa_user_sgpr_queue_ptr 0
		.amdhsa_user_sgpr_kernarg_segment_ptr 1
		.amdhsa_user_sgpr_dispatch_id 0
		.amdhsa_user_sgpr_private_segment_size 0
		.amdhsa_wavefront_size32 1
		.amdhsa_uses_dynamic_stack 0
		.amdhsa_enable_private_segment 0
		.amdhsa_system_sgpr_workgroup_id_x 1
		.amdhsa_system_sgpr_workgroup_id_y 0
		.amdhsa_system_sgpr_workgroup_id_z 0
		.amdhsa_system_sgpr_workgroup_info 0
		.amdhsa_system_vgpr_workitem_id 0
		.amdhsa_next_free_vgpr 19
		.amdhsa_next_free_sgpr 45
		.amdhsa_reserve_vcc 1
		.amdhsa_float_round_mode_32 0
		.amdhsa_float_round_mode_16_64 0
		.amdhsa_float_denorm_mode_32 3
		.amdhsa_float_denorm_mode_16_64 3
		.amdhsa_dx10_clamp 1
		.amdhsa_ieee_mode 1
		.amdhsa_fp16_overflow 0
		.amdhsa_workgroup_processor_mode 1
		.amdhsa_memory_ordered 1
		.amdhsa_forward_progress 0
		.amdhsa_shared_vgpr_count 0
		.amdhsa_exception_fp_ieee_invalid_op 0
		.amdhsa_exception_fp_denorm_src 0
		.amdhsa_exception_fp_ieee_div_zero 0
		.amdhsa_exception_fp_ieee_overflow 0
		.amdhsa_exception_fp_ieee_underflow 0
		.amdhsa_exception_fp_ieee_inexact 0
		.amdhsa_exception_int_div_zero 0
	.end_amdhsa_kernel
	.section	.text._ZN4vllm38concat_and_cache_mla_rope_fused_kernelIN3c108BFloat16EfLb1E14__hip_bfloat16hLNS_18Fp8KVCacheDataTypeE1EEEvPKlPT_S8_PKS7_PKT0_illlliPT3_S6_iiiiPKf,"axG",@progbits,_ZN4vllm38concat_and_cache_mla_rope_fused_kernelIN3c108BFloat16EfLb1E14__hip_bfloat16hLNS_18Fp8KVCacheDataTypeE1EEEvPKlPT_S8_PKS7_PKT0_illlliPT3_S6_iiiiPKf,comdat
.Lfunc_end102:
	.size	_ZN4vllm38concat_and_cache_mla_rope_fused_kernelIN3c108BFloat16EfLb1E14__hip_bfloat16hLNS_18Fp8KVCacheDataTypeE1EEEvPKlPT_S8_PKS7_PKT0_illlliPT3_S6_iiiiPKf, .Lfunc_end102-_ZN4vllm38concat_and_cache_mla_rope_fused_kernelIN3c108BFloat16EfLb1E14__hip_bfloat16hLNS_18Fp8KVCacheDataTypeE1EEEvPKlPT_S8_PKS7_PKT0_illlliPT3_S6_iiiiPKf
                                        ; -- End function
	.section	.AMDGPU.csdata,"",@progbits
; Kernel info:
; codeLenInByte = 5212
; NumSgprs: 47
; NumVgprs: 19
; ScratchSize: 0
; MemoryBound: 0
; FloatMode: 240
; IeeeMode: 1
; LDSByteSize: 0 bytes/workgroup (compile time only)
; SGPRBlocks: 5
; VGPRBlocks: 2
; NumSGPRsForWavesPerEU: 47
; NumVGPRsForWavesPerEU: 19
; Occupancy: 16
; WaveLimiterHint : 1
; COMPUTE_PGM_RSRC2:SCRATCH_EN: 0
; COMPUTE_PGM_RSRC2:USER_SGPR: 15
; COMPUTE_PGM_RSRC2:TRAP_HANDLER: 0
; COMPUTE_PGM_RSRC2:TGID_X_EN: 1
; COMPUTE_PGM_RSRC2:TGID_Y_EN: 0
; COMPUTE_PGM_RSRC2:TGID_Z_EN: 0
; COMPUTE_PGM_RSRC2:TIDIG_COMP_CNT: 0
	.section	.text._ZN4vllm38concat_and_cache_mla_rope_fused_kernelIN3c108BFloat16EfLb0E14__hip_bfloat16hLNS_18Fp8KVCacheDataTypeE1EEEvPKlPT_S8_PKS7_PKT0_illlliPT3_S6_iiiiPKf,"axG",@progbits,_ZN4vllm38concat_and_cache_mla_rope_fused_kernelIN3c108BFloat16EfLb0E14__hip_bfloat16hLNS_18Fp8KVCacheDataTypeE1EEEvPKlPT_S8_PKS7_PKT0_illlliPT3_S6_iiiiPKf,comdat
	.protected	_ZN4vllm38concat_and_cache_mla_rope_fused_kernelIN3c108BFloat16EfLb0E14__hip_bfloat16hLNS_18Fp8KVCacheDataTypeE1EEEvPKlPT_S8_PKS7_PKT0_illlliPT3_S6_iiiiPKf ; -- Begin function _ZN4vllm38concat_and_cache_mla_rope_fused_kernelIN3c108BFloat16EfLb0E14__hip_bfloat16hLNS_18Fp8KVCacheDataTypeE1EEEvPKlPT_S8_PKS7_PKT0_illlliPT3_S6_iiiiPKf
	.globl	_ZN4vllm38concat_and_cache_mla_rope_fused_kernelIN3c108BFloat16EfLb0E14__hip_bfloat16hLNS_18Fp8KVCacheDataTypeE1EEEvPKlPT_S8_PKS7_PKT0_illlliPT3_S6_iiiiPKf
	.p2align	8
	.type	_ZN4vllm38concat_and_cache_mla_rope_fused_kernelIN3c108BFloat16EfLb0E14__hip_bfloat16hLNS_18Fp8KVCacheDataTypeE1EEEvPKlPT_S8_PKS7_PKT0_illlliPT3_S6_iiiiPKf,@function
_ZN4vllm38concat_and_cache_mla_rope_fused_kernelIN3c108BFloat16EfLb0E14__hip_bfloat16hLNS_18Fp8KVCacheDataTypeE1EEEvPKlPT_S8_PKS7_PKT0_illlliPT3_S6_iiiiPKf: ; @_ZN4vllm38concat_and_cache_mla_rope_fused_kernelIN3c108BFloat16EfLb0E14__hip_bfloat16hLNS_18Fp8KVCacheDataTypeE1EEEvPKlPT_S8_PKS7_PKT0_illlliPT3_S6_iiiiPKf
; %bb.0:
	s_load_b64 s[4:5], s[0:1], 0x60
	s_mov_b32 s16, s15
	s_mov_b32 s17, 0
	s_delay_alu instid0(SALU_CYCLE_1)
	s_lshl_b64 s[2:3], s[16:17], 3
	s_waitcnt lgkmcnt(0)
	s_add_u32 s4, s4, s2
	s_addc_u32 s5, s5, s3
	s_load_b64 s[28:29], s[4:5], 0x0
	s_waitcnt lgkmcnt(0)
	v_cmp_lt_i64_e64 s4, s[28:29], 0
	s_delay_alu instid0(VALU_DEP_1)
	s_and_b32 vcc_lo, exec_lo, s4
	s_cbranch_vccnz .LBB103_67
; %bb.1:
	s_clause 0x3
	s_load_b32 s17, s[0:1], 0x28
	s_load_b64 s[4:5], s[0:1], 0x0
	s_load_b128 s[12:15], s[0:1], 0x10
	s_load_b32 s21, s[0:1], 0x50
	v_lshlrev_b32_e32 v3, 1, v0
	s_waitcnt lgkmcnt(0)
	s_ashr_i32 s24, s17, 31
	s_add_u32 s2, s4, s2
	s_addc_u32 s3, s5, s3
	s_load_b64 s[22:23], s[2:3], 0x0
	s_clause 0x2
	s_load_b64 s[26:27], s[0:1], 0x20
	s_load_b64 s[18:19], s[0:1], 0x58
	s_load_b256 s[4:11], s[0:1], 0x30
	s_lshr_b32 s2, s17, 31
	s_delay_alu instid0(SALU_CYCLE_1) | instskip(NEXT) | instid1(SALU_CYCLE_1)
	s_add_i32 s2, s17, s2
	s_ashr_i32 s20, s2, 1
	s_delay_alu instid0(SALU_CYCLE_1)
	s_mul_i32 s3, s20, s21
	s_waitcnt lgkmcnt(0)
	s_mul_i32 s2, s22, s24
	s_mul_hi_u32 s21, s22, s17
	s_mul_i32 s23, s23, s17
	s_add_i32 s2, s21, s2
	s_mul_i32 s30, s22, s17
	s_add_i32 s31, s2, s23
	s_mov_b32 s17, exec_lo
	v_cmpx_gt_i32_e64 s3, v0
	s_cbranch_execz .LBB103_4
; %bb.2:
	s_load_b64 s[24:25], s[0:1], 0x8
	s_lshl_b64 s[22:23], s[30:31], 2
	s_mul_i32 s2, s16, s5
	s_mul_hi_u32 s5, s16, s4
	s_add_u32 s22, s26, s22
	s_mul_i32 s4, s16, s4
	s_addc_u32 s23, s27, s23
	s_add_i32 s5, s5, s2
	s_load_b32 s2, s[0:1], 0x8c
	s_lshl_b64 s[4:5], s[4:5], 1
	s_ashr_i32 s21, s20, 31
	s_mov_b32 s34, 0
	s_waitcnt lgkmcnt(0)
	s_add_u32 s24, s24, s4
	s_addc_u32 s25, s25, s5
	s_abs_i32 s33, s20
	s_sub_i32 s36, 0, s20
	v_cvt_f32_u32_e32 v1, s33
	s_sub_i32 s4, 0, s33
	s_and_b32 s35, s2, 0xffff
	s_delay_alu instid0(VALU_DEP_1)
	v_rcp_iflag_f32_e32 v1, v1
	s_lshl_b32 s2, s20, 1
	s_lshl_b32 s38, s35, 1
	s_sub_i32 s37, 0, s2
	s_waitcnt_depctr 0xfff
	v_mul_f32_e32 v1, 0x4f7ffffe, v1
	s_delay_alu instid0(VALU_DEP_1) | instskip(NEXT) | instid1(VALU_DEP_1)
	v_cvt_u32_f32_e32 v2, v1
	v_mul_lo_u32 v1, s4, v2
	s_lshl_b64 s[4:5], s[20:21], 2
	s_delay_alu instid0(VALU_DEP_1) | instskip(NEXT) | instid1(VALU_DEP_1)
	v_mul_hi_u32 v4, v2, v1
	v_dual_mov_b32 v1, v3 :: v_dual_add_nc_u32 v4, v2, v4
	v_mov_b32_e32 v2, v0
.LBB103_3:                              ; =>This Inner Loop Header: Depth=1
	s_delay_alu instid0(VALU_DEP_1) | instskip(SKIP_1) | instid1(VALU_DEP_2)
	v_sub_nc_u32_e32 v5, 0, v2
	v_ashrrev_i32_e32 v6, 31, v2
	v_max_i32_e32 v5, v2, v5
	s_delay_alu instid0(VALU_DEP_2) | instskip(NEXT) | instid1(VALU_DEP_2)
	v_xor_b32_e32 v6, s21, v6
	v_mul_hi_u32 v7, v5, v4
	s_delay_alu instid0(VALU_DEP_1) | instskip(SKIP_1) | instid1(VALU_DEP_2)
	v_mul_lo_u32 v8, v7, s33
	v_add_nc_u32_e32 v9, 1, v7
	v_sub_nc_u32_e32 v5, v5, v8
	s_delay_alu instid0(VALU_DEP_1) | instskip(SKIP_1) | instid1(VALU_DEP_4)
	v_subrev_nc_u32_e32 v8, s33, v5
	v_cmp_le_u32_e32 vcc_lo, s33, v5
	v_cndmask_b32_e32 v7, v7, v9, vcc_lo
	s_delay_alu instid0(VALU_DEP_1) | instskip(NEXT) | instid1(VALU_DEP_1)
	v_dual_cndmask_b32 v5, v5, v8 :: v_dual_add_nc_u32 v8, 1, v7
	v_cmp_le_u32_e32 vcc_lo, s33, v5
	s_delay_alu instid0(VALU_DEP_2) | instskip(NEXT) | instid1(VALU_DEP_1)
	v_cndmask_b32_e32 v5, v7, v8, vcc_lo
	v_xor_b32_e32 v5, v5, v6
	s_delay_alu instid0(VALU_DEP_1) | instskip(NEXT) | instid1(VALU_DEP_1)
	v_sub_nc_u32_e32 v11, v5, v6
	v_mad_u64_u32 v[5:6], null, s36, v11, v[2:3]
	v_ashrrev_i32_e32 v6, 31, v11
	v_mul_lo_u32 v12, v11, s7
	v_mad_u64_u32 v[7:8], null, v11, s6, 0
	v_mad_u64_u32 v[9:10], null, s37, v11, v[1:2]
	s_delay_alu instid0(VALU_DEP_4) | instskip(SKIP_3) | instid1(VALU_DEP_3)
	v_mul_lo_u32 v11, v6, s6
	v_ashrrev_i32_e32 v6, 31, v5
	v_add_nc_u32_e32 v1, s38, v1
	v_add_nc_u32_e32 v2, s35, v2
	v_lshlrev_b64 v[5:6], 2, v[5:6]
	v_ashrrev_i32_e32 v10, 31, v9
	v_add3_u32 v8, v8, v12, v11
	s_delay_alu instid0(VALU_DEP_3) | instskip(NEXT) | instid1(VALU_DEP_4)
	v_add_co_u32 v5, vcc_lo, s22, v5
	v_add_co_ci_u32_e32 v6, vcc_lo, s23, v6, vcc_lo
	s_delay_alu instid0(VALU_DEP_3)
	v_lshlrev_b64 v[7:8], 1, v[7:8]
	v_lshlrev_b64 v[9:10], 1, v[9:10]
	global_load_b32 v11, v[5:6], off
	v_add_co_u32 v5, vcc_lo, v5, s4
	v_add_co_ci_u32_e32 v6, vcc_lo, s5, v6, vcc_lo
	v_add_co_u32 v7, vcc_lo, s24, v7
	v_add_co_ci_u32_e32 v8, vcc_lo, s25, v8, vcc_lo
	global_load_b32 v12, v[5:6], off
	v_add_co_u32 v5, vcc_lo, v7, v9
	v_add_co_ci_u32_e32 v6, vcc_lo, v8, v10, vcc_lo
	global_load_b32 v7, v[5:6], off
	s_waitcnt vmcnt(2)
	v_bfe_u32 v8, v11, 16, 1
	v_cmp_o_f32_e32 vcc_lo, v11, v11
	s_delay_alu instid0(VALU_DEP_2) | instskip(SKIP_2) | instid1(VALU_DEP_2)
	v_add3_u32 v8, v11, v8, 0x7fff
	s_waitcnt vmcnt(1)
	v_bfe_u32 v9, v12, 16, 1
	v_and_b32_e32 v8, 0xffff0000, v8
	s_delay_alu instid0(VALU_DEP_2) | instskip(NEXT) | instid1(VALU_DEP_2)
	v_add3_u32 v9, v12, v9, 0x7fff
	v_cndmask_b32_e32 v8, 0x7fc00000, v8, vcc_lo
	v_cmp_o_f32_e32 vcc_lo, v12, v12
	s_waitcnt vmcnt(0)
	v_lshlrev_b32_e32 v10, 16, v7
	v_and_b32_e32 v7, 0xffff0000, v7
	v_and_b32_e32 v9, 0xffff0000, v9
	s_delay_alu instid0(VALU_DEP_3) | instskip(NEXT) | instid1(VALU_DEP_2)
	v_mul_f32_e32 v11, v8, v10
	v_dual_mul_f32 v8, v8, v7 :: v_dual_cndmask_b32 v9, 0x7fc00000, v9
	s_delay_alu instid0(VALU_DEP_2) | instskip(NEXT) | instid1(VALU_DEP_2)
	v_bfe_u32 v12, v11, 16, 1
	v_cmp_o_f32_e64 s2, v8, v8
	s_delay_alu instid0(VALU_DEP_3) | instskip(SKIP_3) | instid1(VALU_DEP_2)
	v_mul_f32_e32 v7, v9, v7
	v_mul_f32_e32 v9, v9, v10
	v_bfe_u32 v10, v8, 16, 1
	v_add3_u32 v12, v11, v12, 0x7fff
	v_add3_u32 v10, v8, v10, 0x7fff
	s_delay_alu instid0(VALU_DEP_2) | instskip(SKIP_1) | instid1(VALU_DEP_3)
	v_and_b32_e32 v12, 0xffff0000, v12
	v_cmp_o_f32_e32 vcc_lo, v11, v11
	v_and_b32_e32 v10, 0xffff0000, v10
	v_bfe_u32 v13, v7, 16, 1
	s_delay_alu instid0(VALU_DEP_4) | instskip(NEXT) | instid1(VALU_DEP_3)
	v_cndmask_b32_e32 v12, 0x7fc00000, v12, vcc_lo
	v_cndmask_b32_e64 v10, 0x7fc00000, v10, s2
	s_delay_alu instid0(VALU_DEP_3) | instskip(SKIP_1) | instid1(VALU_DEP_2)
	v_add3_u32 v13, v7, v13, 0x7fff
	v_cmp_o_f32_e64 s2, v7, v7
	v_and_b32_e32 v8, 0xffff0000, v13
	v_bfe_u32 v14, v9, 16, 1
	v_cmp_o_f32_e32 vcc_lo, v9, v9
	s_delay_alu instid0(VALU_DEP_3) | instskip(NEXT) | instid1(VALU_DEP_3)
	v_cndmask_b32_e64 v7, 0x7fc00000, v8, s2
	v_add3_u32 v14, v9, v14, 0x7fff
	s_delay_alu instid0(VALU_DEP_2) | instskip(NEXT) | instid1(VALU_DEP_2)
	v_sub_f32_e32 v7, v12, v7
	v_and_b32_e32 v11, 0xffff0000, v14
	s_delay_alu instid0(VALU_DEP_2) | instskip(NEXT) | instid1(VALU_DEP_2)
	v_bfe_u32 v9, v7, 16, 1
	v_cndmask_b32_e32 v8, 0x7fc00000, v11, vcc_lo
	v_cmp_o_f32_e64 s2, v7, v7
	s_delay_alu instid0(VALU_DEP_3) | instskip(NEXT) | instid1(VALU_DEP_3)
	v_add3_u32 v9, v7, v9, 0x7fff
	v_add_f32_e32 v8, v10, v8
	s_delay_alu instid0(VALU_DEP_2) | instskip(NEXT) | instid1(VALU_DEP_2)
	v_lshrrev_b32_e32 v9, 16, v9
	v_bfe_u32 v10, v8, 16, 1
	v_cmp_o_f32_e32 vcc_lo, v8, v8
	s_delay_alu instid0(VALU_DEP_3) | instskip(NEXT) | instid1(VALU_DEP_3)
	v_cndmask_b32_e64 v7, 0x7fc0, v9, s2
	v_add3_u32 v10, v8, v10, 0x7fff
	s_delay_alu instid0(VALU_DEP_1) | instskip(NEXT) | instid1(VALU_DEP_1)
	v_lshrrev_b32_e32 v10, 16, v10
	v_cndmask_b32_e32 v8, 0x7fc0, v10, vcc_lo
	v_cmp_le_i32_e32 vcc_lo, s3, v2
	s_delay_alu instid0(VALU_DEP_2)
	v_perm_b32 v7, v8, v7, 0x5040100
	s_or_b32 s34, vcc_lo, s34
	global_store_b32 v[5:6], v7, off
	s_and_not1_b32 exec_lo, exec_lo, s34
	s_cbranch_execnz .LBB103_3
.LBB103_4:
	s_or_b32 exec_lo, exec_lo, s17
	s_load_b128 s[4:7], s[0:1], 0x68
	s_waitcnt lgkmcnt(0)
	s_ashr_i32 s3, s7, 31
	s_mov_b32 s2, s7
	s_delay_alu instid0(SALU_CYCLE_1) | instskip(SKIP_1) | instid1(SALU_CYCLE_1)
	s_or_b64 s[24:25], s[28:29], s[2:3]
	s_mov_b32 s24, 0
	s_cmp_lg_u64 s[24:25], 0
	s_cbranch_scc0 .LBB103_68
; %bb.5:
	s_add_u32 s34, s2, s3
	s_mov_b32 s22, s3
	s_mov_b32 s23, s3
	s_addc_u32 s35, s3, s3
	s_delay_alu instid0(SALU_CYCLE_1) | instskip(NEXT) | instid1(SALU_CYCLE_1)
	s_xor_b64 s[34:35], s[34:35], s[22:23]
	v_cvt_f32_u32_e32 v1, s34
	v_cvt_f32_u32_e32 v2, s35
	s_sub_u32 s21, 0, s34
	s_subb_u32 s25, 0, s35
	s_delay_alu instid0(VALU_DEP_1) | instskip(NEXT) | instid1(VALU_DEP_1)
	v_fmamk_f32 v1, v2, 0x4f800000, v1
	v_rcp_f32_e32 v1, v1
	s_waitcnt_depctr 0xfff
	v_mul_f32_e32 v1, 0x5f7ffffc, v1
	s_delay_alu instid0(VALU_DEP_1) | instskip(NEXT) | instid1(VALU_DEP_1)
	v_mul_f32_e32 v2, 0x2f800000, v1
	v_trunc_f32_e32 v2, v2
	s_delay_alu instid0(VALU_DEP_1) | instskip(SKIP_1) | instid1(VALU_DEP_2)
	v_fmamk_f32 v1, v2, 0xcf800000, v1
	v_cvt_u32_f32_e32 v2, v2
	v_cvt_u32_f32_e32 v1, v1
	s_delay_alu instid0(VALU_DEP_2) | instskip(NEXT) | instid1(VALU_DEP_2)
	v_readfirstlane_b32 s7, v2
	v_readfirstlane_b32 s17, v1
	s_delay_alu instid0(VALU_DEP_2) | instskip(NEXT) | instid1(VALU_DEP_1)
	s_mul_i32 s33, s21, s7
	s_mul_hi_u32 s37, s21, s17
	s_mul_i32 s36, s25, s17
	s_add_i32 s33, s37, s33
	s_mul_i32 s38, s21, s17
	s_add_i32 s33, s33, s36
	s_mul_hi_u32 s37, s17, s38
	s_mul_hi_u32 s39, s7, s38
	s_mul_i32 s36, s7, s38
	s_mul_hi_u32 s38, s17, s33
	s_mul_i32 s17, s17, s33
	s_mul_hi_u32 s40, s7, s33
	s_add_u32 s17, s37, s17
	s_addc_u32 s37, 0, s38
	s_add_u32 s17, s17, s36
	s_mul_i32 s33, s7, s33
	s_addc_u32 s17, s37, s39
	s_addc_u32 s36, s40, 0
	s_add_u32 s17, s17, s33
	s_addc_u32 s33, 0, s36
	v_add_co_u32 v1, s17, v1, s17
	s_delay_alu instid0(VALU_DEP_1) | instskip(SKIP_1) | instid1(VALU_DEP_1)
	s_cmp_lg_u32 s17, 0
	s_addc_u32 s7, s7, s33
	v_readfirstlane_b32 s17, v1
	s_mul_i32 s33, s21, s7
	s_delay_alu instid0(VALU_DEP_1)
	s_mul_hi_u32 s36, s21, s17
	s_mul_i32 s25, s25, s17
	s_add_i32 s33, s36, s33
	s_mul_i32 s21, s21, s17
	s_add_i32 s33, s33, s25
	s_mul_hi_u32 s36, s7, s21
	s_mul_i32 s37, s7, s21
	s_mul_hi_u32 s21, s17, s21
	s_mul_hi_u32 s38, s17, s33
	s_mul_i32 s17, s17, s33
	s_mul_hi_u32 s25, s7, s33
	s_add_u32 s17, s21, s17
	s_addc_u32 s21, 0, s38
	s_add_u32 s17, s17, s37
	s_mul_i32 s33, s7, s33
	s_addc_u32 s17, s21, s36
	s_addc_u32 s21, s25, 0
	s_add_u32 s17, s17, s33
	s_addc_u32 s21, 0, s21
	v_add_co_u32 v1, s17, v1, s17
	s_delay_alu instid0(VALU_DEP_1) | instskip(SKIP_2) | instid1(VALU_DEP_1)
	s_cmp_lg_u32 s17, 0
	s_addc_u32 s7, s7, s21
	s_ashr_i32 s36, s29, 31
	v_readfirstlane_b32 s17, v1
	s_add_u32 s38, s28, s36
	s_mov_b32 s37, s36
	s_addc_u32 s39, s29, s36
	s_delay_alu instid0(SALU_CYCLE_1) | instskip(NEXT) | instid1(SALU_CYCLE_1)
	s_xor_b64 s[38:39], s[38:39], s[36:37]
	s_mul_i32 s25, s38, s7
	s_mul_hi_u32 s33, s38, s17
	s_mul_hi_u32 s21, s38, s7
	;; [unrolled: 1-line block ×3, first 2 shown]
	s_mul_i32 s17, s39, s17
	s_add_u32 s25, s33, s25
	s_addc_u32 s21, 0, s21
	s_mul_hi_u32 s40, s39, s7
	s_add_u32 s17, s25, s17
	s_mul_i32 s7, s39, s7
	s_addc_u32 s17, s21, s41
	s_addc_u32 s21, s40, 0
	s_add_u32 s7, s17, s7
	s_addc_u32 s17, 0, s21
	s_mul_hi_u32 s21, s34, s7
	s_mul_i32 s33, s34, s17
	s_mul_i32 s40, s34, s7
	s_add_i32 s21, s21, s33
	v_sub_co_u32 v1, s33, s38, s40
	s_mul_i32 s25, s35, s7
	s_delay_alu instid0(SALU_CYCLE_1) | instskip(NEXT) | instid1(VALU_DEP_1)
	s_add_i32 s21, s21, s25
	v_sub_co_u32 v2, s38, v1, s34
	s_sub_i32 s25, s39, s21
	s_cmp_lg_u32 s33, 0
	s_subb_u32 s25, s25, s35
	s_cmp_lg_u32 s38, 0
	v_readfirstlane_b32 s38, v2
	s_subb_u32 s25, s25, 0
	s_delay_alu instid0(SALU_CYCLE_1) | instskip(SKIP_1) | instid1(VALU_DEP_1)
	s_cmp_ge_u32 s25, s35
	s_cselect_b32 s40, -1, 0
	s_cmp_ge_u32 s38, s34
	s_cselect_b32 s38, -1, 0
	s_cmp_eq_u32 s25, s35
	s_cselect_b32 s25, s38, s40
	s_add_u32 s38, s7, 1
	s_addc_u32 s40, s17, 0
	s_add_u32 s41, s7, 2
	s_addc_u32 s42, s17, 0
	s_cmp_lg_u32 s25, 0
	s_cselect_b32 s25, s41, s38
	s_cselect_b32 s38, s42, s40
	s_cmp_lg_u32 s33, 0
	v_readfirstlane_b32 s33, v1
	s_subb_u32 s21, s39, s21
	s_delay_alu instid0(SALU_CYCLE_1) | instskip(SKIP_1) | instid1(VALU_DEP_1)
	s_cmp_ge_u32 s21, s35
	s_cselect_b32 s39, -1, 0
	s_cmp_ge_u32 s33, s34
	s_cselect_b32 s33, -1, 0
	s_cmp_eq_u32 s21, s35
	s_cselect_b32 s21, s33, s39
	s_delay_alu instid0(SALU_CYCLE_1) | instskip(SKIP_3) | instid1(SALU_CYCLE_1)
	s_cmp_lg_u32 s21, 0
	s_cselect_b32 s35, s38, s17
	s_cselect_b32 s34, s25, s7
	s_xor_b64 s[22:23], s[36:37], s[22:23]
	s_xor_b64 s[34:35], s[34:35], s[22:23]
	s_delay_alu instid0(SALU_CYCLE_1)
	s_sub_u32 s22, s34, s22
	s_subb_u32 s23, s35, s23
	s_and_not1_b32 vcc_lo, exec_lo, s24
	s_cbranch_vccnz .LBB103_7
.LBB103_6:
	v_cvt_f32_u32_e32 v1, s2
	s_sub_i32 s17, 0, s2
	s_mov_b32 s23, 0
	s_delay_alu instid0(VALU_DEP_1) | instskip(SKIP_2) | instid1(VALU_DEP_1)
	v_rcp_iflag_f32_e32 v1, v1
	s_waitcnt_depctr 0xfff
	v_mul_f32_e32 v1, 0x4f7ffffe, v1
	v_cvt_u32_f32_e32 v1, v1
	s_delay_alu instid0(VALU_DEP_1) | instskip(NEXT) | instid1(VALU_DEP_1)
	v_readfirstlane_b32 s7, v1
	s_mul_i32 s17, s17, s7
	s_delay_alu instid0(SALU_CYCLE_1) | instskip(NEXT) | instid1(SALU_CYCLE_1)
	s_mul_hi_u32 s17, s7, s17
	s_add_i32 s7, s7, s17
	s_delay_alu instid0(SALU_CYCLE_1) | instskip(NEXT) | instid1(SALU_CYCLE_1)
	s_mul_hi_u32 s7, s28, s7
	s_mul_i32 s17, s7, s2
	s_add_i32 s21, s7, 1
	s_sub_i32 s17, s28, s17
	s_delay_alu instid0(SALU_CYCLE_1)
	s_sub_i32 s22, s17, s2
	s_cmp_ge_u32 s17, s2
	s_cselect_b32 s7, s21, s7
	s_cselect_b32 s17, s22, s17
	s_add_i32 s21, s7, 1
	s_cmp_ge_u32 s17, s2
	s_cselect_b32 s22, s21, s7
.LBB103_7:
	s_load_b64 s[24:25], s[0:1], 0x78
	s_mul_i32 s3, s22, s3
	s_mul_hi_u32 s7, s22, s2
	s_mul_i32 s33, s22, s4
	s_add_i32 s3, s7, s3
	s_mul_i32 s7, s23, s2
	s_mul_i32 s2, s22, s2
	s_add_i32 s7, s3, s7
	s_sub_u32 s3, s28, s2
	s_subb_u32 s7, s29, s7
	s_mul_hi_u32 s28, s22, s4
	s_mul_i32 s29, s23, s4
	s_mul_hi_u32 s23, s3, s5
	s_mul_i32 s7, s7, s5
	s_mul_i32 s17, s3, s5
	s_mov_b32 s34, exec_lo
	v_cmpx_gt_i32_e64 s20, v0
	s_cbranch_execz .LBB103_46
; %bb.8:
	s_load_b32 s2, s[0:1], 0x8c
	s_ashr_i32 s38, s4, 31
	s_ashr_i32 s39, s5, 31
	s_lshl_b64 s[36:37], s[30:31], 2
	s_mul_i32 s30, s22, s38
	s_mul_i32 s38, s3, s39
	s_add_i32 s30, s28, s30
	s_add_i32 s38, s23, s38
	v_dual_mov_b32 v4, 0 :: v_dual_lshlrev_b32 v1, 2, v0
	s_ashr_i32 s21, s20, 31
	s_ashr_i32 s40, s6, 31
	s_mul_i32 s9, s9, s16
	s_mul_hi_u32 s31, s8, s16
	s_add_i32 s39, s30, s29
	s_add_i32 s38, s38, s7
	s_mul_i32 s8, s8, s16
	s_waitcnt lgkmcnt(0)
	s_load_b32 s35, s[24:25], 0x0
	v_mov_b32_e32 v15, v0
	s_and_b32 s30, s2, 0xffff
	s_add_u32 s2, s26, s36
	s_addc_u32 s27, s27, s37
	s_add_i32 s9, s31, s9
	v_add_co_u32 v9, s2, s2, v1
	s_lshl_b64 s[8:9], s[8:9], 1
	s_lshl_b32 s26, s30, 2
	s_lshl_b64 s[36:37], s[20:21], 2
	v_add_co_ci_u32_e64 v10, null, s27, 0, s2
	s_add_u32 s2, s12, s8
	s_addc_u32 s8, s13, s9
	s_add_u32 s9, s33, s17
	s_addc_u32 s12, s39, s38
	;; [unrolled: 2-line block ×4, first 2 shown]
	v_add_co_u32 v2, s9, s9, v3
	v_add_co_u32 v11, vcc_lo, v9, s36
	v_add_co_ci_u32_e64 v3, null, s12, 0, s9
	v_add_co_ci_u32_e32 v12, vcc_lo, s37, v10, vcc_lo
	v_add_co_u32 v13, s2, s2, v1
	v_add_co_u32 v1, vcc_lo, v2, 1
	v_add_co_ci_u32_e64 v14, null, s8, 0, s2
	v_add_co_ci_u32_e32 v2, vcc_lo, 0, v3, vcc_lo
	s_mov_b32 s12, 0
	s_lshl_b32 s13, s30, 1
	s_mov_b64 s[8:9], 0
	s_branch .LBB103_10
.LBB103_9:                              ;   in Loop: Header=BB103_10 Depth=1
	s_or_b32 exec_lo, exec_lo, s2
	v_add_nc_u32_e32 v15, s30, v15
	global_store_b8 v[1:2], v7, off
	v_add_co_u32 v1, s2, v1, s13
	s_delay_alu instid0(VALU_DEP_1) | instskip(SKIP_4) | instid1(SALU_CYCLE_1)
	v_add_co_ci_u32_e64 v2, s2, 0, v2, s2
	v_cmp_le_i32_e32 vcc_lo, s20, v15
	s_add_u32 s8, s8, s26
	s_addc_u32 s9, s9, 0
	s_or_b32 s12, vcc_lo, s12
	s_and_not1_b32 exec_lo, exec_lo, s12
	s_cbranch_execz .LBB103_46
.LBB103_10:                             ; =>This Inner Loop Header: Depth=1
	v_add_co_u32 v5, vcc_lo, v9, s8
	v_add_co_ci_u32_e32 v6, vcc_lo, s9, v10, vcc_lo
	v_add_co_u32 v7, vcc_lo, v11, s8
	v_add_co_ci_u32_e32 v8, vcc_lo, s9, v12, vcc_lo
	v_add_co_u32 v18, vcc_lo, v13, s8
	s_clause 0x1
	global_load_b32 v3, v[5:6], off
	global_load_b32 v5, v[7:8], off
	v_add_co_ci_u32_e32 v19, vcc_lo, s9, v14, vcc_lo
	global_load_b32 v6, v[18:19], off
	s_waitcnt vmcnt(2)
	v_bfe_u32 v7, v3, 16, 1
	s_waitcnt vmcnt(1)
	v_bfe_u32 v8, v5, 16, 1
	v_cmp_o_f32_e32 vcc_lo, v3, v3
	s_delay_alu instid0(VALU_DEP_3) | instskip(NEXT) | instid1(VALU_DEP_3)
	v_add3_u32 v7, v3, v7, 0x7fff
	v_add3_u32 v8, v5, v8, 0x7fff
	s_waitcnt vmcnt(0)
	v_lshlrev_b32_e32 v16, 16, v6
	v_and_b32_e32 v6, 0xffff0000, v6
	v_and_b32_e32 v7, 0xffff0000, v7
	s_delay_alu instid0(VALU_DEP_1) | instskip(SKIP_1) | instid1(VALU_DEP_2)
	v_cndmask_b32_e32 v3, 0x7fc00000, v7, vcc_lo
	v_cmp_o_f32_e32 vcc_lo, v5, v5
	v_mul_f32_e32 v7, v3, v16
	v_dual_mul_f32 v3, v3, v6 :: v_dual_and_b32 v8, 0xffff0000, v8
	s_delay_alu instid0(VALU_DEP_2) | instskip(NEXT) | instid1(VALU_DEP_2)
	v_bfe_u32 v17, v7, 16, 1
	v_cndmask_b32_e32 v5, 0x7fc00000, v8, vcc_lo
	s_delay_alu instid0(VALU_DEP_3) | instskip(SKIP_1) | instid1(VALU_DEP_4)
	v_cmp_o_f32_e64 s2, v3, v3
	v_cmp_o_f32_e32 vcc_lo, v7, v7
	v_add3_u32 v17, v7, v17, 0x7fff
	s_delay_alu instid0(VALU_DEP_4) | instskip(SKIP_1) | instid1(VALU_DEP_3)
	v_mul_f32_e32 v8, v5, v6
	v_bfe_u32 v6, v3, 16, 1
	v_and_b32_e32 v17, 0xffff0000, v17
	s_delay_alu instid0(VALU_DEP_3) | instskip(NEXT) | instid1(VALU_DEP_3)
	v_bfe_u32 v20, v8, 16, 1
	v_add3_u32 v6, v3, v6, 0x7fff
	v_mul_f32_e32 v5, v5, v16
	s_delay_alu instid0(VALU_DEP_4) | instskip(NEXT) | instid1(VALU_DEP_4)
	v_cndmask_b32_e32 v7, 0x7fc00000, v17, vcc_lo
	v_add3_u32 v20, v8, v20, 0x7fff
	s_delay_alu instid0(VALU_DEP_4) | instskip(NEXT) | instid1(VALU_DEP_4)
	v_and_b32_e32 v6, 0xffff0000, v6
	v_bfe_u32 v21, v5, 16, 1
	v_cmp_o_f32_e32 vcc_lo, v8, v8
	s_delay_alu instid0(VALU_DEP_3) | instskip(NEXT) | instid1(VALU_DEP_3)
	v_cndmask_b32_e64 v3, 0x7fc00000, v6, s2
	v_add3_u32 v21, v5, v21, 0x7fff
	v_cmp_o_f32_e64 s2, v5, v5
	s_delay_alu instid0(VALU_DEP_2) | instskip(NEXT) | instid1(VALU_DEP_1)
	v_and_b32_e32 v21, 0xffff0000, v21
	v_cndmask_b32_e64 v5, 0x7fc00000, v21, s2
	v_dual_mov_b32 v21, v4 :: v_dual_and_b32 v20, 0xffff0000, v20
	s_mov_b32 s2, exec_lo
	s_delay_alu instid0(VALU_DEP_1) | instskip(NEXT) | instid1(VALU_DEP_1)
	v_dual_add_f32 v3, v3, v5 :: v_dual_cndmask_b32 v8, 0x7fc00000, v20
	v_sub_f32_e32 v7, v7, v8
	s_delay_alu instid0(VALU_DEP_1) | instskip(SKIP_1) | instid1(VALU_DEP_2)
	v_bfe_u32 v8, v7, 16, 1
	v_cmp_o_f32_e32 vcc_lo, v7, v7
	v_add3_u32 v8, v7, v8, 0x7fff
	s_delay_alu instid0(VALU_DEP_1) | instskip(NEXT) | instid1(VALU_DEP_1)
	v_lshrrev_b32_e32 v8, 16, v8
	v_cndmask_b32_e32 v8, 0x7fc0, v8, vcc_lo
	s_delay_alu instid0(VALU_DEP_1) | instskip(SKIP_1) | instid1(VALU_DEP_1)
	v_lshlrev_b32_e32 v7, 16, v8
	s_waitcnt lgkmcnt(0)
	v_div_scale_f32 v17, null, s35, s35, v7
	s_delay_alu instid0(VALU_DEP_1) | instskip(SKIP_2) | instid1(VALU_DEP_1)
	v_rcp_f32_e32 v20, v17
	s_waitcnt_depctr 0xfff
	v_fma_f32 v16, -v17, v20, 1.0
	v_fmac_f32_e32 v20, v16, v20
	v_div_scale_f32 v16, vcc_lo, v7, s35, v7
	s_delay_alu instid0(VALU_DEP_1) | instskip(NEXT) | instid1(VALU_DEP_1)
	v_mul_f32_e32 v22, v16, v20
	v_fma_f32 v6, -v17, v22, v16
	s_delay_alu instid0(VALU_DEP_1) | instskip(SKIP_1) | instid1(VALU_DEP_2)
	v_fmac_f32_e32 v22, v6, v20
	v_bfe_u32 v6, v3, 16, 1
	v_fma_f32 v5, -v17, v22, v16
	s_delay_alu instid0(VALU_DEP_2) | instskip(NEXT) | instid1(VALU_DEP_2)
	v_add3_u32 v6, v3, v6, 0x7fff
	v_div_fmas_f32 v5, v5, v20, v22
	s_delay_alu instid0(VALU_DEP_2) | instskip(SKIP_1) | instid1(VALU_DEP_3)
	v_lshrrev_b32_e32 v6, 16, v6
	v_cmp_o_f32_e32 vcc_lo, v3, v3
	v_div_fixup_f32 v5, v5, s35, v7
	s_delay_alu instid0(VALU_DEP_3) | instskip(NEXT) | instid1(VALU_DEP_2)
	v_cndmask_b32_e32 v3, 0x7fc0, v6, vcc_lo
	v_and_b32_e32 v20, 0x7f800000, v5
	v_lshrrev_b32_e32 v7, 24, v5
	s_delay_alu instid0(VALU_DEP_3) | instskip(SKIP_1) | instid1(VALU_DEP_3)
	v_perm_b32 v16, v3, v8, 0x5040100
	v_and_b32_e32 v3, 0x7fffff, v5
	v_and_b32_e32 v17, 0x80, v7
	global_store_b32 v[18:19], v16, off
	v_or_b32_e32 v6, 0x7e, v17
	v_cmpx_ne_u64_e32 0x7f800000, v[20:21]
	s_xor_b32 s21, exec_lo, s2
	s_cbranch_execz .LBB103_26
; %bb.11:                               ;   in Loop: Header=BB103_10 Depth=1
	v_dual_mov_b32 v8, v4 :: v_dual_and_b32 v7, 0x7fffffff, v5
	s_mov_b32 s2, exec_lo
	s_delay_alu instid0(VALU_DEP_1)
	v_cmpx_gt_u64_e32 0x43e00001, v[7:8]
	s_xor_b32 s27, exec_lo, s2
	s_cbranch_execz .LBB103_25
; %bb.12:                               ;   in Loop: Header=BB103_10 Depth=1
	v_mov_b32_e32 v6, 0
	s_mov_b32 s31, exec_lo
	v_cmpx_ne_u32_e32 0, v5
	s_cbranch_execz .LBB103_24
; %bb.13:                               ;   in Loop: Header=BB103_10 Depth=1
	v_bfe_u32 v18, v5, 23, 8
	v_or_b32_e32 v7, 0x800000, v3
	s_delay_alu instid0(VALU_DEP_2) | instskip(SKIP_1) | instid1(VALU_DEP_2)
	v_sub_nc_u32_e32 v5, 0x79, v18
	v_cmp_gt_u32_e32 vcc_lo, 0x7a, v18
	v_cndmask_b32_e32 v5, 0, v5, vcc_lo
	v_cmp_eq_u32_e32 vcc_lo, 0, v18
	s_delay_alu instid0(VALU_DEP_2) | instskip(SKIP_1) | instid1(VALU_DEP_2)
	v_cndmask_b32_e64 v19, v5, 0x78, vcc_lo
	v_cndmask_b32_e32 v3, v7, v3, vcc_lo
	v_add_nc_u32_e32 v5, 20, v19
	v_add_nc_u32_e32 v7, 19, v19
	s_delay_alu instid0(VALU_DEP_2) | instskip(NEXT) | instid1(VALU_DEP_2)
	v_lshlrev_b64 v[5:6], v5, -1
	v_lshlrev_b64 v[7:8], v7, 1
	s_delay_alu instid0(VALU_DEP_2) | instskip(NEXT) | instid1(VALU_DEP_3)
	v_not_b32_e32 v6, v6
	v_not_b32_e32 v5, v5
	s_delay_alu instid0(VALU_DEP_2) | instskip(NEXT) | instid1(VALU_DEP_2)
	v_and_b32_e32 v21, 0, v6
	v_and_b32_e32 v20, v3, v5
	v_lshrrev_b64 v[5:6], v19, v[3:4]
	s_delay_alu instid0(VALU_DEP_2) | instskip(NEXT) | instid1(VALU_DEP_2)
	v_cmp_eq_u64_e64 s2, v[20:21], v[7:8]
	v_dual_mov_b32 v8, v6 :: v_dual_mov_b32 v7, v5
	s_delay_alu instid0(VALU_DEP_2)
	s_and_saveexec_b32 s36, s2
; %bb.14:                               ;   in Loop: Header=BB103_10 Depth=1
	v_bfe_u32 v3, v5, 20, 1
	s_delay_alu instid0(VALU_DEP_1) | instskip(NEXT) | instid1(VALU_DEP_1)
	v_add_co_u32 v3, s2, v5, v3
	v_add_co_u32 v7, s2, v3, -1
; %bb.15:                               ;   in Loop: Header=BB103_10 Depth=1
	s_or_b32 exec_lo, exec_lo, s36
	v_add_nc_u32_e32 v3, 0xffffff81, v18
	v_lshrrev_b32_e32 v8, 23, v5
	s_mov_b32 s2, exec_lo
	s_delay_alu instid0(VALU_DEP_2) | instskip(NEXT) | instid1(VALU_DEP_1)
	v_cndmask_b32_e64 v3, v3, 0xffffff82, vcc_lo
	v_add3_u32 v8, v19, v3, v8
	v_and_b32_e32 v3, 0xfffff, v7
	s_delay_alu instid0(VALU_DEP_2) | instskip(NEXT) | instid1(VALU_DEP_2)
	v_add_nc_u32_e32 v7, 6, v8
	v_add_co_u32 v5, vcc_lo, v3, v5
	v_add_co_ci_u32_e32 v6, vcc_lo, 0, v6, vcc_lo
                                        ; implicit-def: $vgpr3
	s_delay_alu instid0(VALU_DEP_3)
	v_cmpx_ne_u32_e32 0, v7
	s_xor_b32 s2, exec_lo, s2
; %bb.16:                               ;   in Loop: Header=BB103_10 Depth=1
	s_delay_alu instid0(VALU_DEP_2) | instskip(SKIP_1) | instid1(VALU_DEP_1)
	v_cmp_lt_u64_e32 vcc_lo, 0xffffff, v[5:6]
	v_add_nc_u32_e32 v3, 7, v8
	v_cndmask_b32_e32 v3, v7, v3, vcc_lo
	v_cndmask_b32_e64 v7, 0, 1, vcc_lo
	s_delay_alu instid0(VALU_DEP_1)
	v_lshrrev_b64 v[5:6], v7, v[5:6]
; %bb.17:                               ;   in Loop: Header=BB103_10 Depth=1
	s_and_not1_saveexec_b32 s2, s2
; %bb.18:                               ;   in Loop: Header=BB103_10 Depth=1
	s_delay_alu instid0(VALU_DEP_1)
	v_bfe_u32 v3, v5, 23, 1
; %bb.19:                               ;   in Loop: Header=BB103_10 Depth=1
	s_or_b32 exec_lo, exec_lo, s2
	s_delay_alu instid0(VALU_DEP_2) | instskip(NEXT) | instid1(VALU_DEP_2)
	v_lshrrev_b64 v[5:6], 20, v[5:6]
	v_cmp_gt_i32_e32 vcc_lo, 16, v3
	v_cmp_ne_u32_e64 s2, 0, v3
	s_delay_alu instid0(VALU_DEP_3) | instskip(NEXT) | instid1(VALU_DEP_1)
	v_dual_cndmask_b32 v6, 0, v6 :: v_dual_cndmask_b32 v5, 7, v5
	v_cmp_ne_u64_e32 vcc_lo, 0, v[5:6]
                                        ; implicit-def: $vgpr6
	s_delay_alu instid0(VALU_DEP_3) | instskip(NEXT) | instid1(SALU_CYCLE_1)
	s_or_b32 s2, s2, vcc_lo
	s_and_saveexec_b32 s36, s2
	s_delay_alu instid0(SALU_CYCLE_1)
	s_xor_b32 s2, exec_lo, s36
; %bb.20:                               ;   in Loop: Header=BB103_10 Depth=1
	v_min_i32_e32 v3, 15, v3
	s_delay_alu instid0(VALU_DEP_1) | instskip(NEXT) | instid1(VALU_DEP_1)
	v_lshl_or_b32 v3, v3, 3, v17
                                        ; implicit-def: $vgpr17
	v_and_or_b32 v6, v5, 7, v3
; %bb.21:                               ;   in Loop: Header=BB103_10 Depth=1
	s_and_not1_saveexec_b32 s2, s2
; %bb.22:                               ;   in Loop: Header=BB103_10 Depth=1
	v_mov_b32_e32 v6, v17
; %bb.23:                               ;   in Loop: Header=BB103_10 Depth=1
	s_or_b32 exec_lo, exec_lo, s2
.LBB103_24:                             ;   in Loop: Header=BB103_10 Depth=1
	s_delay_alu instid0(SALU_CYCLE_1)
	s_or_b32 exec_lo, exec_lo, s31
.LBB103_25:                             ;   in Loop: Header=BB103_10 Depth=1
	s_and_not1_saveexec_b32 s2, s27
	s_delay_alu instid0(SALU_CYCLE_1)
	s_or_b32 exec_lo, exec_lo, s2
                                        ; implicit-def: $vgpr7
.LBB103_26:                             ;   in Loop: Header=BB103_10 Depth=1
	s_and_not1_saveexec_b32 s2, s21
; %bb.27:                               ;   in Loop: Header=BB103_10 Depth=1
	v_cmp_eq_u64_e32 vcc_lo, 0, v[3:4]
	v_or_b32_e32 v5, 0x7f, v7
	s_delay_alu instid0(VALU_DEP_1)
	v_cndmask_b32_e32 v6, v5, v6, vcc_lo
; %bb.28:                               ;   in Loop: Header=BB103_10 Depth=1
	s_or_b32 exec_lo, exec_lo, s2
	v_and_b32_e32 v3, 0xffff0000, v16
	global_store_b8 v[1:2], v6, off offset:-1
	s_mov_b32 s2, exec_lo
	v_div_scale_f32 v5, null, s35, s35, v3
	s_delay_alu instid0(VALU_DEP_1) | instskip(SKIP_2) | instid1(VALU_DEP_1)
	v_rcp_f32_e32 v7, v5
	s_waitcnt_depctr 0xfff
	v_fma_f32 v8, -v5, v7, 1.0
	v_fmac_f32_e32 v7, v8, v7
	v_div_scale_f32 v8, vcc_lo, v3, s35, v3
	s_delay_alu instid0(VALU_DEP_1) | instskip(NEXT) | instid1(VALU_DEP_1)
	v_mul_f32_e32 v16, v8, v7
	v_fma_f32 v17, -v5, v16, v8
	s_delay_alu instid0(VALU_DEP_1) | instskip(NEXT) | instid1(VALU_DEP_1)
	v_fmac_f32_e32 v16, v17, v7
	v_fma_f32 v5, -v5, v16, v8
	s_delay_alu instid0(VALU_DEP_1) | instskip(NEXT) | instid1(VALU_DEP_1)
	v_div_fmas_f32 v5, v5, v7, v16
	v_div_fixup_f32 v5, v5, s35, v3
	s_delay_alu instid0(VALU_DEP_1) | instskip(SKIP_2) | instid1(VALU_DEP_2)
	v_dual_mov_b32 v18, v4 :: v_dual_and_b32 v3, 0x7fffff, v5
	v_lshrrev_b32_e32 v8, 24, v5
	v_and_b32_e32 v17, 0x7f800000, v5
	v_and_b32_e32 v16, 0x80, v8
	s_delay_alu instid0(VALU_DEP_1) | instskip(NEXT) | instid1(VALU_DEP_3)
	v_or_b32_e32 v7, 0x7e, v16
	v_cmpx_ne_u64_e32 0x7f800000, v[17:18]
	s_xor_b32 s21, exec_lo, s2
	s_cbranch_execz .LBB103_44
; %bb.29:                               ;   in Loop: Header=BB103_10 Depth=1
	v_dual_mov_b32 v18, v4 :: v_dual_and_b32 v17, 0x7fffffff, v5
	s_mov_b32 s2, exec_lo
	s_delay_alu instid0(VALU_DEP_1)
	v_cmpx_gt_u64_e32 0x43e00001, v[17:18]
	s_xor_b32 s27, exec_lo, s2
	s_cbranch_execz .LBB103_43
; %bb.30:                               ;   in Loop: Header=BB103_10 Depth=1
	v_mov_b32_e32 v7, 0
	s_mov_b32 s31, exec_lo
	v_cmpx_ne_u32_e32 0, v5
	s_cbranch_execz .LBB103_42
; %bb.31:                               ;   in Loop: Header=BB103_10 Depth=1
	v_bfe_u32 v17, v5, 23, 8
	v_or_b32_e32 v7, 0x800000, v3
	s_delay_alu instid0(VALU_DEP_2) | instskip(SKIP_1) | instid1(VALU_DEP_2)
	v_sub_nc_u32_e32 v5, 0x79, v17
	v_cmp_gt_u32_e32 vcc_lo, 0x7a, v17
	v_cndmask_b32_e32 v5, 0, v5, vcc_lo
	v_cmp_eq_u32_e32 vcc_lo, 0, v17
	s_delay_alu instid0(VALU_DEP_2) | instskip(SKIP_1) | instid1(VALU_DEP_2)
	v_cndmask_b32_e64 v18, v5, 0x78, vcc_lo
	v_cndmask_b32_e32 v3, v7, v3, vcc_lo
	v_add_nc_u32_e32 v5, 20, v18
	v_add_nc_u32_e32 v7, 19, v18
	s_delay_alu instid0(VALU_DEP_2) | instskip(NEXT) | instid1(VALU_DEP_2)
	v_lshlrev_b64 v[5:6], v5, -1
	v_lshlrev_b64 v[7:8], v7, 1
	s_delay_alu instid0(VALU_DEP_2) | instskip(NEXT) | instid1(VALU_DEP_3)
	v_not_b32_e32 v6, v6
	v_not_b32_e32 v5, v5
	s_delay_alu instid0(VALU_DEP_2) | instskip(NEXT) | instid1(VALU_DEP_2)
	v_and_b32_e32 v20, 0, v6
	v_and_b32_e32 v19, v3, v5
	v_lshrrev_b64 v[5:6], v18, v[3:4]
	s_delay_alu instid0(VALU_DEP_2) | instskip(NEXT) | instid1(VALU_DEP_2)
	v_cmp_eq_u64_e64 s2, v[19:20], v[7:8]
	v_dual_mov_b32 v8, v6 :: v_dual_mov_b32 v7, v5
	s_delay_alu instid0(VALU_DEP_2)
	s_and_saveexec_b32 s36, s2
; %bb.32:                               ;   in Loop: Header=BB103_10 Depth=1
	v_bfe_u32 v3, v5, 20, 1
	s_delay_alu instid0(VALU_DEP_1) | instskip(NEXT) | instid1(VALU_DEP_1)
	v_add_co_u32 v3, s2, v5, v3
	v_add_co_u32 v7, s2, v3, -1
; %bb.33:                               ;   in Loop: Header=BB103_10 Depth=1
	s_or_b32 exec_lo, exec_lo, s36
	v_add_nc_u32_e32 v3, 0xffffff81, v17
	v_lshrrev_b32_e32 v8, 23, v5
	s_mov_b32 s2, exec_lo
	s_delay_alu instid0(VALU_DEP_2) | instskip(NEXT) | instid1(VALU_DEP_1)
	v_cndmask_b32_e64 v3, v3, 0xffffff82, vcc_lo
	v_add3_u32 v8, v18, v3, v8
	v_and_b32_e32 v3, 0xfffff, v7
	s_delay_alu instid0(VALU_DEP_2) | instskip(NEXT) | instid1(VALU_DEP_2)
	v_add_nc_u32_e32 v7, 6, v8
	v_add_co_u32 v5, vcc_lo, v3, v5
	v_add_co_ci_u32_e32 v6, vcc_lo, 0, v6, vcc_lo
                                        ; implicit-def: $vgpr3
	s_delay_alu instid0(VALU_DEP_3)
	v_cmpx_ne_u32_e32 0, v7
	s_xor_b32 s2, exec_lo, s2
; %bb.34:                               ;   in Loop: Header=BB103_10 Depth=1
	s_delay_alu instid0(VALU_DEP_2) | instskip(SKIP_1) | instid1(VALU_DEP_1)
	v_cmp_lt_u64_e32 vcc_lo, 0xffffff, v[5:6]
	v_add_nc_u32_e32 v3, 7, v8
	v_cndmask_b32_e32 v3, v7, v3, vcc_lo
	v_cndmask_b32_e64 v7, 0, 1, vcc_lo
	s_delay_alu instid0(VALU_DEP_1)
	v_lshrrev_b64 v[5:6], v7, v[5:6]
; %bb.35:                               ;   in Loop: Header=BB103_10 Depth=1
	s_and_not1_saveexec_b32 s2, s2
; %bb.36:                               ;   in Loop: Header=BB103_10 Depth=1
	s_delay_alu instid0(VALU_DEP_1)
	v_bfe_u32 v3, v5, 23, 1
; %bb.37:                               ;   in Loop: Header=BB103_10 Depth=1
	s_or_b32 exec_lo, exec_lo, s2
	s_delay_alu instid0(VALU_DEP_2) | instskip(NEXT) | instid1(VALU_DEP_2)
	v_lshrrev_b64 v[5:6], 20, v[5:6]
	v_cmp_gt_i32_e32 vcc_lo, 16, v3
	v_cmp_ne_u32_e64 s2, 0, v3
                                        ; implicit-def: $vgpr7
	s_delay_alu instid0(VALU_DEP_3) | instskip(NEXT) | instid1(VALU_DEP_1)
	v_dual_cndmask_b32 v6, 0, v6 :: v_dual_cndmask_b32 v5, 7, v5
	v_cmp_ne_u64_e32 vcc_lo, 0, v[5:6]
	s_delay_alu instid0(VALU_DEP_3) | instskip(NEXT) | instid1(SALU_CYCLE_1)
	s_or_b32 s2, s2, vcc_lo
	s_and_saveexec_b32 s36, s2
	s_delay_alu instid0(SALU_CYCLE_1)
	s_xor_b32 s2, exec_lo, s36
; %bb.38:                               ;   in Loop: Header=BB103_10 Depth=1
	v_min_i32_e32 v3, 15, v3
	s_delay_alu instid0(VALU_DEP_1) | instskip(NEXT) | instid1(VALU_DEP_1)
	v_lshl_or_b32 v3, v3, 3, v16
                                        ; implicit-def: $vgpr16
	v_and_or_b32 v7, v5, 7, v3
; %bb.39:                               ;   in Loop: Header=BB103_10 Depth=1
	s_and_not1_saveexec_b32 s2, s2
; %bb.40:                               ;   in Loop: Header=BB103_10 Depth=1
	v_mov_b32_e32 v7, v16
; %bb.41:                               ;   in Loop: Header=BB103_10 Depth=1
	s_or_b32 exec_lo, exec_lo, s2
.LBB103_42:                             ;   in Loop: Header=BB103_10 Depth=1
	s_delay_alu instid0(SALU_CYCLE_1)
	s_or_b32 exec_lo, exec_lo, s31
.LBB103_43:                             ;   in Loop: Header=BB103_10 Depth=1
	s_and_not1_saveexec_b32 s2, s27
	s_delay_alu instid0(SALU_CYCLE_1)
	s_or_b32 exec_lo, exec_lo, s2
                                        ; implicit-def: $vgpr8
.LBB103_44:                             ;   in Loop: Header=BB103_10 Depth=1
	s_and_not1_saveexec_b32 s2, s21
	s_cbranch_execz .LBB103_9
; %bb.45:                               ;   in Loop: Header=BB103_10 Depth=1
	v_cmp_eq_u64_e32 vcc_lo, 0, v[3:4]
	v_or_b32_e32 v5, 0x7f, v8
	s_delay_alu instid0(VALU_DEP_1)
	v_cndmask_b32_e32 v7, v5, v7, vcc_lo
	s_branch .LBB103_9
.LBB103_46:
	s_or_b32 exec_lo, exec_lo, s34
	s_delay_alu instid0(SALU_CYCLE_1)
	s_mov_b32 s2, exec_lo
	v_cmpx_gt_i32_e64 s6, v0
	s_cbranch_execz .LBB103_67
; %bb.47:
	s_mul_i32 s2, s16, s11
	s_mul_hi_u32 s9, s16, s10
	s_mul_i32 s8, s16, s10
	s_add_i32 s9, s9, s2
	s_load_b32 s0, s[0:1], 0x8c
	s_lshl_b64 s[8:9], s[8:9], 1
	v_mov_b32_e32 v3, 0
	s_add_u32 s1, s14, s8
	s_addc_u32 s2, s15, s9
	s_ashr_i32 s8, s4, 31
	s_waitcnt lgkmcnt(0)
	s_load_b32 s4, s[24:25], 0x0
	s_mul_i32 s8, s22, s8
	s_delay_alu instid0(SALU_CYCLE_1) | instskip(NEXT) | instid1(SALU_CYCLE_1)
	s_add_i32 s8, s28, s8
	s_add_i32 s8, s8, s29
	s_add_u32 s9, s18, s33
	s_addc_u32 s8, s19, s8
	s_ashr_i32 s5, s5, 31
	s_delay_alu instid0(SALU_CYCLE_1) | instskip(NEXT) | instid1(SALU_CYCLE_1)
	s_mul_i32 s3, s3, s5
	s_add_i32 s3, s23, s3
	s_delay_alu instid0(SALU_CYCLE_1)
	s_add_i32 s5, s3, s7
	s_add_u32 s3, s9, s17
	s_addc_u32 s5, s8, s5
	s_and_b32 s7, s0, 0xffff
	s_mov_b32 s8, 0
	s_branch .LBB103_49
.LBB103_48:                             ;   in Loop: Header=BB103_49 Depth=1
	s_or_b32 exec_lo, exec_lo, s0
	v_add_co_u32 v6, vcc_lo, s3, v0
	v_add_nc_u32_e32 v0, s7, v0
	v_add_co_ci_u32_e32 v7, vcc_lo, s5, v1, vcc_lo
	s_delay_alu instid0(VALU_DEP_2) | instskip(SKIP_2) | instid1(SALU_CYCLE_1)
	v_cmp_le_i32_e32 vcc_lo, s6, v0
	global_store_b8 v[6:7], v5, off
	s_or_b32 s8, vcc_lo, s8
	s_and_not1_b32 exec_lo, exec_lo, s8
	s_cbranch_execz .LBB103_67
.LBB103_49:                             ; =>This Inner Loop Header: Depth=1
	v_ashrrev_i32_e32 v1, 31, v0
	s_mov_b32 s0, exec_lo
	v_mov_b32_e32 v10, v3
	s_delay_alu instid0(VALU_DEP_2) | instskip(NEXT) | instid1(VALU_DEP_1)
	v_lshlrev_b64 v[4:5], 1, v[0:1]
	v_add_co_u32 v4, vcc_lo, s1, v4
	s_delay_alu instid0(VALU_DEP_2) | instskip(SKIP_4) | instid1(VALU_DEP_1)
	v_add_co_ci_u32_e32 v5, vcc_lo, s2, v5, vcc_lo
	global_load_u16 v2, v[4:5], off
	s_waitcnt vmcnt(0)
	v_lshlrev_b32_e32 v2, 16, v2
	s_waitcnt lgkmcnt(0)
	v_div_scale_f32 v4, null, s4, s4, v2
	s_delay_alu instid0(VALU_DEP_1) | instskip(SKIP_2) | instid1(VALU_DEP_1)
	v_rcp_f32_e32 v5, v4
	s_waitcnt_depctr 0xfff
	v_fma_f32 v6, -v4, v5, 1.0
	v_fmac_f32_e32 v5, v6, v5
	v_div_scale_f32 v6, vcc_lo, v2, s4, v2
	s_delay_alu instid0(VALU_DEP_1) | instskip(NEXT) | instid1(VALU_DEP_1)
	v_mul_f32_e32 v7, v6, v5
	v_fma_f32 v8, -v4, v7, v6
	s_delay_alu instid0(VALU_DEP_1) | instskip(NEXT) | instid1(VALU_DEP_1)
	v_fmac_f32_e32 v7, v8, v5
	v_fma_f32 v4, -v4, v7, v6
	s_delay_alu instid0(VALU_DEP_1) | instskip(NEXT) | instid1(VALU_DEP_1)
	v_div_fmas_f32 v4, v4, v5, v7
	v_div_fixup_f32 v4, v4, s4, v2
	s_delay_alu instid0(VALU_DEP_1) | instskip(SKIP_2) | instid1(VALU_DEP_3)
	v_lshrrev_b32_e32 v6, 24, v4
	v_and_b32_e32 v9, 0x7f800000, v4
	v_and_b32_e32 v2, 0x7fffff, v4
	;; [unrolled: 1-line block ×3, first 2 shown]
	s_delay_alu instid0(VALU_DEP_1) | instskip(NEXT) | instid1(VALU_DEP_4)
	v_or_b32_e32 v5, 0x7e, v8
	v_cmpx_ne_u64_e32 0x7f800000, v[9:10]
	s_xor_b32 s9, exec_lo, s0
	s_cbranch_execz .LBB103_65
; %bb.50:                               ;   in Loop: Header=BB103_49 Depth=1
	v_dual_mov_b32 v7, v3 :: v_dual_and_b32 v6, 0x7fffffff, v4
	s_mov_b32 s0, exec_lo
	s_delay_alu instid0(VALU_DEP_1)
	v_cmpx_gt_u64_e32 0x43e00001, v[6:7]
	s_xor_b32 s10, exec_lo, s0
	s_cbranch_execz .LBB103_64
; %bb.51:                               ;   in Loop: Header=BB103_49 Depth=1
	v_mov_b32_e32 v5, 0
	s_mov_b32 s11, exec_lo
	v_cmpx_ne_u32_e32 0, v4
	s_cbranch_execz .LBB103_63
; %bb.52:                               ;   in Loop: Header=BB103_49 Depth=1
	v_bfe_u32 v9, v4, 23, 8
	v_or_b32_e32 v6, 0x800000, v2
	s_delay_alu instid0(VALU_DEP_2) | instskip(SKIP_1) | instid1(VALU_DEP_2)
	v_sub_nc_u32_e32 v4, 0x79, v9
	v_cmp_gt_u32_e32 vcc_lo, 0x7a, v9
	v_cndmask_b32_e32 v4, 0, v4, vcc_lo
	v_cmp_eq_u32_e32 vcc_lo, 0, v9
	s_delay_alu instid0(VALU_DEP_2) | instskip(SKIP_1) | instid1(VALU_DEP_2)
	v_cndmask_b32_e64 v10, v4, 0x78, vcc_lo
	v_cndmask_b32_e32 v2, v6, v2, vcc_lo
	v_add_nc_u32_e32 v4, 20, v10
	v_add_nc_u32_e32 v6, 19, v10
	s_delay_alu instid0(VALU_DEP_2) | instskip(NEXT) | instid1(VALU_DEP_2)
	v_lshlrev_b64 v[4:5], v4, -1
	v_lshlrev_b64 v[6:7], v6, 1
	s_delay_alu instid0(VALU_DEP_2) | instskip(NEXT) | instid1(VALU_DEP_3)
	v_not_b32_e32 v5, v5
	v_not_b32_e32 v4, v4
	s_delay_alu instid0(VALU_DEP_2) | instskip(NEXT) | instid1(VALU_DEP_2)
	v_and_b32_e32 v12, 0, v5
	v_and_b32_e32 v11, v2, v4
	v_lshrrev_b64 v[4:5], v10, v[2:3]
	s_delay_alu instid0(VALU_DEP_2) | instskip(NEXT) | instid1(VALU_DEP_2)
	v_cmp_eq_u64_e64 s0, v[11:12], v[6:7]
	v_dual_mov_b32 v7, v5 :: v_dual_mov_b32 v6, v4
	s_delay_alu instid0(VALU_DEP_2)
	s_and_saveexec_b32 s12, s0
; %bb.53:                               ;   in Loop: Header=BB103_49 Depth=1
	v_bfe_u32 v2, v4, 20, 1
	s_delay_alu instid0(VALU_DEP_1) | instskip(NEXT) | instid1(VALU_DEP_1)
	v_add_co_u32 v2, s0, v4, v2
	v_add_co_u32 v6, s0, v2, -1
; %bb.54:                               ;   in Loop: Header=BB103_49 Depth=1
	s_or_b32 exec_lo, exec_lo, s12
	v_add_nc_u32_e32 v2, 0xffffff81, v9
	v_lshrrev_b32_e32 v7, 23, v4
	s_mov_b32 s0, exec_lo
	s_delay_alu instid0(VALU_DEP_2) | instskip(NEXT) | instid1(VALU_DEP_1)
	v_cndmask_b32_e64 v2, v2, 0xffffff82, vcc_lo
	v_add3_u32 v7, v10, v2, v7
	v_and_b32_e32 v2, 0xfffff, v6
	s_delay_alu instid0(VALU_DEP_2) | instskip(NEXT) | instid1(VALU_DEP_2)
	v_add_nc_u32_e32 v6, 6, v7
	v_add_co_u32 v4, vcc_lo, v2, v4
	v_add_co_ci_u32_e32 v5, vcc_lo, 0, v5, vcc_lo
                                        ; implicit-def: $vgpr2
	s_delay_alu instid0(VALU_DEP_3)
	v_cmpx_ne_u32_e32 0, v6
	s_xor_b32 s0, exec_lo, s0
; %bb.55:                               ;   in Loop: Header=BB103_49 Depth=1
	s_delay_alu instid0(VALU_DEP_2) | instskip(SKIP_1) | instid1(VALU_DEP_1)
	v_cmp_lt_u64_e32 vcc_lo, 0xffffff, v[4:5]
	v_add_nc_u32_e32 v2, 7, v7
	v_cndmask_b32_e32 v2, v6, v2, vcc_lo
	v_cndmask_b32_e64 v6, 0, 1, vcc_lo
	s_delay_alu instid0(VALU_DEP_1)
	v_lshrrev_b64 v[4:5], v6, v[4:5]
; %bb.56:                               ;   in Loop: Header=BB103_49 Depth=1
	s_and_not1_saveexec_b32 s0, s0
; %bb.57:                               ;   in Loop: Header=BB103_49 Depth=1
	s_delay_alu instid0(VALU_DEP_1)
	v_bfe_u32 v2, v4, 23, 1
; %bb.58:                               ;   in Loop: Header=BB103_49 Depth=1
	s_or_b32 exec_lo, exec_lo, s0
	s_delay_alu instid0(VALU_DEP_2) | instskip(NEXT) | instid1(VALU_DEP_2)
	v_lshrrev_b64 v[4:5], 20, v[4:5]
	v_cmp_gt_i32_e32 vcc_lo, 16, v2
	v_cmp_ne_u32_e64 s0, 0, v2
	s_delay_alu instid0(VALU_DEP_3) | instskip(NEXT) | instid1(VALU_DEP_1)
	v_dual_cndmask_b32 v5, 0, v5 :: v_dual_cndmask_b32 v4, 7, v4
	v_cmp_ne_u64_e32 vcc_lo, 0, v[4:5]
                                        ; implicit-def: $vgpr5
	s_delay_alu instid0(VALU_DEP_3) | instskip(NEXT) | instid1(SALU_CYCLE_1)
	s_or_b32 s0, s0, vcc_lo
	s_and_saveexec_b32 s12, s0
	s_delay_alu instid0(SALU_CYCLE_1)
	s_xor_b32 s0, exec_lo, s12
; %bb.59:                               ;   in Loop: Header=BB103_49 Depth=1
	v_min_i32_e32 v2, 15, v2
	s_delay_alu instid0(VALU_DEP_1) | instskip(NEXT) | instid1(VALU_DEP_1)
	v_lshl_or_b32 v2, v2, 3, v8
                                        ; implicit-def: $vgpr8
	v_and_or_b32 v5, v4, 7, v2
; %bb.60:                               ;   in Loop: Header=BB103_49 Depth=1
	s_and_not1_saveexec_b32 s0, s0
; %bb.61:                               ;   in Loop: Header=BB103_49 Depth=1
	v_mov_b32_e32 v5, v8
; %bb.62:                               ;   in Loop: Header=BB103_49 Depth=1
	s_or_b32 exec_lo, exec_lo, s0
.LBB103_63:                             ;   in Loop: Header=BB103_49 Depth=1
	s_delay_alu instid0(SALU_CYCLE_1)
	s_or_b32 exec_lo, exec_lo, s11
.LBB103_64:                             ;   in Loop: Header=BB103_49 Depth=1
	s_and_not1_saveexec_b32 s0, s10
	s_delay_alu instid0(SALU_CYCLE_1)
	s_or_b32 exec_lo, exec_lo, s0
                                        ; implicit-def: $vgpr6
.LBB103_65:                             ;   in Loop: Header=BB103_49 Depth=1
	s_and_not1_saveexec_b32 s0, s9
	s_cbranch_execz .LBB103_48
; %bb.66:                               ;   in Loop: Header=BB103_49 Depth=1
	v_cmp_eq_u64_e32 vcc_lo, 0, v[2:3]
	v_or_b32_e32 v4, 0x7f, v6
	s_delay_alu instid0(VALU_DEP_1)
	v_cndmask_b32_e32 v5, v4, v5, vcc_lo
	s_branch .LBB103_48
.LBB103_67:
	s_nop 0
	s_sendmsg sendmsg(MSG_DEALLOC_VGPRS)
	s_endpgm
.LBB103_68:
                                        ; implicit-def: $sgpr22_sgpr23
	s_branch .LBB103_6
	.section	.rodata,"a",@progbits
	.p2align	6, 0x0
	.amdhsa_kernel _ZN4vllm38concat_and_cache_mla_rope_fused_kernelIN3c108BFloat16EfLb0E14__hip_bfloat16hLNS_18Fp8KVCacheDataTypeE1EEEvPKlPT_S8_PKS7_PKT0_illlliPT3_S6_iiiiPKf
		.amdhsa_group_segment_fixed_size 0
		.amdhsa_private_segment_fixed_size 0
		.amdhsa_kernarg_size 384
		.amdhsa_user_sgpr_count 15
		.amdhsa_user_sgpr_dispatch_ptr 0
		.amdhsa_user_sgpr_queue_ptr 0
		.amdhsa_user_sgpr_kernarg_segment_ptr 1
		.amdhsa_user_sgpr_dispatch_id 0
		.amdhsa_user_sgpr_private_segment_size 0
		.amdhsa_wavefront_size32 1
		.amdhsa_uses_dynamic_stack 0
		.amdhsa_enable_private_segment 0
		.amdhsa_system_sgpr_workgroup_id_x 1
		.amdhsa_system_sgpr_workgroup_id_y 0
		.amdhsa_system_sgpr_workgroup_id_z 0
		.amdhsa_system_sgpr_workgroup_info 0
		.amdhsa_system_vgpr_workitem_id 0
		.amdhsa_next_free_vgpr 23
		.amdhsa_next_free_sgpr 43
		.amdhsa_reserve_vcc 1
		.amdhsa_float_round_mode_32 0
		.amdhsa_float_round_mode_16_64 0
		.amdhsa_float_denorm_mode_32 3
		.amdhsa_float_denorm_mode_16_64 3
		.amdhsa_dx10_clamp 1
		.amdhsa_ieee_mode 1
		.amdhsa_fp16_overflow 0
		.amdhsa_workgroup_processor_mode 1
		.amdhsa_memory_ordered 1
		.amdhsa_forward_progress 0
		.amdhsa_shared_vgpr_count 0
		.amdhsa_exception_fp_ieee_invalid_op 0
		.amdhsa_exception_fp_denorm_src 0
		.amdhsa_exception_fp_ieee_div_zero 0
		.amdhsa_exception_fp_ieee_overflow 0
		.amdhsa_exception_fp_ieee_underflow 0
		.amdhsa_exception_fp_ieee_inexact 0
		.amdhsa_exception_int_div_zero 0
	.end_amdhsa_kernel
	.section	.text._ZN4vllm38concat_and_cache_mla_rope_fused_kernelIN3c108BFloat16EfLb0E14__hip_bfloat16hLNS_18Fp8KVCacheDataTypeE1EEEvPKlPT_S8_PKS7_PKT0_illlliPT3_S6_iiiiPKf,"axG",@progbits,_ZN4vllm38concat_and_cache_mla_rope_fused_kernelIN3c108BFloat16EfLb0E14__hip_bfloat16hLNS_18Fp8KVCacheDataTypeE1EEEvPKlPT_S8_PKS7_PKT0_illlliPT3_S6_iiiiPKf,comdat
.Lfunc_end103:
	.size	_ZN4vllm38concat_and_cache_mla_rope_fused_kernelIN3c108BFloat16EfLb0E14__hip_bfloat16hLNS_18Fp8KVCacheDataTypeE1EEEvPKlPT_S8_PKS7_PKT0_illlliPT3_S6_iiiiPKf, .Lfunc_end103-_ZN4vllm38concat_and_cache_mla_rope_fused_kernelIN3c108BFloat16EfLb0E14__hip_bfloat16hLNS_18Fp8KVCacheDataTypeE1EEEvPKlPT_S8_PKS7_PKT0_illlliPT3_S6_iiiiPKf
                                        ; -- End function
	.section	.AMDGPU.csdata,"",@progbits
; Kernel info:
; codeLenInByte = 5176
; NumSgprs: 45
; NumVgprs: 23
; ScratchSize: 0
; MemoryBound: 0
; FloatMode: 240
; IeeeMode: 1
; LDSByteSize: 0 bytes/workgroup (compile time only)
; SGPRBlocks: 5
; VGPRBlocks: 2
; NumSGPRsForWavesPerEU: 45
; NumVGPRsForWavesPerEU: 23
; Occupancy: 16
; WaveLimiterHint : 1
; COMPUTE_PGM_RSRC2:SCRATCH_EN: 0
; COMPUTE_PGM_RSRC2:USER_SGPR: 15
; COMPUTE_PGM_RSRC2:TRAP_HANDLER: 0
; COMPUTE_PGM_RSRC2:TGID_X_EN: 1
; COMPUTE_PGM_RSRC2:TGID_Y_EN: 0
; COMPUTE_PGM_RSRC2:TGID_Z_EN: 0
; COMPUTE_PGM_RSRC2:TIDIG_COMP_CNT: 0
	.section	.text._ZN4vllm38concat_and_cache_mla_rope_fused_kernelIN3c108BFloat16ENS1_4HalfELb1E14__hip_bfloat16hLNS_18Fp8KVCacheDataTypeE1EEEvPKlPT_S9_PKS8_PKT0_illlliPT3_S7_iiiiPKf,"axG",@progbits,_ZN4vllm38concat_and_cache_mla_rope_fused_kernelIN3c108BFloat16ENS1_4HalfELb1E14__hip_bfloat16hLNS_18Fp8KVCacheDataTypeE1EEEvPKlPT_S9_PKS8_PKT0_illlliPT3_S7_iiiiPKf,comdat
	.protected	_ZN4vllm38concat_and_cache_mla_rope_fused_kernelIN3c108BFloat16ENS1_4HalfELb1E14__hip_bfloat16hLNS_18Fp8KVCacheDataTypeE1EEEvPKlPT_S9_PKS8_PKT0_illlliPT3_S7_iiiiPKf ; -- Begin function _ZN4vllm38concat_and_cache_mla_rope_fused_kernelIN3c108BFloat16ENS1_4HalfELb1E14__hip_bfloat16hLNS_18Fp8KVCacheDataTypeE1EEEvPKlPT_S9_PKS8_PKT0_illlliPT3_S7_iiiiPKf
	.globl	_ZN4vllm38concat_and_cache_mla_rope_fused_kernelIN3c108BFloat16ENS1_4HalfELb1E14__hip_bfloat16hLNS_18Fp8KVCacheDataTypeE1EEEvPKlPT_S9_PKS8_PKT0_illlliPT3_S7_iiiiPKf
	.p2align	8
	.type	_ZN4vllm38concat_and_cache_mla_rope_fused_kernelIN3c108BFloat16ENS1_4HalfELb1E14__hip_bfloat16hLNS_18Fp8KVCacheDataTypeE1EEEvPKlPT_S9_PKS8_PKT0_illlliPT3_S7_iiiiPKf,@function
_ZN4vllm38concat_and_cache_mla_rope_fused_kernelIN3c108BFloat16ENS1_4HalfELb1E14__hip_bfloat16hLNS_18Fp8KVCacheDataTypeE1EEEvPKlPT_S9_PKS8_PKT0_illlliPT3_S7_iiiiPKf: ; @_ZN4vllm38concat_and_cache_mla_rope_fused_kernelIN3c108BFloat16ENS1_4HalfELb1E14__hip_bfloat16hLNS_18Fp8KVCacheDataTypeE1EEEvPKlPT_S9_PKS8_PKT0_illlliPT3_S7_iiiiPKf
; %bb.0:
	s_load_b64 s[4:5], s[0:1], 0x60
	s_mov_b32 s16, s15
	s_mov_b32 s17, 0
	s_delay_alu instid0(SALU_CYCLE_1)
	s_lshl_b64 s[2:3], s[16:17], 3
	s_waitcnt lgkmcnt(0)
	s_add_u32 s4, s4, s2
	s_addc_u32 s5, s5, s3
	s_load_b64 s[30:31], s[4:5], 0x0
	s_waitcnt lgkmcnt(0)
	v_cmp_lt_i64_e64 s4, s[30:31], 0
	s_delay_alu instid0(VALU_DEP_1)
	s_and_b32 vcc_lo, exec_lo, s4
	s_cbranch_vccnz .LBB104_67
; %bb.1:
	s_clause 0x2
	s_load_b32 s20, s[0:1], 0x28
	s_load_b64 s[4:5], s[0:1], 0x0
	s_load_b128 s[12:15], s[0:1], 0x10
	s_mov_b32 s23, exec_lo
	s_waitcnt lgkmcnt(0)
	s_ashr_i32 s17, s20, 31
	s_add_u32 s2, s4, s2
	s_addc_u32 s3, s5, s3
	s_load_b64 s[2:3], s[2:3], 0x0
	s_clause 0x3
	s_load_b64 s[26:27], s[0:1], 0x20
	s_load_b32 s21, s[0:1], 0x50
	s_load_b64 s[18:19], s[0:1], 0x58
	s_load_b256 s[4:11], s[0:1], 0x30
	s_waitcnt lgkmcnt(0)
	s_mul_i32 s17, s2, s17
	s_mul_hi_u32 s22, s2, s20
	s_mul_i32 s3, s3, s20
	s_add_i32 s17, s22, s17
	s_mul_i32 s2, s2, s20
	s_add_i32 s3, s17, s3
	s_delay_alu instid0(SALU_CYCLE_1) | instskip(NEXT) | instid1(SALU_CYCLE_1)
	s_lshl_b64 s[28:29], s[2:3], 1
	s_add_u32 s17, s26, s28
	s_addc_u32 s33, s27, s29
	s_lshr_b32 s2, s20, 31
	s_delay_alu instid0(SALU_CYCLE_1) | instskip(NEXT) | instid1(SALU_CYCLE_1)
	s_add_i32 s20, s20, s2
	s_ashr_i32 s20, s20, 1
	s_delay_alu instid0(SALU_CYCLE_1) | instskip(NEXT) | instid1(SALU_CYCLE_1)
	s_mul_i32 s22, s20, s21
	v_cmpx_gt_i32_e64 s22, v0
	s_cbranch_execz .LBB104_4
; %bb.2:
	s_clause 0x1
	s_load_b64 s[2:3], s[0:1], 0x8
	s_load_b32 s35, s[0:1], 0x8c
	s_mul_i32 s5, s16, s5
	s_mul_hi_u32 s21, s16, s4
	s_mul_i32 s4, s16, s4
	s_add_i32 s5, s21, s5
	s_ashr_i32 s21, s20, 31
	s_lshl_b64 s[4:5], s[4:5], 1
	s_mov_b32 s36, 0
	s_waitcnt lgkmcnt(0)
	s_add_u32 s24, s2, s4
	s_addc_u32 s25, s3, s5
	s_abs_i32 s34, s20
	s_and_b32 s35, s35, 0xffff
	v_cvt_f32_u32_e32 v1, s34
	s_sub_i32 s2, 0, s34
	s_sub_i32 s37, 0, s20
	s_lshl_b64 s[4:5], s[20:21], 1
	s_delay_alu instid0(VALU_DEP_1) | instskip(SKIP_2) | instid1(VALU_DEP_1)
	v_rcp_iflag_f32_e32 v1, v1
	s_waitcnt_depctr 0xfff
	v_mul_f32_e32 v1, 0x4f7ffffe, v1
	v_cvt_u32_f32_e32 v1, v1
	s_delay_alu instid0(VALU_DEP_1) | instskip(NEXT) | instid1(VALU_DEP_1)
	v_mul_lo_u32 v2, s2, v1
	v_mul_hi_u32 v2, v1, v2
	s_delay_alu instid0(VALU_DEP_1)
	v_dual_mov_b32 v1, v0 :: v_dual_add_nc_u32 v2, v1, v2
.LBB104_3:                              ; =>This Inner Loop Header: Depth=1
	s_delay_alu instid0(VALU_DEP_1) | instskip(SKIP_1) | instid1(VALU_DEP_2)
	v_sub_nc_u32_e32 v3, 0, v1
	v_ashrrev_i32_e32 v4, 31, v1
	v_max_i32_e32 v3, v1, v3
	s_delay_alu instid0(VALU_DEP_2) | instskip(NEXT) | instid1(VALU_DEP_2)
	v_xor_b32_e32 v4, s21, v4
	v_mul_hi_u32 v5, v3, v2
	s_delay_alu instid0(VALU_DEP_1) | instskip(SKIP_1) | instid1(VALU_DEP_2)
	v_mul_lo_u32 v6, v5, s34
	v_add_nc_u32_e32 v7, 1, v5
	v_sub_nc_u32_e32 v3, v3, v6
	s_delay_alu instid0(VALU_DEP_1) | instskip(SKIP_1) | instid1(VALU_DEP_4)
	v_subrev_nc_u32_e32 v6, s34, v3
	v_cmp_le_u32_e32 vcc_lo, s34, v3
	v_cndmask_b32_e32 v5, v5, v7, vcc_lo
	s_delay_alu instid0(VALU_DEP_1) | instskip(NEXT) | instid1(VALU_DEP_1)
	v_dual_cndmask_b32 v3, v3, v6 :: v_dual_add_nc_u32 v6, 1, v5
	v_cmp_le_u32_e32 vcc_lo, s34, v3
	s_delay_alu instid0(VALU_DEP_2) | instskip(NEXT) | instid1(VALU_DEP_1)
	v_cndmask_b32_e32 v3, v5, v6, vcc_lo
	v_xor_b32_e32 v3, v3, v4
	s_delay_alu instid0(VALU_DEP_1) | instskip(NEXT) | instid1(VALU_DEP_1)
	v_sub_nc_u32_e32 v7, v3, v4
	v_mad_u64_u32 v[3:4], null, s37, v7, v[1:2]
	v_ashrrev_i32_e32 v8, 31, v7
	v_mul_lo_u32 v9, v7, s7
	v_mad_u64_u32 v[5:6], null, v7, s6, 0
	v_add_nc_u32_e32 v1, s35, v1
	s_delay_alu instid0(VALU_DEP_4) | instskip(SKIP_1) | instid1(VALU_DEP_1)
	v_mul_lo_u32 v7, v8, s6
	v_ashrrev_i32_e32 v4, 31, v3
	v_lshlrev_b64 v[3:4], 1, v[3:4]
	s_delay_alu instid0(VALU_DEP_3) | instskip(NEXT) | instid1(VALU_DEP_2)
	v_add3_u32 v6, v6, v9, v7
	v_add_co_u32 v7, vcc_lo, s17, v3
	s_delay_alu instid0(VALU_DEP_3) | instskip(NEXT) | instid1(VALU_DEP_3)
	v_add_co_ci_u32_e32 v8, vcc_lo, s33, v4, vcc_lo
	v_lshlrev_b64 v[5:6], 1, v[5:6]
	global_load_u16 v9, v[7:8], off
	v_add_co_u32 v7, vcc_lo, v7, s4
	v_add_co_ci_u32_e32 v8, vcc_lo, s5, v8, vcc_lo
	v_add_co_u32 v5, vcc_lo, s24, v5
	v_add_co_ci_u32_e32 v6, vcc_lo, s25, v6, vcc_lo
	global_load_u16 v7, v[7:8], off
	v_add_co_u32 v3, vcc_lo, v5, v3
	v_add_co_ci_u32_e32 v4, vcc_lo, v6, v4, vcc_lo
	s_delay_alu instid0(VALU_DEP_2) | instskip(NEXT) | instid1(VALU_DEP_2)
	v_add_co_u32 v5, vcc_lo, v3, s4
	v_add_co_ci_u32_e32 v6, vcc_lo, s5, v4, vcc_lo
	s_clause 0x1
	global_load_u16 v8, v[3:4], off
	global_load_u16 v10, v[5:6], off
	s_waitcnt vmcnt(3)
	v_cvt_f32_f16_e32 v11, v9
	v_cmp_o_f16_e32 vcc_lo, v9, v9
	s_delay_alu instid0(VALU_DEP_2) | instskip(SKIP_2) | instid1(VALU_DEP_2)
	v_bfe_u32 v13, v11, 16, 1
	s_waitcnt vmcnt(2)
	v_cvt_f32_f16_e32 v12, v7
	v_add3_u32 v11, v11, v13, 0x7fff
	s_delay_alu instid0(VALU_DEP_2) | instskip(NEXT) | instid1(VALU_DEP_2)
	v_bfe_u32 v13, v12, 16, 1
	v_and_b32_e32 v11, 0xffff0000, v11
	s_delay_alu instid0(VALU_DEP_2)
	v_add3_u32 v12, v12, v13, 0x7fff
	s_waitcnt vmcnt(1)
	v_lshlrev_b32_e32 v8, 16, v8
	s_waitcnt vmcnt(0)
	v_dual_cndmask_b32 v9, 0x7fc00000, v11 :: v_dual_lshlrev_b32 v10, 16, v10
	v_cmp_o_f16_e32 vcc_lo, v7, v7
	v_and_b32_e32 v11, 0xffff0000, v12
	s_delay_alu instid0(VALU_DEP_3) | instskip(NEXT) | instid1(VALU_DEP_2)
	v_mul_f32_e32 v7, v9, v8
	v_cndmask_b32_e32 v11, 0x7fc00000, v11, vcc_lo
	s_delay_alu instid0(VALU_DEP_2) | instskip(SKIP_1) | instid1(VALU_DEP_3)
	v_bfe_u32 v12, v7, 16, 1
	v_cmp_o_f32_e64 s2, v7, v7
	v_mul_f32_e32 v8, v11, v8
	s_delay_alu instid0(VALU_DEP_3) | instskip(SKIP_2) | instid1(VALU_DEP_4)
	v_add3_u32 v12, v7, v12, 0x7fff
	v_mul_f32_e32 v9, v9, v10
	v_mul_f32_e32 v10, v11, v10
	v_bfe_u32 v14, v8, 16, 1
	s_delay_alu instid0(VALU_DEP_4) | instskip(NEXT) | instid1(VALU_DEP_4)
	v_and_b32_e32 v12, 0xffff0000, v12
	v_bfe_u32 v11, v9, 16, 1
	s_delay_alu instid0(VALU_DEP_4) | instskip(NEXT) | instid1(VALU_DEP_4)
	v_bfe_u32 v13, v10, 16, 1
	v_add3_u32 v14, v8, v14, 0x7fff
	v_cmp_o_f32_e32 vcc_lo, v9, v9
	s_delay_alu instid0(VALU_DEP_4) | instskip(NEXT) | instid1(VALU_DEP_4)
	v_add3_u32 v11, v9, v11, 0x7fff
	v_add3_u32 v13, v10, v13, 0x7fff
	v_cndmask_b32_e64 v9, 0x7fc00000, v12, s2
	v_and_b32_e32 v12, 0xffff0000, v14
	v_cmp_o_f32_e64 s2, v10, v10
	v_and_b32_e32 v11, 0xffff0000, v11
	s_delay_alu instid0(VALU_DEP_1) | instskip(SKIP_4) | instid1(VALU_DEP_3)
	v_cndmask_b32_e32 v11, 0x7fc00000, v11, vcc_lo
	v_cmp_o_f32_e32 vcc_lo, v8, v8
	v_cndmask_b32_e32 v8, 0x7fc00000, v12, vcc_lo
	v_and_b32_e32 v7, 0xffff0000, v13
	v_cmp_le_i32_e32 vcc_lo, s22, v1
	v_add_f32_e32 v8, v11, v8
	s_delay_alu instid0(VALU_DEP_3) | instskip(SKIP_1) | instid1(VALU_DEP_2)
	v_cndmask_b32_e64 v7, 0x7fc00000, v7, s2
	s_or_b32 s36, vcc_lo, s36
	v_bfe_u32 v10, v8, 16, 1
	s_delay_alu instid0(VALU_DEP_2) | instskip(SKIP_1) | instid1(VALU_DEP_3)
	v_sub_f32_e32 v7, v9, v7
	v_cmp_o_f32_e64 s2, v8, v8
	v_add3_u32 v10, v8, v10, 0x7fff
	s_delay_alu instid0(VALU_DEP_3) | instskip(SKIP_1) | instid1(VALU_DEP_3)
	v_bfe_u32 v9, v7, 16, 1
	v_cmp_o_f32_e64 s3, v7, v7
	v_lshrrev_b32_e32 v10, 16, v10
	s_delay_alu instid0(VALU_DEP_3) | instskip(NEXT) | instid1(VALU_DEP_2)
	v_add3_u32 v9, v7, v9, 0x7fff
	v_cndmask_b32_e64 v8, 0x7fc0, v10, s2
	s_delay_alu instid0(VALU_DEP_2) | instskip(NEXT) | instid1(VALU_DEP_1)
	v_lshrrev_b32_e32 v9, 16, v9
	v_cndmask_b32_e64 v7, 0x7fc0, v9, s3
	s_clause 0x1
	global_store_b16 v[3:4], v7, off
	global_store_b16 v[5:6], v8, off
	s_and_not1_b32 exec_lo, exec_lo, s36
	s_cbranch_execnz .LBB104_3
.LBB104_4:
	s_or_b32 exec_lo, exec_lo, s23
	s_load_b128 s[4:7], s[0:1], 0x68
	s_waitcnt lgkmcnt(0)
	s_ashr_i32 s3, s7, 31
	s_mov_b32 s2, s7
	s_delay_alu instid0(SALU_CYCLE_1) | instskip(SKIP_1) | instid1(SALU_CYCLE_1)
	s_or_b64 s[24:25], s[30:31], s[2:3]
	s_mov_b32 s24, 0
	s_cmp_lg_u64 s[24:25], 0
	s_cbranch_scc0 .LBB104_68
; %bb.5:
	s_add_u32 s34, s2, s3
	s_mov_b32 s22, s3
	s_mov_b32 s23, s3
	s_addc_u32 s35, s3, s3
	s_delay_alu instid0(SALU_CYCLE_1) | instskip(NEXT) | instid1(SALU_CYCLE_1)
	s_xor_b64 s[34:35], s[34:35], s[22:23]
	v_cvt_f32_u32_e32 v1, s34
	v_cvt_f32_u32_e32 v2, s35
	s_sub_u32 s25, 0, s34
	s_subb_u32 s36, 0, s35
	s_delay_alu instid0(VALU_DEP_1) | instskip(NEXT) | instid1(VALU_DEP_1)
	v_fmamk_f32 v1, v2, 0x4f800000, v1
	v_rcp_f32_e32 v1, v1
	s_waitcnt_depctr 0xfff
	v_mul_f32_e32 v1, 0x5f7ffffc, v1
	s_delay_alu instid0(VALU_DEP_1) | instskip(NEXT) | instid1(VALU_DEP_1)
	v_mul_f32_e32 v2, 0x2f800000, v1
	v_trunc_f32_e32 v2, v2
	s_delay_alu instid0(VALU_DEP_1) | instskip(SKIP_1) | instid1(VALU_DEP_2)
	v_fmamk_f32 v1, v2, 0xcf800000, v1
	v_cvt_u32_f32_e32 v2, v2
	v_cvt_u32_f32_e32 v1, v1
	s_delay_alu instid0(VALU_DEP_2) | instskip(NEXT) | instid1(VALU_DEP_2)
	v_readfirstlane_b32 s7, v2
	v_readfirstlane_b32 s21, v1
	s_delay_alu instid0(VALU_DEP_2) | instskip(NEXT) | instid1(VALU_DEP_1)
	s_mul_i32 s37, s25, s7
	s_mul_hi_u32 s39, s25, s21
	s_mul_i32 s38, s36, s21
	s_add_i32 s37, s39, s37
	s_mul_i32 s40, s25, s21
	s_add_i32 s37, s37, s38
	s_mul_hi_u32 s39, s21, s40
	s_mul_hi_u32 s41, s7, s40
	s_mul_i32 s38, s7, s40
	s_mul_hi_u32 s40, s21, s37
	s_mul_i32 s21, s21, s37
	s_mul_hi_u32 s42, s7, s37
	s_add_u32 s21, s39, s21
	s_addc_u32 s39, 0, s40
	s_add_u32 s21, s21, s38
	s_mul_i32 s37, s7, s37
	s_addc_u32 s21, s39, s41
	s_addc_u32 s38, s42, 0
	s_add_u32 s21, s21, s37
	s_addc_u32 s37, 0, s38
	v_add_co_u32 v1, s21, v1, s21
	s_delay_alu instid0(VALU_DEP_1) | instskip(SKIP_1) | instid1(VALU_DEP_1)
	s_cmp_lg_u32 s21, 0
	s_addc_u32 s7, s7, s37
	v_readfirstlane_b32 s21, v1
	s_mul_i32 s37, s25, s7
	s_delay_alu instid0(VALU_DEP_1)
	s_mul_hi_u32 s38, s25, s21
	s_mul_i32 s36, s36, s21
	s_add_i32 s37, s38, s37
	s_mul_i32 s25, s25, s21
	s_add_i32 s37, s37, s36
	s_mul_hi_u32 s38, s7, s25
	s_mul_i32 s39, s7, s25
	s_mul_hi_u32 s25, s21, s25
	s_mul_hi_u32 s40, s21, s37
	s_mul_i32 s21, s21, s37
	s_mul_hi_u32 s36, s7, s37
	s_add_u32 s21, s25, s21
	s_addc_u32 s25, 0, s40
	s_add_u32 s21, s21, s39
	s_mul_i32 s37, s7, s37
	s_addc_u32 s21, s25, s38
	s_addc_u32 s25, s36, 0
	s_add_u32 s21, s21, s37
	s_addc_u32 s25, 0, s25
	v_add_co_u32 v1, s21, v1, s21
	s_delay_alu instid0(VALU_DEP_1) | instskip(SKIP_2) | instid1(VALU_DEP_1)
	s_cmp_lg_u32 s21, 0
	s_addc_u32 s7, s7, s25
	s_ashr_i32 s36, s31, 31
	v_readfirstlane_b32 s21, v1
	s_add_u32 s38, s30, s36
	s_mov_b32 s37, s36
	s_addc_u32 s39, s31, s36
	s_delay_alu instid0(SALU_CYCLE_1) | instskip(NEXT) | instid1(SALU_CYCLE_1)
	s_xor_b64 s[38:39], s[38:39], s[36:37]
	s_mul_i32 s40, s38, s7
	s_mul_hi_u32 s41, s38, s21
	s_mul_hi_u32 s25, s38, s7
	;; [unrolled: 1-line block ×3, first 2 shown]
	s_mul_i32 s21, s39, s21
	s_add_u32 s40, s41, s40
	s_addc_u32 s25, 0, s25
	s_mul_hi_u32 s42, s39, s7
	s_add_u32 s21, s40, s21
	s_mul_i32 s7, s39, s7
	s_addc_u32 s21, s25, s43
	s_addc_u32 s25, s42, 0
	s_add_u32 s7, s21, s7
	s_addc_u32 s21, 0, s25
	s_mul_i32 s42, s34, s7
	s_mul_hi_u32 s25, s34, s7
	s_mul_i32 s41, s34, s21
	v_sub_co_u32 v1, s38, s38, s42
	s_mul_i32 s40, s35, s7
	s_add_i32 s25, s25, s41
	s_delay_alu instid0(SALU_CYCLE_1) | instskip(NEXT) | instid1(VALU_DEP_1)
	s_add_i32 s25, s25, s40
	v_sub_co_u32 v2, s41, v1, s34
	s_sub_i32 s40, s39, s25
	s_cmp_lg_u32 s38, 0
	s_subb_u32 s40, s40, s35
	s_cmp_lg_u32 s41, 0
	v_readfirstlane_b32 s41, v2
	s_subb_u32 s40, s40, 0
	s_delay_alu instid0(SALU_CYCLE_1) | instskip(SKIP_1) | instid1(VALU_DEP_1)
	s_cmp_ge_u32 s40, s35
	s_cselect_b32 s42, -1, 0
	s_cmp_ge_u32 s41, s34
	s_cselect_b32 s41, -1, 0
	s_cmp_eq_u32 s40, s35
	s_cselect_b32 s40, s41, s42
	s_add_u32 s41, s7, 1
	s_addc_u32 s42, s21, 0
	s_add_u32 s43, s7, 2
	s_addc_u32 s44, s21, 0
	s_cmp_lg_u32 s40, 0
	s_cselect_b32 s40, s43, s41
	s_cselect_b32 s41, s44, s42
	s_cmp_lg_u32 s38, 0
	v_readfirstlane_b32 s38, v1
	s_subb_u32 s25, s39, s25
	s_delay_alu instid0(SALU_CYCLE_1) | instskip(SKIP_1) | instid1(VALU_DEP_1)
	s_cmp_ge_u32 s25, s35
	s_cselect_b32 s39, -1, 0
	s_cmp_ge_u32 s38, s34
	s_cselect_b32 s34, -1, 0
	s_cmp_eq_u32 s25, s35
	s_cselect_b32 s25, s34, s39
	s_delay_alu instid0(SALU_CYCLE_1) | instskip(SKIP_3) | instid1(SALU_CYCLE_1)
	s_cmp_lg_u32 s25, 0
	s_cselect_b32 s35, s41, s21
	s_cselect_b32 s34, s40, s7
	s_xor_b64 s[22:23], s[36:37], s[22:23]
	s_xor_b64 s[34:35], s[34:35], s[22:23]
	s_delay_alu instid0(SALU_CYCLE_1)
	s_sub_u32 s22, s34, s22
	s_subb_u32 s23, s35, s23
	s_and_not1_b32 vcc_lo, exec_lo, s24
	s_cbranch_vccnz .LBB104_7
.LBB104_6:
	v_cvt_f32_u32_e32 v1, s2
	s_sub_i32 s21, 0, s2
	s_delay_alu instid0(VALU_DEP_1) | instskip(SKIP_2) | instid1(VALU_DEP_1)
	v_rcp_iflag_f32_e32 v1, v1
	s_waitcnt_depctr 0xfff
	v_mul_f32_e32 v1, 0x4f7ffffe, v1
	v_cvt_u32_f32_e32 v1, v1
	s_delay_alu instid0(VALU_DEP_1) | instskip(NEXT) | instid1(VALU_DEP_1)
	v_readfirstlane_b32 s7, v1
	s_mul_i32 s21, s21, s7
	s_delay_alu instid0(SALU_CYCLE_1) | instskip(NEXT) | instid1(SALU_CYCLE_1)
	s_mul_hi_u32 s21, s7, s21
	s_add_i32 s7, s7, s21
	s_delay_alu instid0(SALU_CYCLE_1) | instskip(NEXT) | instid1(SALU_CYCLE_1)
	s_mul_hi_u32 s7, s30, s7
	s_mul_i32 s21, s7, s2
	s_add_i32 s22, s7, 1
	s_sub_i32 s21, s30, s21
	s_delay_alu instid0(SALU_CYCLE_1)
	s_sub_i32 s23, s21, s2
	s_cmp_ge_u32 s21, s2
	s_cselect_b32 s7, s22, s7
	s_cselect_b32 s21, s23, s21
	s_add_i32 s22, s7, 1
	s_cmp_ge_u32 s21, s2
	s_mov_b32 s23, 0
	s_cselect_b32 s22, s22, s7
.LBB104_7:
	s_load_b64 s[24:25], s[0:1], 0x78
	s_mul_i32 s3, s22, s3
	s_mul_hi_u32 s7, s22, s2
	s_mul_i32 s34, s23, s4
	s_add_i32 s3, s7, s3
	s_mul_i32 s7, s23, s2
	s_mul_i32 s2, s22, s2
	s_add_i32 s7, s3, s7
	s_sub_u32 s3, s30, s2
	s_subb_u32 s7, s31, s7
	s_mul_hi_u32 s31, s22, s4
	s_mul_i32 s35, s22, s4
	s_mul_hi_u32 s30, s3, s5
	s_mul_i32 s7, s7, s5
	s_mul_i32 s23, s3, s5
	s_mov_b32 s36, exec_lo
	v_cmpx_gt_i32_e64 s20, v0
	s_cbranch_execz .LBB104_46
; %bb.8:
	s_load_b32 s2, s[0:1], 0x8c
	s_mul_i32 s9, s16, s9
	s_mul_hi_u32 s37, s16, s8
	s_mul_i32 s38, s16, s8
	s_add_i32 s39, s37, s9
	s_ashr_i32 s21, s20, 31
	s_lshl_b64 s[40:41], s[38:39], 1
	s_waitcnt lgkmcnt(0)
	s_load_b32 s8, s[24:25], 0x0
	s_add_u32 s9, s12, s40
	s_addc_u32 s37, s13, s41
	s_ashr_i32 s38, s4, 31
	s_ashr_i32 s39, s5, 31
	s_mul_i32 s38, s22, s38
	s_mul_i32 s39, s3, s39
	s_add_i32 s38, s31, s38
	s_add_i32 s39, s30, s39
	;; [unrolled: 1-line block ×3, first 2 shown]
	s_lshl_b64 s[42:43], s[20:21], 1
	s_ashr_i32 s44, s6, 31
	s_add_i32 s46, s39, s7
	s_and_b32 s38, s2, 0xffff
	v_dual_mov_b32 v2, 0 :: v_dual_lshlrev_b32 v9, 1, v0
	s_lshl_b32 s39, s38, 1
	s_add_u32 s2, s28, s42
	s_addc_u32 s28, s29, s43
	s_add_u32 s26, s26, s2
	s_addc_u32 s27, s27, s28
	;; [unrolled: 2-line block ×7, first 2 shown]
	v_add_co_u32 v3, s2, s2, v0
	s_delay_alu instid0(VALU_DEP_1)
	v_add_co_ci_u32_e64 v4, null, s28, 0, s2
	v_mov_b32_e32 v10, v0
	s_mov_b32 s28, 0
	s_branch .LBB104_10
.LBB104_9:                              ;   in Loop: Header=BB104_10 Depth=1
	s_or_b32 exec_lo, exec_lo, s2
	v_add_nc_u32_e32 v10, s38, v10
	v_add_co_u32 v7, vcc_lo, v3, s20
	s_add_u32 s17, s17, s39
	s_addc_u32 s33, s33, 0
	v_add_co_ci_u32_e32 v8, vcc_lo, s21, v4, vcc_lo
	s_add_u32 s26, s26, s39
	s_addc_u32 s27, s27, 0
	v_cmp_le_i32_e32 vcc_lo, s20, v10
	v_add_co_u32 v3, s2, v3, s38
	s_add_u32 s12, s12, s39
	s_addc_u32 s13, s13, 0
	v_add_co_ci_u32_e64 v4, s2, 0, v4, s2
	s_add_u32 s9, s9, s39
	s_addc_u32 s37, s37, 0
	s_or_b32 s28, vcc_lo, s28
	global_store_b8 v[7:8], v6, off
	s_and_not1_b32 exec_lo, exec_lo, s28
	s_cbranch_execz .LBB104_46
.LBB104_10:                             ; =>This Inner Loop Header: Depth=1
	v_add_co_u32 v5, s2, s17, v9
	s_delay_alu instid0(VALU_DEP_1) | instskip(SKIP_1) | instid1(VALU_DEP_1)
	v_add_co_ci_u32_e64 v6, null, s33, 0, s2
	v_add_co_u32 v7, s2, s26, v9
	v_add_co_ci_u32_e64 v8, null, s27, 0, s2
	global_load_u16 v1, v[5:6], off
	global_load_u16 v5, v[7:8], off
	v_add_co_u32 v13, s2, s12, v9
	s_delay_alu instid0(VALU_DEP_1) | instskip(SKIP_1) | instid1(VALU_DEP_1)
	v_add_co_ci_u32_e64 v14, null, s13, 0, s2
	v_add_co_u32 v15, s2, s9, v9
	v_add_co_ci_u32_e64 v16, null, s37, 0, s2
	global_load_u16 v6, v[13:14], off
	global_load_u16 v7, v[15:16], off
	s_waitcnt vmcnt(3)
	v_cvt_f32_f16_e32 v8, v1
	s_waitcnt vmcnt(2)
	v_cvt_f32_f16_e32 v11, v5
	v_cmp_o_f16_e32 vcc_lo, v1, v1
	s_delay_alu instid0(VALU_DEP_3) | instskip(NEXT) | instid1(VALU_DEP_3)
	v_bfe_u32 v12, v8, 16, 1
	v_bfe_u32 v17, v11, 16, 1
	s_delay_alu instid0(VALU_DEP_2) | instskip(NEXT) | instid1(VALU_DEP_2)
	v_add3_u32 v8, v8, v12, 0x7fff
	v_add3_u32 v11, v11, v17, 0x7fff
	s_waitcnt vmcnt(1)
	v_lshlrev_b32_e32 v6, 16, v6
	s_waitcnt vmcnt(0)
	v_lshlrev_b32_e32 v7, 16, v7
	v_and_b32_e32 v8, 0xffff0000, v8
	v_and_b32_e32 v11, 0xffff0000, v11
	s_delay_alu instid0(VALU_DEP_2) | instskip(SKIP_1) | instid1(VALU_DEP_3)
	v_cndmask_b32_e32 v1, 0x7fc00000, v8, vcc_lo
	v_cmp_o_f16_e32 vcc_lo, v5, v5
	v_cndmask_b32_e32 v5, 0x7fc00000, v11, vcc_lo
	s_delay_alu instid0(VALU_DEP_1) | instskip(NEXT) | instid1(VALU_DEP_1)
	v_mul_f32_e32 v11, v5, v6
	v_bfe_u32 v17, v11, 16, 1
	s_delay_alu instid0(VALU_DEP_1) | instskip(SKIP_2) | instid1(VALU_DEP_3)
	v_add3_u32 v17, v11, v17, 0x7fff
	v_mul_f32_e32 v8, v1, v7
	v_mul_f32_e32 v1, v1, v6
	v_and_b32_e32 v17, 0xffff0000, v17
	s_delay_alu instid0(VALU_DEP_3) | instskip(SKIP_1) | instid1(VALU_DEP_4)
	v_bfe_u32 v12, v8, 16, 1
	v_cmp_o_f32_e32 vcc_lo, v8, v8
	v_bfe_u32 v18, v1, 16, 1
	s_delay_alu instid0(VALU_DEP_3) | instskip(NEXT) | instid1(VALU_DEP_2)
	v_add3_u32 v12, v8, v12, 0x7fff
	v_add3_u32 v18, v1, v18, 0x7fff
	s_delay_alu instid0(VALU_DEP_2) | instskip(NEXT) | instid1(VALU_DEP_1)
	v_and_b32_e32 v12, 0xffff0000, v12
	v_cndmask_b32_e32 v8, 0x7fc00000, v12, vcc_lo
	v_cmp_o_f32_e32 vcc_lo, v11, v11
	v_cndmask_b32_e32 v11, 0x7fc00000, v17, vcc_lo
	s_delay_alu instid0(VALU_DEP_1) | instskip(NEXT) | instid1(VALU_DEP_1)
	v_sub_f32_e32 v8, v8, v11
	v_bfe_u32 v11, v8, 16, 1
	v_cmp_o_f32_e32 vcc_lo, v8, v8
	s_delay_alu instid0(VALU_DEP_2) | instskip(NEXT) | instid1(VALU_DEP_1)
	v_add3_u32 v11, v8, v11, 0x7fff
	v_lshrrev_b32_e32 v11, 16, v11
	s_delay_alu instid0(VALU_DEP_1) | instskip(NEXT) | instid1(VALU_DEP_1)
	v_cndmask_b32_e32 v17, 0x7fc0, v11, vcc_lo
	v_dual_mul_f32 v5, v5, v7 :: v_dual_lshlrev_b32 v8, 16, v17
	s_waitcnt lgkmcnt(0)
	s_delay_alu instid0(VALU_DEP_1) | instskip(NEXT) | instid1(VALU_DEP_2)
	v_div_scale_f32 v11, null, s8, s8, v8
	v_bfe_u32 v6, v5, 16, 1
	v_cmp_o_f32_e64 s2, v5, v5
	s_delay_alu instid0(VALU_DEP_3) | instskip(NEXT) | instid1(VALU_DEP_2)
	v_rcp_f32_e32 v12, v11
	v_add3_u32 v6, v5, v6, 0x7fff
	s_delay_alu instid0(VALU_DEP_1) | instskip(SKIP_4) | instid1(VALU_DEP_3)
	v_and_b32_e32 v6, 0xffff0000, v6
	s_waitcnt_depctr 0xfff
	v_fma_f32 v7, -v11, v12, 1.0
	v_cndmask_b32_e64 v5, 0x7fc00000, v6, s2
	v_cmp_o_f32_e64 s2, v1, v1
	v_fmac_f32_e32 v12, v7, v12
	v_div_scale_f32 v7, vcc_lo, v8, s8, v8
	s_delay_alu instid0(VALU_DEP_1) | instskip(NEXT) | instid1(VALU_DEP_1)
	v_mul_f32_e32 v19, v7, v12
	v_fma_f32 v20, -v11, v19, v7
	s_delay_alu instid0(VALU_DEP_1) | instskip(NEXT) | instid1(VALU_DEP_1)
	v_dual_fmac_f32 v19, v20, v12 :: v_dual_and_b32 v18, 0xffff0000, v18
	v_cndmask_b32_e64 v1, 0x7fc00000, v18, s2
	s_delay_alu instid0(VALU_DEP_2) | instskip(NEXT) | instid1(VALU_DEP_2)
	v_fma_f32 v6, -v11, v19, v7
	v_add_f32_e32 v1, v1, v5
	s_delay_alu instid0(VALU_DEP_2) | instskip(NEXT) | instid1(VALU_DEP_2)
	v_div_fmas_f32 v5, v6, v12, v19
	v_bfe_u32 v6, v1, 16, 1
	s_delay_alu instid0(VALU_DEP_2) | instskip(NEXT) | instid1(VALU_DEP_2)
	v_div_fixup_f32 v5, v5, s8, v8
	v_add3_u32 v7, v1, v6, 0x7fff
	v_mov_b32_e32 v8, v2
	s_delay_alu instid0(VALU_DEP_3) | instskip(NEXT) | instid1(VALU_DEP_3)
	v_lshrrev_b32_e32 v6, 24, v5
	v_lshrrev_b32_e32 v11, 16, v7
	v_and_b32_e32 v7, 0x7f800000, v5
	s_delay_alu instid0(VALU_DEP_3)
	v_and_b32_e32 v12, 0x80, v6
	v_cmp_o_f32_e32 vcc_lo, v1, v1
	v_and_b32_e32 v1, 0x7fffff, v5
	v_cndmask_b32_e32 v11, 0x7fc0, v11, vcc_lo
	v_cmp_ne_u64_e32 vcc_lo, 0x7f800000, v[7:8]
	v_or_b32_e32 v7, 0x7e, v12
	global_store_b16 v[15:16], v17, off
	global_store_b16 v[13:14], v11, off
	s_and_saveexec_b32 s2, vcc_lo
	s_delay_alu instid0(SALU_CYCLE_1)
	s_xor_b32 s29, exec_lo, s2
	s_cbranch_execz .LBB104_26
; %bb.11:                               ;   in Loop: Header=BB104_10 Depth=1
	v_dual_mov_b32 v14, v2 :: v_dual_and_b32 v13, 0x7fffffff, v5
	s_mov_b32 s2, exec_lo
	s_delay_alu instid0(VALU_DEP_1)
	v_cmpx_gt_u64_e32 0x43e00001, v[13:14]
	s_xor_b32 s40, exec_lo, s2
	s_cbranch_execz .LBB104_25
; %bb.12:                               ;   in Loop: Header=BB104_10 Depth=1
	v_mov_b32_e32 v7, 0
	s_mov_b32 s41, exec_lo
	v_cmpx_ne_u32_e32 0, v5
	s_cbranch_execz .LBB104_24
; %bb.13:                               ;   in Loop: Header=BB104_10 Depth=1
	v_bfe_u32 v13, v5, 23, 8
	v_or_b32_e32 v7, 0x800000, v1
	s_delay_alu instid0(VALU_DEP_2) | instskip(SKIP_1) | instid1(VALU_DEP_2)
	v_sub_nc_u32_e32 v5, 0x79, v13
	v_cmp_gt_u32_e32 vcc_lo, 0x7a, v13
	v_cndmask_b32_e32 v5, 0, v5, vcc_lo
	v_cmp_eq_u32_e32 vcc_lo, 0, v13
	s_delay_alu instid0(VALU_DEP_2) | instskip(SKIP_1) | instid1(VALU_DEP_2)
	v_cndmask_b32_e64 v14, v5, 0x78, vcc_lo
	v_cndmask_b32_e32 v1, v7, v1, vcc_lo
	v_add_nc_u32_e32 v5, 20, v14
	v_add_nc_u32_e32 v7, 19, v14
	s_delay_alu instid0(VALU_DEP_2) | instskip(NEXT) | instid1(VALU_DEP_2)
	v_lshlrev_b64 v[5:6], v5, -1
	v_lshlrev_b64 v[7:8], v7, 1
	s_delay_alu instid0(VALU_DEP_2) | instskip(NEXT) | instid1(VALU_DEP_3)
	v_not_b32_e32 v6, v6
	v_not_b32_e32 v5, v5
	s_delay_alu instid0(VALU_DEP_2) | instskip(NEXT) | instid1(VALU_DEP_2)
	v_and_b32_e32 v16, 0, v6
	v_and_b32_e32 v15, v1, v5
	v_lshrrev_b64 v[5:6], v14, v[1:2]
	s_delay_alu instid0(VALU_DEP_2) | instskip(NEXT) | instid1(VALU_DEP_2)
	v_cmp_eq_u64_e64 s2, v[15:16], v[7:8]
	v_dual_mov_b32 v8, v6 :: v_dual_mov_b32 v7, v5
	s_delay_alu instid0(VALU_DEP_2)
	s_and_saveexec_b32 s42, s2
; %bb.14:                               ;   in Loop: Header=BB104_10 Depth=1
	v_bfe_u32 v1, v5, 20, 1
	s_delay_alu instid0(VALU_DEP_1) | instskip(NEXT) | instid1(VALU_DEP_1)
	v_add_co_u32 v1, s2, v5, v1
	v_add_co_u32 v7, s2, v1, -1
; %bb.15:                               ;   in Loop: Header=BB104_10 Depth=1
	s_or_b32 exec_lo, exec_lo, s42
	v_add_nc_u32_e32 v1, 0xffffff81, v13
	v_lshrrev_b32_e32 v8, 23, v5
	s_mov_b32 s2, exec_lo
	s_delay_alu instid0(VALU_DEP_2) | instskip(NEXT) | instid1(VALU_DEP_1)
	v_cndmask_b32_e64 v1, v1, 0xffffff82, vcc_lo
	v_add3_u32 v8, v14, v1, v8
	v_and_b32_e32 v1, 0xfffff, v7
	s_delay_alu instid0(VALU_DEP_2) | instskip(NEXT) | instid1(VALU_DEP_2)
	v_add_nc_u32_e32 v7, 6, v8
	v_add_co_u32 v5, vcc_lo, v1, v5
	v_add_co_ci_u32_e32 v6, vcc_lo, 0, v6, vcc_lo
                                        ; implicit-def: $vgpr1
	s_delay_alu instid0(VALU_DEP_3)
	v_cmpx_ne_u32_e32 0, v7
	s_xor_b32 s2, exec_lo, s2
; %bb.16:                               ;   in Loop: Header=BB104_10 Depth=1
	s_delay_alu instid0(VALU_DEP_2) | instskip(SKIP_1) | instid1(VALU_DEP_1)
	v_cmp_lt_u64_e32 vcc_lo, 0xffffff, v[5:6]
	v_add_nc_u32_e32 v1, 7, v8
	v_cndmask_b32_e32 v1, v7, v1, vcc_lo
	v_cndmask_b32_e64 v7, 0, 1, vcc_lo
	s_delay_alu instid0(VALU_DEP_1)
	v_lshrrev_b64 v[5:6], v7, v[5:6]
; %bb.17:                               ;   in Loop: Header=BB104_10 Depth=1
	s_and_not1_saveexec_b32 s2, s2
; %bb.18:                               ;   in Loop: Header=BB104_10 Depth=1
	s_delay_alu instid0(VALU_DEP_1)
	v_bfe_u32 v1, v5, 23, 1
; %bb.19:                               ;   in Loop: Header=BB104_10 Depth=1
	s_or_b32 exec_lo, exec_lo, s2
	s_delay_alu instid0(VALU_DEP_2) | instskip(NEXT) | instid1(VALU_DEP_2)
	v_lshrrev_b64 v[5:6], 20, v[5:6]
	v_cmp_gt_i32_e32 vcc_lo, 16, v1
	v_cmp_ne_u32_e64 s2, 0, v1
                                        ; implicit-def: $vgpr7
	s_delay_alu instid0(VALU_DEP_3) | instskip(NEXT) | instid1(VALU_DEP_1)
	v_dual_cndmask_b32 v6, 0, v6 :: v_dual_cndmask_b32 v5, 7, v5
	v_cmp_ne_u64_e32 vcc_lo, 0, v[5:6]
	s_delay_alu instid0(VALU_DEP_3) | instskip(NEXT) | instid1(SALU_CYCLE_1)
	s_or_b32 s2, s2, vcc_lo
	s_and_saveexec_b32 s42, s2
	s_delay_alu instid0(SALU_CYCLE_1)
	s_xor_b32 s2, exec_lo, s42
; %bb.20:                               ;   in Loop: Header=BB104_10 Depth=1
	v_min_i32_e32 v1, 15, v1
	s_delay_alu instid0(VALU_DEP_1) | instskip(NEXT) | instid1(VALU_DEP_1)
	v_lshl_or_b32 v1, v1, 3, v12
                                        ; implicit-def: $vgpr12
	v_and_or_b32 v7, v5, 7, v1
; %bb.21:                               ;   in Loop: Header=BB104_10 Depth=1
	s_and_not1_saveexec_b32 s2, s2
; %bb.22:                               ;   in Loop: Header=BB104_10 Depth=1
	v_mov_b32_e32 v7, v12
; %bb.23:                               ;   in Loop: Header=BB104_10 Depth=1
	s_or_b32 exec_lo, exec_lo, s2
.LBB104_24:                             ;   in Loop: Header=BB104_10 Depth=1
	s_delay_alu instid0(SALU_CYCLE_1)
	s_or_b32 exec_lo, exec_lo, s41
.LBB104_25:                             ;   in Loop: Header=BB104_10 Depth=1
	s_and_not1_saveexec_b32 s2, s40
	s_delay_alu instid0(SALU_CYCLE_1)
	s_or_b32 exec_lo, exec_lo, s2
                                        ; implicit-def: $vgpr6
.LBB104_26:                             ;   in Loop: Header=BB104_10 Depth=1
	s_and_not1_saveexec_b32 s2, s29
; %bb.27:                               ;   in Loop: Header=BB104_10 Depth=1
	v_cmp_eq_u64_e32 vcc_lo, 0, v[1:2]
	v_or_b32_e32 v5, 0x7f, v6
	s_delay_alu instid0(VALU_DEP_1)
	v_cndmask_b32_e32 v7, v5, v7, vcc_lo
; %bb.28:                               ;   in Loop: Header=BB104_10 Depth=1
	s_or_b32 exec_lo, exec_lo, s2
	v_lshlrev_b32_e32 v1, 16, v11
	v_mov_b32_e32 v13, v2
	global_store_b8 v[3:4], v7, off
	s_mov_b32 s2, exec_lo
	v_div_scale_f32 v5, null, s8, s8, v1
	s_delay_alu instid0(VALU_DEP_1) | instskip(SKIP_2) | instid1(VALU_DEP_1)
	v_rcp_f32_e32 v6, v5
	s_waitcnt_depctr 0xfff
	v_fma_f32 v8, -v5, v6, 1.0
	v_fmac_f32_e32 v6, v8, v6
	v_div_scale_f32 v8, vcc_lo, v1, s8, v1
	s_delay_alu instid0(VALU_DEP_1) | instskip(NEXT) | instid1(VALU_DEP_1)
	v_mul_f32_e32 v11, v8, v6
	v_fma_f32 v12, -v5, v11, v8
	s_delay_alu instid0(VALU_DEP_1) | instskip(NEXT) | instid1(VALU_DEP_1)
	v_fmac_f32_e32 v11, v12, v6
	v_fma_f32 v5, -v5, v11, v8
	s_delay_alu instid0(VALU_DEP_1) | instskip(NEXT) | instid1(VALU_DEP_1)
	v_div_fmas_f32 v5, v5, v6, v11
	v_div_fixup_f32 v5, v5, s8, v1
	s_delay_alu instid0(VALU_DEP_1) | instskip(SKIP_2) | instid1(VALU_DEP_2)
	v_and_b32_e32 v12, 0x7f800000, v5
	v_lshrrev_b32_e32 v8, 24, v5
	v_and_b32_e32 v1, 0x7fffff, v5
	v_and_b32_e32 v11, 0x80, v8
	s_delay_alu instid0(VALU_DEP_1)
	v_or_b32_e32 v6, 0x7e, v11
	v_cmpx_ne_u64_e32 0x7f800000, v[12:13]
	s_xor_b32 s29, exec_lo, s2
	s_cbranch_execz .LBB104_44
; %bb.29:                               ;   in Loop: Header=BB104_10 Depth=1
	v_dual_mov_b32 v8, v2 :: v_dual_and_b32 v7, 0x7fffffff, v5
	s_mov_b32 s2, exec_lo
	s_delay_alu instid0(VALU_DEP_1)
	v_cmpx_gt_u64_e32 0x43e00001, v[7:8]
	s_xor_b32 s40, exec_lo, s2
	s_cbranch_execz .LBB104_43
; %bb.30:                               ;   in Loop: Header=BB104_10 Depth=1
	v_mov_b32_e32 v6, 0
	s_mov_b32 s41, exec_lo
	v_cmpx_ne_u32_e32 0, v5
	s_cbranch_execz .LBB104_42
; %bb.31:                               ;   in Loop: Header=BB104_10 Depth=1
	v_bfe_u32 v12, v5, 23, 8
	v_or_b32_e32 v7, 0x800000, v1
	s_delay_alu instid0(VALU_DEP_2) | instskip(SKIP_1) | instid1(VALU_DEP_2)
	v_sub_nc_u32_e32 v5, 0x79, v12
	v_cmp_gt_u32_e32 vcc_lo, 0x7a, v12
	v_cndmask_b32_e32 v5, 0, v5, vcc_lo
	v_cmp_eq_u32_e32 vcc_lo, 0, v12
	s_delay_alu instid0(VALU_DEP_2) | instskip(SKIP_1) | instid1(VALU_DEP_2)
	v_cndmask_b32_e64 v13, v5, 0x78, vcc_lo
	v_cndmask_b32_e32 v1, v7, v1, vcc_lo
	v_add_nc_u32_e32 v5, 20, v13
	v_add_nc_u32_e32 v7, 19, v13
	s_delay_alu instid0(VALU_DEP_2) | instskip(NEXT) | instid1(VALU_DEP_2)
	v_lshlrev_b64 v[5:6], v5, -1
	v_lshlrev_b64 v[7:8], v7, 1
	s_delay_alu instid0(VALU_DEP_2) | instskip(NEXT) | instid1(VALU_DEP_3)
	v_not_b32_e32 v6, v6
	v_not_b32_e32 v5, v5
	s_delay_alu instid0(VALU_DEP_2) | instskip(NEXT) | instid1(VALU_DEP_2)
	v_and_b32_e32 v15, 0, v6
	v_and_b32_e32 v14, v1, v5
	v_lshrrev_b64 v[5:6], v13, v[1:2]
	s_delay_alu instid0(VALU_DEP_2) | instskip(NEXT) | instid1(VALU_DEP_2)
	v_cmp_eq_u64_e64 s2, v[14:15], v[7:8]
	v_dual_mov_b32 v8, v6 :: v_dual_mov_b32 v7, v5
	s_delay_alu instid0(VALU_DEP_2)
	s_and_saveexec_b32 s42, s2
; %bb.32:                               ;   in Loop: Header=BB104_10 Depth=1
	v_bfe_u32 v1, v5, 20, 1
	s_delay_alu instid0(VALU_DEP_1) | instskip(NEXT) | instid1(VALU_DEP_1)
	v_add_co_u32 v1, s2, v5, v1
	v_add_co_u32 v7, s2, v1, -1
; %bb.33:                               ;   in Loop: Header=BB104_10 Depth=1
	s_or_b32 exec_lo, exec_lo, s42
	v_add_nc_u32_e32 v1, 0xffffff81, v12
	v_lshrrev_b32_e32 v8, 23, v5
	s_mov_b32 s2, exec_lo
	s_delay_alu instid0(VALU_DEP_2) | instskip(NEXT) | instid1(VALU_DEP_1)
	v_cndmask_b32_e64 v1, v1, 0xffffff82, vcc_lo
	v_add3_u32 v8, v13, v1, v8
	v_and_b32_e32 v1, 0xfffff, v7
	s_delay_alu instid0(VALU_DEP_2) | instskip(NEXT) | instid1(VALU_DEP_2)
	v_add_nc_u32_e32 v7, 6, v8
	v_add_co_u32 v5, vcc_lo, v1, v5
	v_add_co_ci_u32_e32 v6, vcc_lo, 0, v6, vcc_lo
                                        ; implicit-def: $vgpr1
	s_delay_alu instid0(VALU_DEP_3)
	v_cmpx_ne_u32_e32 0, v7
	s_xor_b32 s2, exec_lo, s2
; %bb.34:                               ;   in Loop: Header=BB104_10 Depth=1
	s_delay_alu instid0(VALU_DEP_2) | instskip(SKIP_1) | instid1(VALU_DEP_1)
	v_cmp_lt_u64_e32 vcc_lo, 0xffffff, v[5:6]
	v_add_nc_u32_e32 v1, 7, v8
	v_cndmask_b32_e32 v1, v7, v1, vcc_lo
	v_cndmask_b32_e64 v7, 0, 1, vcc_lo
	s_delay_alu instid0(VALU_DEP_1)
	v_lshrrev_b64 v[5:6], v7, v[5:6]
; %bb.35:                               ;   in Loop: Header=BB104_10 Depth=1
	s_and_not1_saveexec_b32 s2, s2
; %bb.36:                               ;   in Loop: Header=BB104_10 Depth=1
	s_delay_alu instid0(VALU_DEP_1)
	v_bfe_u32 v1, v5, 23, 1
; %bb.37:                               ;   in Loop: Header=BB104_10 Depth=1
	s_or_b32 exec_lo, exec_lo, s2
	s_delay_alu instid0(VALU_DEP_2) | instskip(NEXT) | instid1(VALU_DEP_2)
	v_lshrrev_b64 v[5:6], 20, v[5:6]
	v_cmp_gt_i32_e32 vcc_lo, 16, v1
	v_cmp_ne_u32_e64 s2, 0, v1
	s_delay_alu instid0(VALU_DEP_3) | instskip(NEXT) | instid1(VALU_DEP_1)
	v_dual_cndmask_b32 v6, 0, v6 :: v_dual_cndmask_b32 v5, 7, v5
	v_cmp_ne_u64_e32 vcc_lo, 0, v[5:6]
                                        ; implicit-def: $vgpr6
	s_delay_alu instid0(VALU_DEP_3) | instskip(NEXT) | instid1(SALU_CYCLE_1)
	s_or_b32 s2, s2, vcc_lo
	s_and_saveexec_b32 s42, s2
	s_delay_alu instid0(SALU_CYCLE_1)
	s_xor_b32 s2, exec_lo, s42
; %bb.38:                               ;   in Loop: Header=BB104_10 Depth=1
	v_min_i32_e32 v1, 15, v1
	s_delay_alu instid0(VALU_DEP_1) | instskip(NEXT) | instid1(VALU_DEP_1)
	v_lshl_or_b32 v1, v1, 3, v11
                                        ; implicit-def: $vgpr11
	v_and_or_b32 v6, v5, 7, v1
; %bb.39:                               ;   in Loop: Header=BB104_10 Depth=1
	s_and_not1_saveexec_b32 s2, s2
; %bb.40:                               ;   in Loop: Header=BB104_10 Depth=1
	v_mov_b32_e32 v6, v11
; %bb.41:                               ;   in Loop: Header=BB104_10 Depth=1
	s_or_b32 exec_lo, exec_lo, s2
.LBB104_42:                             ;   in Loop: Header=BB104_10 Depth=1
	s_delay_alu instid0(SALU_CYCLE_1)
	s_or_b32 exec_lo, exec_lo, s41
.LBB104_43:                             ;   in Loop: Header=BB104_10 Depth=1
	s_and_not1_saveexec_b32 s2, s40
	s_delay_alu instid0(SALU_CYCLE_1)
	s_or_b32 exec_lo, exec_lo, s2
                                        ; implicit-def: $vgpr8
.LBB104_44:                             ;   in Loop: Header=BB104_10 Depth=1
	s_and_not1_saveexec_b32 s2, s29
	s_cbranch_execz .LBB104_9
; %bb.45:                               ;   in Loop: Header=BB104_10 Depth=1
	v_cmp_eq_u64_e32 vcc_lo, 0, v[1:2]
	v_or_b32_e32 v5, 0x7f, v8
	s_delay_alu instid0(VALU_DEP_1)
	v_cndmask_b32_e32 v6, v5, v6, vcc_lo
	s_branch .LBB104_9
.LBB104_46:
	s_or_b32 exec_lo, exec_lo, s36
	s_delay_alu instid0(SALU_CYCLE_1)
	s_mov_b32 s2, exec_lo
	v_cmpx_gt_i32_e64 s6, v0
	s_cbranch_execz .LBB104_67
; %bb.47:
	s_mul_i32 s2, s16, s11
	s_mul_hi_u32 s9, s16, s10
	s_mul_i32 s8, s16, s10
	s_add_i32 s9, s9, s2
	s_load_b32 s0, s[0:1], 0x8c
	s_lshl_b64 s[8:9], s[8:9], 1
	v_mov_b32_e32 v3, 0
	s_add_u32 s1, s14, s8
	s_addc_u32 s2, s15, s9
	s_ashr_i32 s8, s4, 31
	s_waitcnt lgkmcnt(0)
	s_load_b32 s4, s[24:25], 0x0
	s_mul_i32 s8, s22, s8
	s_delay_alu instid0(SALU_CYCLE_1) | instskip(NEXT) | instid1(SALU_CYCLE_1)
	s_add_i32 s8, s31, s8
	s_add_i32 s8, s8, s34
	s_add_u32 s9, s18, s35
	s_addc_u32 s8, s19, s8
	s_ashr_i32 s5, s5, 31
	s_delay_alu instid0(SALU_CYCLE_1) | instskip(NEXT) | instid1(SALU_CYCLE_1)
	s_mul_i32 s3, s3, s5
	s_add_i32 s3, s30, s3
	s_delay_alu instid0(SALU_CYCLE_1)
	s_add_i32 s5, s3, s7
	s_add_u32 s3, s9, s23
	s_addc_u32 s5, s8, s5
	s_and_b32 s7, s0, 0xffff
	s_mov_b32 s8, 0
	s_branch .LBB104_49
.LBB104_48:                             ;   in Loop: Header=BB104_49 Depth=1
	s_or_b32 exec_lo, exec_lo, s0
	v_add_co_u32 v6, vcc_lo, s3, v0
	v_add_nc_u32_e32 v0, s7, v0
	v_add_co_ci_u32_e32 v7, vcc_lo, s5, v1, vcc_lo
	s_delay_alu instid0(VALU_DEP_2) | instskip(SKIP_2) | instid1(SALU_CYCLE_1)
	v_cmp_le_i32_e32 vcc_lo, s6, v0
	global_store_b8 v[6:7], v5, off
	s_or_b32 s8, vcc_lo, s8
	s_and_not1_b32 exec_lo, exec_lo, s8
	s_cbranch_execz .LBB104_67
.LBB104_49:                             ; =>This Inner Loop Header: Depth=1
	v_ashrrev_i32_e32 v1, 31, v0
	s_mov_b32 s0, exec_lo
	v_mov_b32_e32 v10, v3
	s_delay_alu instid0(VALU_DEP_2) | instskip(NEXT) | instid1(VALU_DEP_1)
	v_lshlrev_b64 v[4:5], 1, v[0:1]
	v_add_co_u32 v4, vcc_lo, s1, v4
	s_delay_alu instid0(VALU_DEP_2) | instskip(SKIP_4) | instid1(VALU_DEP_1)
	v_add_co_ci_u32_e32 v5, vcc_lo, s2, v5, vcc_lo
	global_load_u16 v2, v[4:5], off
	s_waitcnt vmcnt(0)
	v_lshlrev_b32_e32 v2, 16, v2
	s_waitcnt lgkmcnt(0)
	v_div_scale_f32 v4, null, s4, s4, v2
	s_delay_alu instid0(VALU_DEP_1) | instskip(SKIP_2) | instid1(VALU_DEP_1)
	v_rcp_f32_e32 v5, v4
	s_waitcnt_depctr 0xfff
	v_fma_f32 v6, -v4, v5, 1.0
	v_fmac_f32_e32 v5, v6, v5
	v_div_scale_f32 v6, vcc_lo, v2, s4, v2
	s_delay_alu instid0(VALU_DEP_1) | instskip(NEXT) | instid1(VALU_DEP_1)
	v_mul_f32_e32 v7, v6, v5
	v_fma_f32 v8, -v4, v7, v6
	s_delay_alu instid0(VALU_DEP_1) | instskip(NEXT) | instid1(VALU_DEP_1)
	v_fmac_f32_e32 v7, v8, v5
	v_fma_f32 v4, -v4, v7, v6
	s_delay_alu instid0(VALU_DEP_1) | instskip(NEXT) | instid1(VALU_DEP_1)
	v_div_fmas_f32 v4, v4, v5, v7
	v_div_fixup_f32 v4, v4, s4, v2
	s_delay_alu instid0(VALU_DEP_1) | instskip(SKIP_2) | instid1(VALU_DEP_3)
	v_lshrrev_b32_e32 v6, 24, v4
	v_and_b32_e32 v9, 0x7f800000, v4
	v_and_b32_e32 v2, 0x7fffff, v4
	v_and_b32_e32 v8, 0x80, v6
	s_delay_alu instid0(VALU_DEP_1) | instskip(NEXT) | instid1(VALU_DEP_4)
	v_or_b32_e32 v5, 0x7e, v8
	v_cmpx_ne_u64_e32 0x7f800000, v[9:10]
	s_xor_b32 s9, exec_lo, s0
	s_cbranch_execz .LBB104_65
; %bb.50:                               ;   in Loop: Header=BB104_49 Depth=1
	v_dual_mov_b32 v7, v3 :: v_dual_and_b32 v6, 0x7fffffff, v4
	s_mov_b32 s0, exec_lo
	s_delay_alu instid0(VALU_DEP_1)
	v_cmpx_gt_u64_e32 0x43e00001, v[6:7]
	s_xor_b32 s10, exec_lo, s0
	s_cbranch_execz .LBB104_64
; %bb.51:                               ;   in Loop: Header=BB104_49 Depth=1
	v_mov_b32_e32 v5, 0
	s_mov_b32 s11, exec_lo
	v_cmpx_ne_u32_e32 0, v4
	s_cbranch_execz .LBB104_63
; %bb.52:                               ;   in Loop: Header=BB104_49 Depth=1
	v_bfe_u32 v9, v4, 23, 8
	v_or_b32_e32 v6, 0x800000, v2
	s_delay_alu instid0(VALU_DEP_2) | instskip(SKIP_1) | instid1(VALU_DEP_2)
	v_sub_nc_u32_e32 v4, 0x79, v9
	v_cmp_gt_u32_e32 vcc_lo, 0x7a, v9
	v_cndmask_b32_e32 v4, 0, v4, vcc_lo
	v_cmp_eq_u32_e32 vcc_lo, 0, v9
	s_delay_alu instid0(VALU_DEP_2) | instskip(SKIP_1) | instid1(VALU_DEP_2)
	v_cndmask_b32_e64 v10, v4, 0x78, vcc_lo
	v_cndmask_b32_e32 v2, v6, v2, vcc_lo
	v_add_nc_u32_e32 v4, 20, v10
	v_add_nc_u32_e32 v6, 19, v10
	s_delay_alu instid0(VALU_DEP_2) | instskip(NEXT) | instid1(VALU_DEP_2)
	v_lshlrev_b64 v[4:5], v4, -1
	v_lshlrev_b64 v[6:7], v6, 1
	s_delay_alu instid0(VALU_DEP_2) | instskip(NEXT) | instid1(VALU_DEP_3)
	v_not_b32_e32 v5, v5
	v_not_b32_e32 v4, v4
	s_delay_alu instid0(VALU_DEP_2) | instskip(NEXT) | instid1(VALU_DEP_2)
	v_and_b32_e32 v12, 0, v5
	v_and_b32_e32 v11, v2, v4
	v_lshrrev_b64 v[4:5], v10, v[2:3]
	s_delay_alu instid0(VALU_DEP_2) | instskip(NEXT) | instid1(VALU_DEP_2)
	v_cmp_eq_u64_e64 s0, v[11:12], v[6:7]
	v_dual_mov_b32 v7, v5 :: v_dual_mov_b32 v6, v4
	s_delay_alu instid0(VALU_DEP_2)
	s_and_saveexec_b32 s12, s0
; %bb.53:                               ;   in Loop: Header=BB104_49 Depth=1
	v_bfe_u32 v2, v4, 20, 1
	s_delay_alu instid0(VALU_DEP_1) | instskip(NEXT) | instid1(VALU_DEP_1)
	v_add_co_u32 v2, s0, v4, v2
	v_add_co_u32 v6, s0, v2, -1
; %bb.54:                               ;   in Loop: Header=BB104_49 Depth=1
	s_or_b32 exec_lo, exec_lo, s12
	v_add_nc_u32_e32 v2, 0xffffff81, v9
	v_lshrrev_b32_e32 v7, 23, v4
	s_mov_b32 s0, exec_lo
	s_delay_alu instid0(VALU_DEP_2) | instskip(NEXT) | instid1(VALU_DEP_1)
	v_cndmask_b32_e64 v2, v2, 0xffffff82, vcc_lo
	v_add3_u32 v7, v10, v2, v7
	v_and_b32_e32 v2, 0xfffff, v6
	s_delay_alu instid0(VALU_DEP_2) | instskip(NEXT) | instid1(VALU_DEP_2)
	v_add_nc_u32_e32 v6, 6, v7
	v_add_co_u32 v4, vcc_lo, v2, v4
	v_add_co_ci_u32_e32 v5, vcc_lo, 0, v5, vcc_lo
                                        ; implicit-def: $vgpr2
	s_delay_alu instid0(VALU_DEP_3)
	v_cmpx_ne_u32_e32 0, v6
	s_xor_b32 s0, exec_lo, s0
; %bb.55:                               ;   in Loop: Header=BB104_49 Depth=1
	s_delay_alu instid0(VALU_DEP_2) | instskip(SKIP_1) | instid1(VALU_DEP_1)
	v_cmp_lt_u64_e32 vcc_lo, 0xffffff, v[4:5]
	v_add_nc_u32_e32 v2, 7, v7
	v_cndmask_b32_e32 v2, v6, v2, vcc_lo
	v_cndmask_b32_e64 v6, 0, 1, vcc_lo
	s_delay_alu instid0(VALU_DEP_1)
	v_lshrrev_b64 v[4:5], v6, v[4:5]
; %bb.56:                               ;   in Loop: Header=BB104_49 Depth=1
	s_and_not1_saveexec_b32 s0, s0
; %bb.57:                               ;   in Loop: Header=BB104_49 Depth=1
	s_delay_alu instid0(VALU_DEP_1)
	v_bfe_u32 v2, v4, 23, 1
; %bb.58:                               ;   in Loop: Header=BB104_49 Depth=1
	s_or_b32 exec_lo, exec_lo, s0
	s_delay_alu instid0(VALU_DEP_2) | instskip(NEXT) | instid1(VALU_DEP_2)
	v_lshrrev_b64 v[4:5], 20, v[4:5]
	v_cmp_gt_i32_e32 vcc_lo, 16, v2
	v_cmp_ne_u32_e64 s0, 0, v2
	s_delay_alu instid0(VALU_DEP_3) | instskip(NEXT) | instid1(VALU_DEP_1)
	v_dual_cndmask_b32 v5, 0, v5 :: v_dual_cndmask_b32 v4, 7, v4
	v_cmp_ne_u64_e32 vcc_lo, 0, v[4:5]
                                        ; implicit-def: $vgpr5
	s_delay_alu instid0(VALU_DEP_3) | instskip(NEXT) | instid1(SALU_CYCLE_1)
	s_or_b32 s0, s0, vcc_lo
	s_and_saveexec_b32 s12, s0
	s_delay_alu instid0(SALU_CYCLE_1)
	s_xor_b32 s0, exec_lo, s12
; %bb.59:                               ;   in Loop: Header=BB104_49 Depth=1
	v_min_i32_e32 v2, 15, v2
	s_delay_alu instid0(VALU_DEP_1) | instskip(NEXT) | instid1(VALU_DEP_1)
	v_lshl_or_b32 v2, v2, 3, v8
                                        ; implicit-def: $vgpr8
	v_and_or_b32 v5, v4, 7, v2
; %bb.60:                               ;   in Loop: Header=BB104_49 Depth=1
	s_and_not1_saveexec_b32 s0, s0
; %bb.61:                               ;   in Loop: Header=BB104_49 Depth=1
	v_mov_b32_e32 v5, v8
; %bb.62:                               ;   in Loop: Header=BB104_49 Depth=1
	s_or_b32 exec_lo, exec_lo, s0
.LBB104_63:                             ;   in Loop: Header=BB104_49 Depth=1
	s_delay_alu instid0(SALU_CYCLE_1)
	s_or_b32 exec_lo, exec_lo, s11
.LBB104_64:                             ;   in Loop: Header=BB104_49 Depth=1
	s_and_not1_saveexec_b32 s0, s10
	s_delay_alu instid0(SALU_CYCLE_1)
	s_or_b32 exec_lo, exec_lo, s0
                                        ; implicit-def: $vgpr6
.LBB104_65:                             ;   in Loop: Header=BB104_49 Depth=1
	s_and_not1_saveexec_b32 s0, s9
	s_cbranch_execz .LBB104_48
; %bb.66:                               ;   in Loop: Header=BB104_49 Depth=1
	v_cmp_eq_u64_e32 vcc_lo, 0, v[2:3]
	v_or_b32_e32 v4, 0x7f, v6
	s_delay_alu instid0(VALU_DEP_1)
	v_cndmask_b32_e32 v5, v4, v5, vcc_lo
	s_branch .LBB104_48
.LBB104_67:
	s_nop 0
	s_sendmsg sendmsg(MSG_DEALLOC_VGPRS)
	s_endpgm
.LBB104_68:
                                        ; implicit-def: $sgpr22_sgpr23
	s_branch .LBB104_6
	.section	.rodata,"a",@progbits
	.p2align	6, 0x0
	.amdhsa_kernel _ZN4vllm38concat_and_cache_mla_rope_fused_kernelIN3c108BFloat16ENS1_4HalfELb1E14__hip_bfloat16hLNS_18Fp8KVCacheDataTypeE1EEEvPKlPT_S9_PKS8_PKT0_illlliPT3_S7_iiiiPKf
		.amdhsa_group_segment_fixed_size 0
		.amdhsa_private_segment_fixed_size 0
		.amdhsa_kernarg_size 384
		.amdhsa_user_sgpr_count 15
		.amdhsa_user_sgpr_dispatch_ptr 0
		.amdhsa_user_sgpr_queue_ptr 0
		.amdhsa_user_sgpr_kernarg_segment_ptr 1
		.amdhsa_user_sgpr_dispatch_id 0
		.amdhsa_user_sgpr_private_segment_size 0
		.amdhsa_wavefront_size32 1
		.amdhsa_uses_dynamic_stack 0
		.amdhsa_enable_private_segment 0
		.amdhsa_system_sgpr_workgroup_id_x 1
		.amdhsa_system_sgpr_workgroup_id_y 0
		.amdhsa_system_sgpr_workgroup_id_z 0
		.amdhsa_system_sgpr_workgroup_info 0
		.amdhsa_system_vgpr_workitem_id 0
		.amdhsa_next_free_vgpr 21
		.amdhsa_next_free_sgpr 47
		.amdhsa_reserve_vcc 1
		.amdhsa_float_round_mode_32 0
		.amdhsa_float_round_mode_16_64 0
		.amdhsa_float_denorm_mode_32 3
		.amdhsa_float_denorm_mode_16_64 3
		.amdhsa_dx10_clamp 1
		.amdhsa_ieee_mode 1
		.amdhsa_fp16_overflow 0
		.amdhsa_workgroup_processor_mode 1
		.amdhsa_memory_ordered 1
		.amdhsa_forward_progress 0
		.amdhsa_shared_vgpr_count 0
		.amdhsa_exception_fp_ieee_invalid_op 0
		.amdhsa_exception_fp_denorm_src 0
		.amdhsa_exception_fp_ieee_div_zero 0
		.amdhsa_exception_fp_ieee_overflow 0
		.amdhsa_exception_fp_ieee_underflow 0
		.amdhsa_exception_fp_ieee_inexact 0
		.amdhsa_exception_int_div_zero 0
	.end_amdhsa_kernel
	.section	.text._ZN4vllm38concat_and_cache_mla_rope_fused_kernelIN3c108BFloat16ENS1_4HalfELb1E14__hip_bfloat16hLNS_18Fp8KVCacheDataTypeE1EEEvPKlPT_S9_PKS8_PKT0_illlliPT3_S7_iiiiPKf,"axG",@progbits,_ZN4vllm38concat_and_cache_mla_rope_fused_kernelIN3c108BFloat16ENS1_4HalfELb1E14__hip_bfloat16hLNS_18Fp8KVCacheDataTypeE1EEEvPKlPT_S9_PKS8_PKT0_illlliPT3_S7_iiiiPKf,comdat
.Lfunc_end104:
	.size	_ZN4vllm38concat_and_cache_mla_rope_fused_kernelIN3c108BFloat16ENS1_4HalfELb1E14__hip_bfloat16hLNS_18Fp8KVCacheDataTypeE1EEEvPKlPT_S9_PKS8_PKT0_illlliPT3_S7_iiiiPKf, .Lfunc_end104-_ZN4vllm38concat_and_cache_mla_rope_fused_kernelIN3c108BFloat16ENS1_4HalfELb1E14__hip_bfloat16hLNS_18Fp8KVCacheDataTypeE1EEEvPKlPT_S9_PKS8_PKT0_illlliPT3_S7_iiiiPKf
                                        ; -- End function
	.section	.AMDGPU.csdata,"",@progbits
; Kernel info:
; codeLenInByte = 5216
; NumSgprs: 49
; NumVgprs: 21
; ScratchSize: 0
; MemoryBound: 0
; FloatMode: 240
; IeeeMode: 1
; LDSByteSize: 0 bytes/workgroup (compile time only)
; SGPRBlocks: 6
; VGPRBlocks: 2
; NumSGPRsForWavesPerEU: 49
; NumVGPRsForWavesPerEU: 21
; Occupancy: 16
; WaveLimiterHint : 1
; COMPUTE_PGM_RSRC2:SCRATCH_EN: 0
; COMPUTE_PGM_RSRC2:USER_SGPR: 15
; COMPUTE_PGM_RSRC2:TRAP_HANDLER: 0
; COMPUTE_PGM_RSRC2:TGID_X_EN: 1
; COMPUTE_PGM_RSRC2:TGID_Y_EN: 0
; COMPUTE_PGM_RSRC2:TGID_Z_EN: 0
; COMPUTE_PGM_RSRC2:TIDIG_COMP_CNT: 0
	.section	.text._ZN4vllm38concat_and_cache_mla_rope_fused_kernelIN3c108BFloat16ENS1_4HalfELb0E14__hip_bfloat16hLNS_18Fp8KVCacheDataTypeE1EEEvPKlPT_S9_PKS8_PKT0_illlliPT3_S7_iiiiPKf,"axG",@progbits,_ZN4vllm38concat_and_cache_mla_rope_fused_kernelIN3c108BFloat16ENS1_4HalfELb0E14__hip_bfloat16hLNS_18Fp8KVCacheDataTypeE1EEEvPKlPT_S9_PKS8_PKT0_illlliPT3_S7_iiiiPKf,comdat
	.protected	_ZN4vllm38concat_and_cache_mla_rope_fused_kernelIN3c108BFloat16ENS1_4HalfELb0E14__hip_bfloat16hLNS_18Fp8KVCacheDataTypeE1EEEvPKlPT_S9_PKS8_PKT0_illlliPT3_S7_iiiiPKf ; -- Begin function _ZN4vllm38concat_and_cache_mla_rope_fused_kernelIN3c108BFloat16ENS1_4HalfELb0E14__hip_bfloat16hLNS_18Fp8KVCacheDataTypeE1EEEvPKlPT_S9_PKS8_PKT0_illlliPT3_S7_iiiiPKf
	.globl	_ZN4vllm38concat_and_cache_mla_rope_fused_kernelIN3c108BFloat16ENS1_4HalfELb0E14__hip_bfloat16hLNS_18Fp8KVCacheDataTypeE1EEEvPKlPT_S9_PKS8_PKT0_illlliPT3_S7_iiiiPKf
	.p2align	8
	.type	_ZN4vllm38concat_and_cache_mla_rope_fused_kernelIN3c108BFloat16ENS1_4HalfELb0E14__hip_bfloat16hLNS_18Fp8KVCacheDataTypeE1EEEvPKlPT_S9_PKS8_PKT0_illlliPT3_S7_iiiiPKf,@function
_ZN4vllm38concat_and_cache_mla_rope_fused_kernelIN3c108BFloat16ENS1_4HalfELb0E14__hip_bfloat16hLNS_18Fp8KVCacheDataTypeE1EEEvPKlPT_S9_PKS8_PKT0_illlliPT3_S7_iiiiPKf: ; @_ZN4vllm38concat_and_cache_mla_rope_fused_kernelIN3c108BFloat16ENS1_4HalfELb0E14__hip_bfloat16hLNS_18Fp8KVCacheDataTypeE1EEEvPKlPT_S9_PKS8_PKT0_illlliPT3_S7_iiiiPKf
; %bb.0:
	s_load_b64 s[4:5], s[0:1], 0x60
	s_mov_b32 s16, s15
	s_mov_b32 s17, 0
	s_delay_alu instid0(SALU_CYCLE_1)
	s_lshl_b64 s[2:3], s[16:17], 3
	s_waitcnt lgkmcnt(0)
	s_add_u32 s4, s4, s2
	s_addc_u32 s5, s5, s3
	s_load_b64 s[28:29], s[4:5], 0x0
	s_waitcnt lgkmcnt(0)
	v_cmp_lt_i64_e64 s4, s[28:29], 0
	s_delay_alu instid0(VALU_DEP_1)
	s_and_b32 vcc_lo, exec_lo, s4
	s_cbranch_vccnz .LBB105_67
; %bb.1:
	s_clause 0x3
	s_load_b32 s17, s[0:1], 0x28
	s_load_b64 s[4:5], s[0:1], 0x0
	s_load_b128 s[12:15], s[0:1], 0x10
	s_load_b32 s21, s[0:1], 0x50
	v_lshlrev_b32_e32 v3, 1, v0
	s_waitcnt lgkmcnt(0)
	s_ashr_i32 s24, s17, 31
	s_add_u32 s2, s4, s2
	s_addc_u32 s3, s5, s3
	s_load_b64 s[22:23], s[2:3], 0x0
	s_clause 0x2
	s_load_b64 s[26:27], s[0:1], 0x20
	s_load_b64 s[18:19], s[0:1], 0x58
	s_load_b256 s[4:11], s[0:1], 0x30
	s_lshr_b32 s2, s17, 31
	s_delay_alu instid0(SALU_CYCLE_1) | instskip(NEXT) | instid1(SALU_CYCLE_1)
	s_add_i32 s2, s17, s2
	s_ashr_i32 s20, s2, 1
	s_delay_alu instid0(SALU_CYCLE_1)
	s_mul_i32 s3, s20, s21
	s_waitcnt lgkmcnt(0)
	s_mul_i32 s2, s22, s24
	s_mul_hi_u32 s21, s22, s17
	s_mul_i32 s23, s23, s17
	s_add_i32 s2, s21, s2
	s_mul_i32 s30, s22, s17
	s_add_i32 s31, s2, s23
	s_mov_b32 s17, exec_lo
	v_cmpx_gt_i32_e64 s3, v0
	s_cbranch_execz .LBB105_4
; %bb.2:
	s_load_b64 s[24:25], s[0:1], 0x8
	s_lshl_b64 s[22:23], s[30:31], 1
	s_mul_i32 s2, s16, s5
	s_mul_hi_u32 s5, s16, s4
	s_add_u32 s22, s26, s22
	s_mul_i32 s4, s16, s4
	s_addc_u32 s23, s27, s23
	s_add_i32 s5, s5, s2
	s_load_b32 s2, s[0:1], 0x8c
	s_lshl_b64 s[4:5], s[4:5], 1
	s_ashr_i32 s21, s20, 31
	s_mov_b32 s34, 0
	s_waitcnt lgkmcnt(0)
	s_add_u32 s24, s24, s4
	s_addc_u32 s25, s25, s5
	s_abs_i32 s33, s20
	s_sub_i32 s36, 0, s20
	v_cvt_f32_u32_e32 v1, s33
	s_sub_i32 s4, 0, s33
	s_and_b32 s35, s2, 0xffff
	s_delay_alu instid0(VALU_DEP_1)
	v_rcp_iflag_f32_e32 v1, v1
	s_lshl_b32 s2, s20, 1
	s_lshl_b32 s38, s35, 1
	s_sub_i32 s37, 0, s2
	s_waitcnt_depctr 0xfff
	v_mul_f32_e32 v1, 0x4f7ffffe, v1
	s_delay_alu instid0(VALU_DEP_1) | instskip(NEXT) | instid1(VALU_DEP_1)
	v_cvt_u32_f32_e32 v2, v1
	v_mul_lo_u32 v1, s4, v2
	s_lshl_b64 s[4:5], s[20:21], 1
	s_delay_alu instid0(VALU_DEP_1) | instskip(NEXT) | instid1(VALU_DEP_1)
	v_mul_hi_u32 v4, v2, v1
	v_dual_mov_b32 v1, v3 :: v_dual_add_nc_u32 v4, v2, v4
	v_mov_b32_e32 v2, v0
.LBB105_3:                              ; =>This Inner Loop Header: Depth=1
	s_delay_alu instid0(VALU_DEP_1) | instskip(SKIP_1) | instid1(VALU_DEP_2)
	v_sub_nc_u32_e32 v5, 0, v2
	v_ashrrev_i32_e32 v6, 31, v2
	v_max_i32_e32 v5, v2, v5
	s_delay_alu instid0(VALU_DEP_2) | instskip(NEXT) | instid1(VALU_DEP_2)
	v_xor_b32_e32 v6, s21, v6
	v_mul_hi_u32 v7, v5, v4
	s_delay_alu instid0(VALU_DEP_1) | instskip(SKIP_1) | instid1(VALU_DEP_2)
	v_mul_lo_u32 v8, v7, s33
	v_add_nc_u32_e32 v9, 1, v7
	v_sub_nc_u32_e32 v5, v5, v8
	s_delay_alu instid0(VALU_DEP_1) | instskip(SKIP_1) | instid1(VALU_DEP_4)
	v_subrev_nc_u32_e32 v8, s33, v5
	v_cmp_le_u32_e32 vcc_lo, s33, v5
	v_cndmask_b32_e32 v7, v7, v9, vcc_lo
	s_delay_alu instid0(VALU_DEP_1) | instskip(NEXT) | instid1(VALU_DEP_1)
	v_dual_cndmask_b32 v5, v5, v8 :: v_dual_add_nc_u32 v8, 1, v7
	v_cmp_le_u32_e32 vcc_lo, s33, v5
	s_delay_alu instid0(VALU_DEP_2) | instskip(NEXT) | instid1(VALU_DEP_1)
	v_cndmask_b32_e32 v5, v7, v8, vcc_lo
	v_xor_b32_e32 v5, v5, v6
	s_delay_alu instid0(VALU_DEP_1) | instskip(NEXT) | instid1(VALU_DEP_1)
	v_sub_nc_u32_e32 v11, v5, v6
	v_mad_u64_u32 v[5:6], null, s36, v11, v[2:3]
	v_ashrrev_i32_e32 v6, 31, v11
	v_mul_lo_u32 v12, v11, s7
	v_mad_u64_u32 v[7:8], null, v11, s6, 0
	v_mad_u64_u32 v[9:10], null, s37, v11, v[1:2]
	s_delay_alu instid0(VALU_DEP_4) | instskip(SKIP_3) | instid1(VALU_DEP_3)
	v_mul_lo_u32 v11, v6, s6
	v_ashrrev_i32_e32 v6, 31, v5
	v_add_nc_u32_e32 v2, s35, v2
	v_add_nc_u32_e32 v1, s38, v1
	v_lshlrev_b64 v[5:6], 1, v[5:6]
	v_ashrrev_i32_e32 v10, 31, v9
	v_add3_u32 v8, v8, v12, v11
	s_delay_alu instid0(VALU_DEP_3) | instskip(NEXT) | instid1(VALU_DEP_4)
	v_add_co_u32 v5, vcc_lo, s22, v5
	v_add_co_ci_u32_e32 v6, vcc_lo, s23, v6, vcc_lo
	s_delay_alu instid0(VALU_DEP_3)
	v_lshlrev_b64 v[7:8], 1, v[7:8]
	v_lshlrev_b64 v[9:10], 1, v[9:10]
	global_load_u16 v11, v[5:6], off
	v_add_co_u32 v5, vcc_lo, v5, s4
	v_add_co_ci_u32_e32 v6, vcc_lo, s5, v6, vcc_lo
	v_add_co_u32 v7, vcc_lo, s24, v7
	v_add_co_ci_u32_e32 v8, vcc_lo, s25, v8, vcc_lo
	global_load_u16 v12, v[5:6], off
	v_add_co_u32 v5, vcc_lo, v7, v9
	v_add_co_ci_u32_e32 v6, vcc_lo, v8, v10, vcc_lo
	global_load_b32 v7, v[5:6], off
	s_waitcnt vmcnt(2)
	v_cvt_f32_f16_e32 v8, v11
	v_cmp_o_f16_e32 vcc_lo, v11, v11
	s_delay_alu instid0(VALU_DEP_2) | instskip(SKIP_2) | instid1(VALU_DEP_2)
	v_bfe_u32 v10, v8, 16, 1
	s_waitcnt vmcnt(1)
	v_cvt_f32_f16_e32 v9, v12
	v_add3_u32 v8, v8, v10, 0x7fff
	s_delay_alu instid0(VALU_DEP_2) | instskip(NEXT) | instid1(VALU_DEP_2)
	v_bfe_u32 v10, v9, 16, 1
	v_and_b32_e32 v8, 0xffff0000, v8
	s_waitcnt vmcnt(0)
	v_lshlrev_b32_e32 v13, 16, v7
	v_and_b32_e32 v7, 0xffff0000, v7
	v_add3_u32 v9, v9, v10, 0x7fff
	v_cndmask_b32_e32 v8, 0x7fc00000, v8, vcc_lo
	v_cmp_o_f16_e32 vcc_lo, v12, v12
	s_delay_alu instid0(VALU_DEP_3) | instskip(NEXT) | instid1(VALU_DEP_3)
	v_and_b32_e32 v9, 0xffff0000, v9
	v_mul_f32_e32 v10, v8, v13
	s_delay_alu instid0(VALU_DEP_2) | instskip(NEXT) | instid1(VALU_DEP_2)
	v_dual_mul_f32 v8, v8, v7 :: v_dual_cndmask_b32 v9, 0x7fc00000, v9
	v_bfe_u32 v11, v10, 16, 1
	s_delay_alu instid0(VALU_DEP_2) | instskip(SKIP_2) | instid1(VALU_DEP_4)
	v_bfe_u32 v12, v8, 16, 1
	v_cmp_o_f32_e32 vcc_lo, v10, v10
	v_cmp_o_f32_e64 s2, v8, v8
	v_add3_u32 v11, v10, v11, 0x7fff
	s_delay_alu instid0(VALU_DEP_4) | instskip(SKIP_2) | instid1(VALU_DEP_4)
	v_add3_u32 v12, v8, v12, 0x7fff
	v_mul_f32_e32 v7, v9, v7
	v_mul_f32_e32 v9, v9, v13
	v_and_b32_e32 v11, 0xffff0000, v11
	s_delay_alu instid0(VALU_DEP_4) | instskip(NEXT) | instid1(VALU_DEP_4)
	v_and_b32_e32 v12, 0xffff0000, v12
	v_bfe_u32 v13, v7, 16, 1
	s_delay_alu instid0(VALU_DEP_4) | instskip(NEXT) | instid1(VALU_DEP_4)
	v_bfe_u32 v14, v9, 16, 1
	v_cndmask_b32_e32 v11, 0x7fc00000, v11, vcc_lo
	s_delay_alu instid0(VALU_DEP_4) | instskip(NEXT) | instid1(VALU_DEP_4)
	v_cndmask_b32_e64 v12, 0x7fc00000, v12, s2
	v_add3_u32 v13, v7, v13, 0x7fff
	s_delay_alu instid0(VALU_DEP_4) | instskip(SKIP_1) | instid1(VALU_DEP_3)
	v_add3_u32 v14, v9, v14, 0x7fff
	v_cmp_o_f32_e64 s2, v7, v7
	v_and_b32_e32 v8, 0xffff0000, v13
	s_delay_alu instid0(VALU_DEP_3) | instskip(SKIP_1) | instid1(VALU_DEP_3)
	v_and_b32_e32 v10, 0xffff0000, v14
	v_cmp_o_f32_e32 vcc_lo, v9, v9
	v_cndmask_b32_e64 v7, 0x7fc00000, v8, s2
	s_delay_alu instid0(VALU_DEP_1) | instskip(NEXT) | instid1(VALU_DEP_1)
	v_dual_cndmask_b32 v8, 0x7fc00000, v10 :: v_dual_sub_f32 v7, v11, v7
	v_add_f32_e32 v8, v12, v8
	s_delay_alu instid0(VALU_DEP_2) | instskip(SKIP_1) | instid1(VALU_DEP_3)
	v_bfe_u32 v9, v7, 16, 1
	v_cmp_o_f32_e64 s2, v7, v7
	v_bfe_u32 v10, v8, 16, 1
	v_cmp_o_f32_e32 vcc_lo, v8, v8
	s_delay_alu instid0(VALU_DEP_4) | instskip(NEXT) | instid1(VALU_DEP_3)
	v_add3_u32 v9, v7, v9, 0x7fff
	v_add3_u32 v10, v8, v10, 0x7fff
	s_delay_alu instid0(VALU_DEP_2) | instskip(NEXT) | instid1(VALU_DEP_2)
	v_lshrrev_b32_e32 v9, 16, v9
	v_lshrrev_b32_e32 v10, 16, v10
	s_delay_alu instid0(VALU_DEP_2) | instskip(NEXT) | instid1(VALU_DEP_2)
	v_cndmask_b32_e64 v7, 0x7fc0, v9, s2
	v_cndmask_b32_e32 v8, 0x7fc0, v10, vcc_lo
	v_cmp_le_i32_e32 vcc_lo, s3, v2
	s_delay_alu instid0(VALU_DEP_2)
	v_perm_b32 v7, v8, v7, 0x5040100
	s_or_b32 s34, vcc_lo, s34
	global_store_b32 v[5:6], v7, off
	s_and_not1_b32 exec_lo, exec_lo, s34
	s_cbranch_execnz .LBB105_3
.LBB105_4:
	s_or_b32 exec_lo, exec_lo, s17
	s_load_b128 s[4:7], s[0:1], 0x68
	s_waitcnt lgkmcnt(0)
	s_ashr_i32 s3, s7, 31
	s_mov_b32 s2, s7
	s_delay_alu instid0(SALU_CYCLE_1) | instskip(SKIP_1) | instid1(SALU_CYCLE_1)
	s_or_b64 s[24:25], s[28:29], s[2:3]
	s_mov_b32 s24, 0
	s_cmp_lg_u64 s[24:25], 0
	s_cbranch_scc0 .LBB105_68
; %bb.5:
	s_add_u32 s34, s2, s3
	s_mov_b32 s22, s3
	s_mov_b32 s23, s3
	s_addc_u32 s35, s3, s3
	s_delay_alu instid0(SALU_CYCLE_1) | instskip(NEXT) | instid1(SALU_CYCLE_1)
	s_xor_b64 s[34:35], s[34:35], s[22:23]
	v_cvt_f32_u32_e32 v1, s34
	v_cvt_f32_u32_e32 v2, s35
	s_sub_u32 s21, 0, s34
	s_subb_u32 s25, 0, s35
	s_delay_alu instid0(VALU_DEP_1) | instskip(NEXT) | instid1(VALU_DEP_1)
	v_fmamk_f32 v1, v2, 0x4f800000, v1
	v_rcp_f32_e32 v1, v1
	s_waitcnt_depctr 0xfff
	v_mul_f32_e32 v1, 0x5f7ffffc, v1
	s_delay_alu instid0(VALU_DEP_1) | instskip(NEXT) | instid1(VALU_DEP_1)
	v_mul_f32_e32 v2, 0x2f800000, v1
	v_trunc_f32_e32 v2, v2
	s_delay_alu instid0(VALU_DEP_1) | instskip(SKIP_1) | instid1(VALU_DEP_2)
	v_fmamk_f32 v1, v2, 0xcf800000, v1
	v_cvt_u32_f32_e32 v2, v2
	v_cvt_u32_f32_e32 v1, v1
	s_delay_alu instid0(VALU_DEP_2) | instskip(NEXT) | instid1(VALU_DEP_2)
	v_readfirstlane_b32 s7, v2
	v_readfirstlane_b32 s17, v1
	s_delay_alu instid0(VALU_DEP_2) | instskip(NEXT) | instid1(VALU_DEP_1)
	s_mul_i32 s33, s21, s7
	s_mul_hi_u32 s37, s21, s17
	s_mul_i32 s36, s25, s17
	s_add_i32 s33, s37, s33
	s_mul_i32 s38, s21, s17
	s_add_i32 s33, s33, s36
	s_mul_hi_u32 s37, s17, s38
	s_mul_hi_u32 s39, s7, s38
	s_mul_i32 s36, s7, s38
	s_mul_hi_u32 s38, s17, s33
	s_mul_i32 s17, s17, s33
	s_mul_hi_u32 s40, s7, s33
	s_add_u32 s17, s37, s17
	s_addc_u32 s37, 0, s38
	s_add_u32 s17, s17, s36
	s_mul_i32 s33, s7, s33
	s_addc_u32 s17, s37, s39
	s_addc_u32 s36, s40, 0
	s_add_u32 s17, s17, s33
	s_addc_u32 s33, 0, s36
	v_add_co_u32 v1, s17, v1, s17
	s_delay_alu instid0(VALU_DEP_1) | instskip(SKIP_1) | instid1(VALU_DEP_1)
	s_cmp_lg_u32 s17, 0
	s_addc_u32 s7, s7, s33
	v_readfirstlane_b32 s17, v1
	s_mul_i32 s33, s21, s7
	s_delay_alu instid0(VALU_DEP_1)
	s_mul_hi_u32 s36, s21, s17
	s_mul_i32 s25, s25, s17
	s_add_i32 s33, s36, s33
	s_mul_i32 s21, s21, s17
	s_add_i32 s33, s33, s25
	s_mul_hi_u32 s36, s7, s21
	s_mul_i32 s37, s7, s21
	s_mul_hi_u32 s21, s17, s21
	s_mul_hi_u32 s38, s17, s33
	s_mul_i32 s17, s17, s33
	s_mul_hi_u32 s25, s7, s33
	s_add_u32 s17, s21, s17
	s_addc_u32 s21, 0, s38
	s_add_u32 s17, s17, s37
	s_mul_i32 s33, s7, s33
	s_addc_u32 s17, s21, s36
	s_addc_u32 s21, s25, 0
	s_add_u32 s17, s17, s33
	s_addc_u32 s21, 0, s21
	v_add_co_u32 v1, s17, v1, s17
	s_delay_alu instid0(VALU_DEP_1) | instskip(SKIP_2) | instid1(VALU_DEP_1)
	s_cmp_lg_u32 s17, 0
	s_addc_u32 s7, s7, s21
	s_ashr_i32 s36, s29, 31
	v_readfirstlane_b32 s17, v1
	s_add_u32 s38, s28, s36
	s_mov_b32 s37, s36
	s_addc_u32 s39, s29, s36
	s_delay_alu instid0(SALU_CYCLE_1) | instskip(NEXT) | instid1(SALU_CYCLE_1)
	s_xor_b64 s[38:39], s[38:39], s[36:37]
	s_mul_i32 s25, s38, s7
	s_mul_hi_u32 s33, s38, s17
	s_mul_hi_u32 s21, s38, s7
	;; [unrolled: 1-line block ×3, first 2 shown]
	s_mul_i32 s17, s39, s17
	s_add_u32 s25, s33, s25
	s_addc_u32 s21, 0, s21
	s_mul_hi_u32 s40, s39, s7
	s_add_u32 s17, s25, s17
	s_mul_i32 s7, s39, s7
	s_addc_u32 s17, s21, s41
	s_addc_u32 s21, s40, 0
	s_add_u32 s7, s17, s7
	s_addc_u32 s17, 0, s21
	s_mul_hi_u32 s21, s34, s7
	s_mul_i32 s33, s34, s17
	s_mul_i32 s40, s34, s7
	s_add_i32 s21, s21, s33
	v_sub_co_u32 v1, s33, s38, s40
	s_mul_i32 s25, s35, s7
	s_delay_alu instid0(SALU_CYCLE_1) | instskip(NEXT) | instid1(VALU_DEP_1)
	s_add_i32 s21, s21, s25
	v_sub_co_u32 v2, s38, v1, s34
	s_sub_i32 s25, s39, s21
	s_cmp_lg_u32 s33, 0
	s_subb_u32 s25, s25, s35
	s_cmp_lg_u32 s38, 0
	v_readfirstlane_b32 s38, v2
	s_subb_u32 s25, s25, 0
	s_delay_alu instid0(SALU_CYCLE_1) | instskip(SKIP_1) | instid1(VALU_DEP_1)
	s_cmp_ge_u32 s25, s35
	s_cselect_b32 s40, -1, 0
	s_cmp_ge_u32 s38, s34
	s_cselect_b32 s38, -1, 0
	s_cmp_eq_u32 s25, s35
	s_cselect_b32 s25, s38, s40
	s_add_u32 s38, s7, 1
	s_addc_u32 s40, s17, 0
	s_add_u32 s41, s7, 2
	s_addc_u32 s42, s17, 0
	s_cmp_lg_u32 s25, 0
	s_cselect_b32 s25, s41, s38
	s_cselect_b32 s38, s42, s40
	s_cmp_lg_u32 s33, 0
	v_readfirstlane_b32 s33, v1
	s_subb_u32 s21, s39, s21
	s_delay_alu instid0(SALU_CYCLE_1) | instskip(SKIP_1) | instid1(VALU_DEP_1)
	s_cmp_ge_u32 s21, s35
	s_cselect_b32 s39, -1, 0
	s_cmp_ge_u32 s33, s34
	s_cselect_b32 s33, -1, 0
	s_cmp_eq_u32 s21, s35
	s_cselect_b32 s21, s33, s39
	s_delay_alu instid0(SALU_CYCLE_1) | instskip(SKIP_3) | instid1(SALU_CYCLE_1)
	s_cmp_lg_u32 s21, 0
	s_cselect_b32 s35, s38, s17
	s_cselect_b32 s34, s25, s7
	s_xor_b64 s[22:23], s[36:37], s[22:23]
	s_xor_b64 s[34:35], s[34:35], s[22:23]
	s_delay_alu instid0(SALU_CYCLE_1)
	s_sub_u32 s22, s34, s22
	s_subb_u32 s23, s35, s23
	s_and_not1_b32 vcc_lo, exec_lo, s24
	s_cbranch_vccnz .LBB105_7
.LBB105_6:
	v_cvt_f32_u32_e32 v1, s2
	s_sub_i32 s17, 0, s2
	s_mov_b32 s23, 0
	s_delay_alu instid0(VALU_DEP_1) | instskip(SKIP_2) | instid1(VALU_DEP_1)
	v_rcp_iflag_f32_e32 v1, v1
	s_waitcnt_depctr 0xfff
	v_mul_f32_e32 v1, 0x4f7ffffe, v1
	v_cvt_u32_f32_e32 v1, v1
	s_delay_alu instid0(VALU_DEP_1) | instskip(NEXT) | instid1(VALU_DEP_1)
	v_readfirstlane_b32 s7, v1
	s_mul_i32 s17, s17, s7
	s_delay_alu instid0(SALU_CYCLE_1) | instskip(NEXT) | instid1(SALU_CYCLE_1)
	s_mul_hi_u32 s17, s7, s17
	s_add_i32 s7, s7, s17
	s_delay_alu instid0(SALU_CYCLE_1) | instskip(NEXT) | instid1(SALU_CYCLE_1)
	s_mul_hi_u32 s7, s28, s7
	s_mul_i32 s17, s7, s2
	s_add_i32 s21, s7, 1
	s_sub_i32 s17, s28, s17
	s_delay_alu instid0(SALU_CYCLE_1)
	s_sub_i32 s22, s17, s2
	s_cmp_ge_u32 s17, s2
	s_cselect_b32 s7, s21, s7
	s_cselect_b32 s17, s22, s17
	s_add_i32 s21, s7, 1
	s_cmp_ge_u32 s17, s2
	s_cselect_b32 s22, s21, s7
.LBB105_7:
	s_load_b64 s[24:25], s[0:1], 0x78
	s_mul_i32 s3, s22, s3
	s_mul_hi_u32 s7, s22, s2
	s_mul_i32 s33, s22, s4
	s_add_i32 s3, s7, s3
	s_mul_i32 s7, s23, s2
	s_mul_i32 s2, s22, s2
	s_add_i32 s7, s3, s7
	s_sub_u32 s3, s28, s2
	s_subb_u32 s7, s29, s7
	s_mul_hi_u32 s28, s22, s4
	s_mul_i32 s29, s23, s4
	s_mul_hi_u32 s23, s3, s5
	s_mul_i32 s7, s7, s5
	s_mul_i32 s17, s3, s5
	s_mov_b32 s34, exec_lo
	v_cmpx_gt_i32_e64 s20, v0
	s_cbranch_execz .LBB105_46
; %bb.8:
	s_load_b32 s2, s[0:1], 0x8c
	s_ashr_i32 s38, s4, 31
	s_ashr_i32 s39, s5, 31
	s_lshl_b64 s[36:37], s[30:31], 1
	s_mul_i32 s30, s22, s38
	s_mul_i32 s38, s3, s39
	s_add_i32 s30, s28, s30
	s_add_i32 s38, s23, s38
	s_ashr_i32 s21, s20, 31
	s_ashr_i32 s40, s6, 31
	s_mul_i32 s9, s9, s16
	s_mul_hi_u32 s31, s8, s16
	s_add_i32 s39, s30, s29
	s_add_i32 s38, s38, s7
	s_mul_i32 s8, s8, s16
	s_waitcnt lgkmcnt(0)
	s_load_b32 s35, s[24:25], 0x0
	v_dual_mov_b32 v4, 0 :: v_dual_lshlrev_b32 v1, 2, v0
	v_mov_b32_e32 v17, v0
	s_and_b32 s30, s2, 0xffff
	s_add_u32 s2, s26, s36
	s_addc_u32 s27, s27, s37
	s_add_i32 s9, s31, s9
	v_add_co_u32 v11, s2, s2, v3
	s_lshl_b64 s[8:9], s[8:9], 1
	s_lshl_b32 s26, s30, 1
	s_lshl_b64 s[36:37], s[20:21], 1
	v_add_co_ci_u32_e64 v12, null, s27, 0, s2
	s_add_u32 s2, s12, s8
	s_addc_u32 s8, s13, s9
	v_add_co_u32 v1, s2, s2, v1
	s_lshl_b32 s12, s30, 2
	v_add_co_ci_u32_e64 v2, null, s8, 0, s2
	s_add_u32 s2, s33, s17
	s_addc_u32 s8, s39, s38
	s_add_u32 s9, s18, s6
	s_addc_u32 s13, s19, s40
	s_add_u32 s2, s9, s2
	v_add_co_u32 v13, vcc_lo, v11, s36
	s_addc_u32 s8, s13, s8
	v_add_co_u32 v15, s2, s2, v3
	v_add_co_ci_u32_e32 v14, vcc_lo, s37, v12, vcc_lo
	v_add_co_ci_u32_e64 v16, null, s8, 0, s2
	s_mov_b32 s13, 0
	s_mov_b64 s[8:9], 0
	s_branch .LBB105_10
.LBB105_9:                              ;   in Loop: Header=BB105_10 Depth=1
	s_or_b32 exec_lo, exec_lo, s2
	v_add_nc_u32_e32 v17, s30, v17
	v_add_co_u32 v1, s2, v1, s12
	s_delay_alu instid0(VALU_DEP_1) | instskip(NEXT) | instid1(VALU_DEP_3)
	v_add_co_ci_u32_e64 v2, s2, 0, v2, s2
	v_cmp_le_i32_e32 vcc_lo, s20, v17
	s_add_u32 s8, s8, s26
	s_addc_u32 s9, s9, 0
	global_store_b8 v[5:6], v8, off offset:1
	s_or_b32 s13, vcc_lo, s13
	s_delay_alu instid0(SALU_CYCLE_1)
	s_and_not1_b32 exec_lo, exec_lo, s13
	s_cbranch_execz .LBB105_46
.LBB105_10:                             ; =>This Inner Loop Header: Depth=1
	v_add_co_u32 v5, vcc_lo, v11, s8
	v_add_co_ci_u32_e32 v6, vcc_lo, s9, v12, vcc_lo
	v_add_co_u32 v7, vcc_lo, v13, s8
	v_add_co_ci_u32_e32 v8, vcc_lo, s9, v14, vcc_lo
	s_clause 0x1
	global_load_u16 v3, v[5:6], off
	global_load_u16 v5, v[7:8], off
	global_load_b32 v6, v[1:2], off
	s_waitcnt vmcnt(2)
	v_cvt_f32_f16_e32 v7, v3
	s_waitcnt vmcnt(1)
	v_cvt_f32_f16_e32 v8, v5
	v_cmp_o_f16_e32 vcc_lo, v3, v3
	s_delay_alu instid0(VALU_DEP_3) | instskip(NEXT) | instid1(VALU_DEP_3)
	v_bfe_u32 v9, v7, 16, 1
	v_bfe_u32 v10, v8, 16, 1
	s_delay_alu instid0(VALU_DEP_2) | instskip(NEXT) | instid1(VALU_DEP_2)
	v_add3_u32 v7, v7, v9, 0x7fff
	v_add3_u32 v8, v8, v10, 0x7fff
	s_waitcnt vmcnt(0)
	v_and_b32_e32 v9, 0xffff0000, v6
	s_delay_alu instid0(VALU_DEP_3) | instskip(NEXT) | instid1(VALU_DEP_1)
	v_and_b32_e32 v7, 0xffff0000, v7
	v_dual_cndmask_b32 v3, 0x7fc00000, v7 :: v_dual_lshlrev_b32 v6, 16, v6
	v_and_b32_e32 v8, 0xffff0000, v8
	v_cmp_o_f16_e32 vcc_lo, v5, v5
	s_delay_alu instid0(VALU_DEP_3) | instskip(SKIP_1) | instid1(VALU_DEP_4)
	v_mul_f32_e32 v7, v3, v6
	v_mul_f32_e32 v3, v3, v9
	v_cndmask_b32_e32 v5, 0x7fc00000, v8, vcc_lo
	s_delay_alu instid0(VALU_DEP_3) | instskip(SKIP_1) | instid1(VALU_DEP_3)
	v_bfe_u32 v10, v7, 16, 1
	v_cmp_o_f32_e32 vcc_lo, v7, v7
	v_mul_f32_e32 v8, v5, v9
	v_cmp_o_f32_e64 s2, v3, v3
	s_delay_alu instid0(VALU_DEP_4) | instskip(NEXT) | instid1(VALU_DEP_3)
	v_add3_u32 v10, v7, v10, 0x7fff
	v_bfe_u32 v18, v8, 16, 1
	s_delay_alu instid0(VALU_DEP_2) | instskip(NEXT) | instid1(VALU_DEP_2)
	v_and_b32_e32 v10, 0xffff0000, v10
	v_add3_u32 v18, v8, v18, 0x7fff
	s_delay_alu instid0(VALU_DEP_2) | instskip(SKIP_1) | instid1(VALU_DEP_3)
	v_cndmask_b32_e32 v7, 0x7fc00000, v10, vcc_lo
	v_cmp_o_f32_e32 vcc_lo, v8, v8
	v_and_b32_e32 v18, 0xffff0000, v18
	s_delay_alu instid0(VALU_DEP_1) | instskip(NEXT) | instid1(VALU_DEP_1)
	v_cndmask_b32_e32 v8, 0x7fc00000, v18, vcc_lo
	v_sub_f32_e32 v7, v7, v8
	s_delay_alu instid0(VALU_DEP_1) | instskip(SKIP_1) | instid1(VALU_DEP_2)
	v_bfe_u32 v8, v7, 16, 1
	v_cmp_o_f32_e32 vcc_lo, v7, v7
	v_add3_u32 v8, v7, v8, 0x7fff
	s_delay_alu instid0(VALU_DEP_1) | instskip(NEXT) | instid1(VALU_DEP_1)
	v_lshrrev_b32_e32 v8, 16, v8
	v_cndmask_b32_e32 v18, 0x7fc0, v8, vcc_lo
	s_delay_alu instid0(VALU_DEP_1) | instskip(SKIP_1) | instid1(VALU_DEP_1)
	v_lshlrev_b32_e32 v7, 16, v18
	s_waitcnt lgkmcnt(0)
	v_div_scale_f32 v8, null, s35, s35, v7
	s_delay_alu instid0(VALU_DEP_1) | instskip(SKIP_2) | instid1(VALU_DEP_1)
	v_rcp_f32_e32 v10, v8
	s_waitcnt_depctr 0xfff
	v_fma_f32 v9, -v8, v10, 1.0
	v_fmac_f32_e32 v10, v9, v10
	v_mul_f32_e32 v5, v5, v6
	v_bfe_u32 v6, v3, 16, 1
	v_div_scale_f32 v9, vcc_lo, v7, s35, v7
	s_delay_alu instid0(VALU_DEP_3) | instskip(NEXT) | instid1(VALU_DEP_3)
	v_bfe_u32 v19, v5, 16, 1
	v_add3_u32 v6, v3, v6, 0x7fff
	s_delay_alu instid0(VALU_DEP_2) | instskip(NEXT) | instid1(VALU_DEP_2)
	v_add3_u32 v19, v5, v19, 0x7fff
	v_and_b32_e32 v6, 0xffff0000, v6
	s_delay_alu instid0(VALU_DEP_2) | instskip(NEXT) | instid1(VALU_DEP_2)
	v_dual_mul_f32 v20, v9, v10 :: v_dual_and_b32 v19, 0xffff0000, v19
	v_cndmask_b32_e64 v3, 0x7fc00000, v6, s2
	v_cmp_o_f32_e64 s2, v5, v5
	s_delay_alu instid0(VALU_DEP_3) | instskip(NEXT) | instid1(VALU_DEP_2)
	v_fma_f32 v6, -v8, v20, v9
	v_cndmask_b32_e64 v5, 0x7fc00000, v19, s2
	s_delay_alu instid0(VALU_DEP_1) | instskip(NEXT) | instid1(VALU_DEP_1)
	v_dual_fmac_f32 v20, v6, v10 :: v_dual_add_f32 v3, v3, v5
	v_fma_f32 v5, -v8, v20, v9
	v_mov_b32_e32 v8, v4
	s_delay_alu instid0(VALU_DEP_3) | instskip(NEXT) | instid1(VALU_DEP_3)
	v_bfe_u32 v6, v3, 16, 1
	v_div_fmas_f32 v5, v5, v10, v20
	v_cmp_o_f32_e32 vcc_lo, v3, v3
	s_delay_alu instid0(VALU_DEP_3) | instskip(NEXT) | instid1(VALU_DEP_3)
	v_add3_u32 v6, v3, v6, 0x7fff
	v_div_fixup_f32 v5, v5, s35, v7
	s_delay_alu instid0(VALU_DEP_2) | instskip(NEXT) | instid1(VALU_DEP_2)
	v_lshrrev_b32_e32 v7, 16, v6
	v_lshrrev_b32_e32 v6, 24, v5
	s_delay_alu instid0(VALU_DEP_2) | instskip(SKIP_1) | instid1(VALU_DEP_3)
	v_cndmask_b32_e32 v3, 0x7fc0, v7, vcc_lo
	v_and_b32_e32 v7, 0x7f800000, v5
	v_and_b32_e32 v10, 0x80, v6
	s_delay_alu instid0(VALU_DEP_3) | instskip(NEXT) | instid1(VALU_DEP_3)
	v_perm_b32 v9, v3, v18, 0x5040100
	v_cmp_ne_u64_e32 vcc_lo, 0x7f800000, v[7:8]
	v_and_b32_e32 v3, 0x7fffff, v5
	s_delay_alu instid0(VALU_DEP_4) | instskip(SKIP_2) | instid1(SALU_CYCLE_1)
	v_or_b32_e32 v7, 0x7e, v10
	global_store_b32 v[1:2], v9, off
	s_and_saveexec_b32 s2, vcc_lo
	s_xor_b32 s21, exec_lo, s2
	s_cbranch_execz .LBB105_26
; %bb.11:                               ;   in Loop: Header=BB105_10 Depth=1
	v_dual_mov_b32 v19, v4 :: v_dual_and_b32 v18, 0x7fffffff, v5
	s_mov_b32 s2, exec_lo
	s_delay_alu instid0(VALU_DEP_1)
	v_cmpx_gt_u64_e32 0x43e00001, v[18:19]
	s_xor_b32 s27, exec_lo, s2
	s_cbranch_execz .LBB105_25
; %bb.12:                               ;   in Loop: Header=BB105_10 Depth=1
	v_mov_b32_e32 v7, 0
	s_mov_b32 s31, exec_lo
	v_cmpx_ne_u32_e32 0, v5
	s_cbranch_execz .LBB105_24
; %bb.13:                               ;   in Loop: Header=BB105_10 Depth=1
	v_bfe_u32 v18, v5, 23, 8
	v_or_b32_e32 v7, 0x800000, v3
	s_delay_alu instid0(VALU_DEP_2) | instskip(SKIP_1) | instid1(VALU_DEP_2)
	v_sub_nc_u32_e32 v5, 0x79, v18
	v_cmp_gt_u32_e32 vcc_lo, 0x7a, v18
	v_cndmask_b32_e32 v5, 0, v5, vcc_lo
	v_cmp_eq_u32_e32 vcc_lo, 0, v18
	s_delay_alu instid0(VALU_DEP_2) | instskip(SKIP_1) | instid1(VALU_DEP_2)
	v_cndmask_b32_e64 v19, v5, 0x78, vcc_lo
	v_cndmask_b32_e32 v3, v7, v3, vcc_lo
	v_add_nc_u32_e32 v5, 20, v19
	v_add_nc_u32_e32 v7, 19, v19
	s_delay_alu instid0(VALU_DEP_2) | instskip(NEXT) | instid1(VALU_DEP_2)
	v_lshlrev_b64 v[5:6], v5, -1
	v_lshlrev_b64 v[7:8], v7, 1
	s_delay_alu instid0(VALU_DEP_2) | instskip(NEXT) | instid1(VALU_DEP_3)
	v_not_b32_e32 v6, v6
	v_not_b32_e32 v5, v5
	s_delay_alu instid0(VALU_DEP_2) | instskip(NEXT) | instid1(VALU_DEP_2)
	v_and_b32_e32 v21, 0, v6
	v_and_b32_e32 v20, v3, v5
	v_lshrrev_b64 v[5:6], v19, v[3:4]
	s_delay_alu instid0(VALU_DEP_2) | instskip(NEXT) | instid1(VALU_DEP_2)
	v_cmp_eq_u64_e64 s2, v[20:21], v[7:8]
	v_dual_mov_b32 v8, v6 :: v_dual_mov_b32 v7, v5
	s_delay_alu instid0(VALU_DEP_2)
	s_and_saveexec_b32 s36, s2
; %bb.14:                               ;   in Loop: Header=BB105_10 Depth=1
	v_bfe_u32 v3, v5, 20, 1
	s_delay_alu instid0(VALU_DEP_1) | instskip(NEXT) | instid1(VALU_DEP_1)
	v_add_co_u32 v3, s2, v5, v3
	v_add_co_u32 v7, s2, v3, -1
; %bb.15:                               ;   in Loop: Header=BB105_10 Depth=1
	s_or_b32 exec_lo, exec_lo, s36
	v_add_nc_u32_e32 v3, 0xffffff81, v18
	v_lshrrev_b32_e32 v8, 23, v5
	s_mov_b32 s2, exec_lo
	s_delay_alu instid0(VALU_DEP_2) | instskip(NEXT) | instid1(VALU_DEP_1)
	v_cndmask_b32_e64 v3, v3, 0xffffff82, vcc_lo
	v_add3_u32 v8, v19, v3, v8
	v_and_b32_e32 v3, 0xfffff, v7
	s_delay_alu instid0(VALU_DEP_2) | instskip(NEXT) | instid1(VALU_DEP_2)
	v_add_nc_u32_e32 v7, 6, v8
	v_add_co_u32 v5, vcc_lo, v3, v5
	v_add_co_ci_u32_e32 v6, vcc_lo, 0, v6, vcc_lo
                                        ; implicit-def: $vgpr3
	s_delay_alu instid0(VALU_DEP_3)
	v_cmpx_ne_u32_e32 0, v7
	s_xor_b32 s2, exec_lo, s2
; %bb.16:                               ;   in Loop: Header=BB105_10 Depth=1
	s_delay_alu instid0(VALU_DEP_2) | instskip(SKIP_1) | instid1(VALU_DEP_1)
	v_cmp_lt_u64_e32 vcc_lo, 0xffffff, v[5:6]
	v_add_nc_u32_e32 v3, 7, v8
	v_cndmask_b32_e32 v3, v7, v3, vcc_lo
	v_cndmask_b32_e64 v7, 0, 1, vcc_lo
	s_delay_alu instid0(VALU_DEP_1)
	v_lshrrev_b64 v[5:6], v7, v[5:6]
; %bb.17:                               ;   in Loop: Header=BB105_10 Depth=1
	s_and_not1_saveexec_b32 s2, s2
; %bb.18:                               ;   in Loop: Header=BB105_10 Depth=1
	s_delay_alu instid0(VALU_DEP_1)
	v_bfe_u32 v3, v5, 23, 1
; %bb.19:                               ;   in Loop: Header=BB105_10 Depth=1
	s_or_b32 exec_lo, exec_lo, s2
	s_delay_alu instid0(VALU_DEP_2) | instskip(NEXT) | instid1(VALU_DEP_2)
	v_lshrrev_b64 v[5:6], 20, v[5:6]
	v_cmp_gt_i32_e32 vcc_lo, 16, v3
	v_cmp_ne_u32_e64 s2, 0, v3
                                        ; implicit-def: $vgpr7
	s_delay_alu instid0(VALU_DEP_3) | instskip(NEXT) | instid1(VALU_DEP_1)
	v_dual_cndmask_b32 v6, 0, v6 :: v_dual_cndmask_b32 v5, 7, v5
	v_cmp_ne_u64_e32 vcc_lo, 0, v[5:6]
	s_delay_alu instid0(VALU_DEP_3) | instskip(NEXT) | instid1(SALU_CYCLE_1)
	s_or_b32 s2, s2, vcc_lo
	s_and_saveexec_b32 s36, s2
	s_delay_alu instid0(SALU_CYCLE_1)
	s_xor_b32 s2, exec_lo, s36
; %bb.20:                               ;   in Loop: Header=BB105_10 Depth=1
	v_min_i32_e32 v3, 15, v3
	s_delay_alu instid0(VALU_DEP_1) | instskip(NEXT) | instid1(VALU_DEP_1)
	v_lshl_or_b32 v3, v3, 3, v10
                                        ; implicit-def: $vgpr10
	v_and_or_b32 v7, v5, 7, v3
; %bb.21:                               ;   in Loop: Header=BB105_10 Depth=1
	s_and_not1_saveexec_b32 s2, s2
; %bb.22:                               ;   in Loop: Header=BB105_10 Depth=1
	v_mov_b32_e32 v7, v10
; %bb.23:                               ;   in Loop: Header=BB105_10 Depth=1
	s_or_b32 exec_lo, exec_lo, s2
.LBB105_24:                             ;   in Loop: Header=BB105_10 Depth=1
	s_delay_alu instid0(SALU_CYCLE_1)
	s_or_b32 exec_lo, exec_lo, s31
.LBB105_25:                             ;   in Loop: Header=BB105_10 Depth=1
	s_and_not1_saveexec_b32 s2, s27
	s_delay_alu instid0(SALU_CYCLE_1)
	s_or_b32 exec_lo, exec_lo, s2
                                        ; implicit-def: $vgpr6
.LBB105_26:                             ;   in Loop: Header=BB105_10 Depth=1
	s_and_not1_saveexec_b32 s2, s21
; %bb.27:                               ;   in Loop: Header=BB105_10 Depth=1
	v_cmp_eq_u64_e32 vcc_lo, 0, v[3:4]
	v_or_b32_e32 v5, 0x7f, v6
	s_delay_alu instid0(VALU_DEP_1)
	v_cndmask_b32_e32 v7, v5, v7, vcc_lo
; %bb.28:                               ;   in Loop: Header=BB105_10 Depth=1
	s_or_b32 exec_lo, exec_lo, s2
	v_dual_mov_b32 v20, v4 :: v_dual_and_b32 v3, 0xffff0000, v9
	s_mov_b32 s2, exec_lo
	s_delay_alu instid0(VALU_DEP_1) | instskip(NEXT) | instid1(VALU_DEP_1)
	v_div_scale_f32 v5, null, s35, s35, v3
	v_rcp_f32_e32 v6, v5
	s_waitcnt_depctr 0xfff
	v_fma_f32 v8, -v5, v6, 1.0
	s_delay_alu instid0(VALU_DEP_1) | instskip(SKIP_1) | instid1(VALU_DEP_1)
	v_fmac_f32_e32 v6, v8, v6
	v_div_scale_f32 v9, vcc_lo, v3, s35, v3
	v_mul_f32_e32 v8, v9, v6
	s_delay_alu instid0(VALU_DEP_1) | instskip(NEXT) | instid1(VALU_DEP_1)
	v_fma_f32 v10, -v5, v8, v9
	v_fmac_f32_e32 v8, v10, v6
	s_delay_alu instid0(VALU_DEP_1) | instskip(NEXT) | instid1(VALU_DEP_1)
	v_fma_f32 v5, -v5, v8, v9
	v_div_fmas_f32 v5, v5, v6, v8
	s_delay_alu instid0(VALU_DEP_1) | instskip(SKIP_2) | instid1(VALU_DEP_3)
	v_div_fixup_f32 v9, v5, s35, v3
	v_add_co_u32 v5, vcc_lo, v15, s8
	v_add_co_ci_u32_e32 v6, vcc_lo, s9, v16, vcc_lo
	v_and_b32_e32 v3, 0x7fffff, v9
	v_lshrrev_b32_e32 v10, 24, v9
	v_and_b32_e32 v19, 0x7f800000, v9
	global_store_b8 v[5:6], v7, off
	v_and_b32_e32 v18, 0x80, v10
	s_delay_alu instid0(VALU_DEP_1)
	v_or_b32_e32 v8, 0x7e, v18
	v_cmpx_ne_u64_e32 0x7f800000, v[19:20]
	s_xor_b32 s21, exec_lo, s2
	s_cbranch_execz .LBB105_44
; %bb.29:                               ;   in Loop: Header=BB105_10 Depth=1
	v_dual_mov_b32 v20, v4 :: v_dual_and_b32 v19, 0x7fffffff, v9
	s_mov_b32 s2, exec_lo
	s_delay_alu instid0(VALU_DEP_1)
	v_cmpx_gt_u64_e32 0x43e00001, v[19:20]
	s_xor_b32 s27, exec_lo, s2
	s_cbranch_execz .LBB105_43
; %bb.30:                               ;   in Loop: Header=BB105_10 Depth=1
	v_mov_b32_e32 v8, 0
	s_mov_b32 s31, exec_lo
	v_cmpx_ne_u32_e32 0, v9
	s_cbranch_execz .LBB105_42
; %bb.31:                               ;   in Loop: Header=BB105_10 Depth=1
	v_bfe_u32 v19, v9, 23, 8
	v_or_b32_e32 v9, 0x800000, v3
	s_delay_alu instid0(VALU_DEP_2) | instskip(SKIP_1) | instid1(VALU_DEP_2)
	v_sub_nc_u32_e32 v7, 0x79, v19
	v_cmp_gt_u32_e32 vcc_lo, 0x7a, v19
	v_cndmask_b32_e32 v7, 0, v7, vcc_lo
	v_cmp_eq_u32_e32 vcc_lo, 0, v19
	s_delay_alu instid0(VALU_DEP_2) | instskip(SKIP_1) | instid1(VALU_DEP_2)
	v_cndmask_b32_e64 v20, v7, 0x78, vcc_lo
	v_cndmask_b32_e32 v3, v9, v3, vcc_lo
	v_add_nc_u32_e32 v7, 20, v20
	v_add_nc_u32_e32 v9, 19, v20
	s_delay_alu instid0(VALU_DEP_2) | instskip(NEXT) | instid1(VALU_DEP_2)
	v_lshlrev_b64 v[7:8], v7, -1
	v_lshlrev_b64 v[9:10], v9, 1
	s_delay_alu instid0(VALU_DEP_2) | instskip(NEXT) | instid1(VALU_DEP_3)
	v_not_b32_e32 v8, v8
	v_not_b32_e32 v7, v7
	s_delay_alu instid0(VALU_DEP_2) | instskip(NEXT) | instid1(VALU_DEP_2)
	v_and_b32_e32 v22, 0, v8
	v_and_b32_e32 v21, v3, v7
	v_lshrrev_b64 v[7:8], v20, v[3:4]
	s_delay_alu instid0(VALU_DEP_2) | instskip(NEXT) | instid1(VALU_DEP_2)
	v_cmp_eq_u64_e64 s2, v[21:22], v[9:10]
	v_dual_mov_b32 v10, v8 :: v_dual_mov_b32 v9, v7
	s_delay_alu instid0(VALU_DEP_2)
	s_and_saveexec_b32 s36, s2
; %bb.32:                               ;   in Loop: Header=BB105_10 Depth=1
	v_bfe_u32 v3, v7, 20, 1
	s_delay_alu instid0(VALU_DEP_1) | instskip(NEXT) | instid1(VALU_DEP_1)
	v_add_co_u32 v3, s2, v7, v3
	v_add_co_u32 v9, s2, v3, -1
; %bb.33:                               ;   in Loop: Header=BB105_10 Depth=1
	s_or_b32 exec_lo, exec_lo, s36
	v_add_nc_u32_e32 v3, 0xffffff81, v19
	v_lshrrev_b32_e32 v10, 23, v7
	s_mov_b32 s2, exec_lo
	s_delay_alu instid0(VALU_DEP_2) | instskip(NEXT) | instid1(VALU_DEP_1)
	v_cndmask_b32_e64 v3, v3, 0xffffff82, vcc_lo
	v_add3_u32 v10, v20, v3, v10
	v_and_b32_e32 v3, 0xfffff, v9
	s_delay_alu instid0(VALU_DEP_2) | instskip(NEXT) | instid1(VALU_DEP_2)
	v_add_nc_u32_e32 v9, 6, v10
	v_add_co_u32 v7, vcc_lo, v3, v7
	v_add_co_ci_u32_e32 v8, vcc_lo, 0, v8, vcc_lo
                                        ; implicit-def: $vgpr3
	s_delay_alu instid0(VALU_DEP_3)
	v_cmpx_ne_u32_e32 0, v9
	s_xor_b32 s2, exec_lo, s2
; %bb.34:                               ;   in Loop: Header=BB105_10 Depth=1
	s_delay_alu instid0(VALU_DEP_2) | instskip(SKIP_1) | instid1(VALU_DEP_1)
	v_cmp_lt_u64_e32 vcc_lo, 0xffffff, v[7:8]
	v_add_nc_u32_e32 v3, 7, v10
	v_cndmask_b32_e32 v3, v9, v3, vcc_lo
	v_cndmask_b32_e64 v9, 0, 1, vcc_lo
	s_delay_alu instid0(VALU_DEP_1)
	v_lshrrev_b64 v[7:8], v9, v[7:8]
; %bb.35:                               ;   in Loop: Header=BB105_10 Depth=1
	s_and_not1_saveexec_b32 s2, s2
; %bb.36:                               ;   in Loop: Header=BB105_10 Depth=1
	s_delay_alu instid0(VALU_DEP_1)
	v_bfe_u32 v3, v7, 23, 1
; %bb.37:                               ;   in Loop: Header=BB105_10 Depth=1
	s_or_b32 exec_lo, exec_lo, s2
	s_delay_alu instid0(VALU_DEP_2) | instskip(NEXT) | instid1(VALU_DEP_2)
	v_lshrrev_b64 v[7:8], 20, v[7:8]
	v_cmp_gt_i32_e32 vcc_lo, 16, v3
	v_cmp_ne_u32_e64 s2, 0, v3
	s_delay_alu instid0(VALU_DEP_3) | instskip(NEXT) | instid1(VALU_DEP_1)
	v_dual_cndmask_b32 v8, 0, v8 :: v_dual_cndmask_b32 v7, 7, v7
	v_cmp_ne_u64_e32 vcc_lo, 0, v[7:8]
                                        ; implicit-def: $vgpr8
	s_delay_alu instid0(VALU_DEP_3) | instskip(NEXT) | instid1(SALU_CYCLE_1)
	s_or_b32 s2, s2, vcc_lo
	s_and_saveexec_b32 s36, s2
	s_delay_alu instid0(SALU_CYCLE_1)
	s_xor_b32 s2, exec_lo, s36
; %bb.38:                               ;   in Loop: Header=BB105_10 Depth=1
	v_min_i32_e32 v3, 15, v3
	s_delay_alu instid0(VALU_DEP_1) | instskip(NEXT) | instid1(VALU_DEP_1)
	v_lshl_or_b32 v3, v3, 3, v18
                                        ; implicit-def: $vgpr18
	v_and_or_b32 v8, v7, 7, v3
; %bb.39:                               ;   in Loop: Header=BB105_10 Depth=1
	s_and_not1_saveexec_b32 s2, s2
; %bb.40:                               ;   in Loop: Header=BB105_10 Depth=1
	v_mov_b32_e32 v8, v18
; %bb.41:                               ;   in Loop: Header=BB105_10 Depth=1
	s_or_b32 exec_lo, exec_lo, s2
.LBB105_42:                             ;   in Loop: Header=BB105_10 Depth=1
	s_delay_alu instid0(SALU_CYCLE_1)
	s_or_b32 exec_lo, exec_lo, s31
.LBB105_43:                             ;   in Loop: Header=BB105_10 Depth=1
	s_and_not1_saveexec_b32 s2, s27
	s_delay_alu instid0(SALU_CYCLE_1)
	s_or_b32 exec_lo, exec_lo, s2
                                        ; implicit-def: $vgpr10
.LBB105_44:                             ;   in Loop: Header=BB105_10 Depth=1
	s_and_not1_saveexec_b32 s2, s21
	s_cbranch_execz .LBB105_9
; %bb.45:                               ;   in Loop: Header=BB105_10 Depth=1
	v_cmp_eq_u64_e32 vcc_lo, 0, v[3:4]
	v_or_b32_e32 v7, 0x7f, v10
	s_delay_alu instid0(VALU_DEP_1)
	v_cndmask_b32_e32 v8, v7, v8, vcc_lo
	s_branch .LBB105_9
.LBB105_46:
	s_or_b32 exec_lo, exec_lo, s34
	s_delay_alu instid0(SALU_CYCLE_1)
	s_mov_b32 s2, exec_lo
	v_cmpx_gt_i32_e64 s6, v0
	s_cbranch_execz .LBB105_67
; %bb.47:
	s_mul_i32 s2, s16, s11
	s_mul_hi_u32 s9, s16, s10
	s_mul_i32 s8, s16, s10
	s_add_i32 s9, s9, s2
	s_load_b32 s0, s[0:1], 0x8c
	s_lshl_b64 s[8:9], s[8:9], 1
	v_mov_b32_e32 v3, 0
	s_add_u32 s1, s14, s8
	s_addc_u32 s2, s15, s9
	s_ashr_i32 s8, s4, 31
	s_waitcnt lgkmcnt(0)
	s_load_b32 s4, s[24:25], 0x0
	s_mul_i32 s8, s22, s8
	s_delay_alu instid0(SALU_CYCLE_1) | instskip(NEXT) | instid1(SALU_CYCLE_1)
	s_add_i32 s8, s28, s8
	s_add_i32 s8, s8, s29
	s_add_u32 s9, s18, s33
	s_addc_u32 s8, s19, s8
	s_ashr_i32 s5, s5, 31
	s_delay_alu instid0(SALU_CYCLE_1) | instskip(NEXT) | instid1(SALU_CYCLE_1)
	s_mul_i32 s3, s3, s5
	s_add_i32 s3, s23, s3
	s_delay_alu instid0(SALU_CYCLE_1)
	s_add_i32 s5, s3, s7
	s_add_u32 s3, s9, s17
	s_addc_u32 s5, s8, s5
	s_and_b32 s7, s0, 0xffff
	s_mov_b32 s8, 0
	s_branch .LBB105_49
.LBB105_48:                             ;   in Loop: Header=BB105_49 Depth=1
	s_or_b32 exec_lo, exec_lo, s0
	v_add_co_u32 v6, vcc_lo, s3, v0
	v_add_nc_u32_e32 v0, s7, v0
	v_add_co_ci_u32_e32 v7, vcc_lo, s5, v1, vcc_lo
	s_delay_alu instid0(VALU_DEP_2) | instskip(SKIP_2) | instid1(SALU_CYCLE_1)
	v_cmp_le_i32_e32 vcc_lo, s6, v0
	global_store_b8 v[6:7], v5, off
	s_or_b32 s8, vcc_lo, s8
	s_and_not1_b32 exec_lo, exec_lo, s8
	s_cbranch_execz .LBB105_67
.LBB105_49:                             ; =>This Inner Loop Header: Depth=1
	v_ashrrev_i32_e32 v1, 31, v0
	s_mov_b32 s0, exec_lo
	v_mov_b32_e32 v10, v3
	s_delay_alu instid0(VALU_DEP_2) | instskip(NEXT) | instid1(VALU_DEP_1)
	v_lshlrev_b64 v[4:5], 1, v[0:1]
	v_add_co_u32 v4, vcc_lo, s1, v4
	s_delay_alu instid0(VALU_DEP_2) | instskip(SKIP_4) | instid1(VALU_DEP_1)
	v_add_co_ci_u32_e32 v5, vcc_lo, s2, v5, vcc_lo
	global_load_u16 v2, v[4:5], off
	s_waitcnt vmcnt(0)
	v_lshlrev_b32_e32 v2, 16, v2
	s_waitcnt lgkmcnt(0)
	v_div_scale_f32 v4, null, s4, s4, v2
	s_delay_alu instid0(VALU_DEP_1) | instskip(SKIP_2) | instid1(VALU_DEP_1)
	v_rcp_f32_e32 v5, v4
	s_waitcnt_depctr 0xfff
	v_fma_f32 v6, -v4, v5, 1.0
	v_fmac_f32_e32 v5, v6, v5
	v_div_scale_f32 v6, vcc_lo, v2, s4, v2
	s_delay_alu instid0(VALU_DEP_1) | instskip(NEXT) | instid1(VALU_DEP_1)
	v_mul_f32_e32 v7, v6, v5
	v_fma_f32 v8, -v4, v7, v6
	s_delay_alu instid0(VALU_DEP_1) | instskip(NEXT) | instid1(VALU_DEP_1)
	v_fmac_f32_e32 v7, v8, v5
	v_fma_f32 v4, -v4, v7, v6
	s_delay_alu instid0(VALU_DEP_1) | instskip(NEXT) | instid1(VALU_DEP_1)
	v_div_fmas_f32 v4, v4, v5, v7
	v_div_fixup_f32 v4, v4, s4, v2
	s_delay_alu instid0(VALU_DEP_1) | instskip(SKIP_2) | instid1(VALU_DEP_3)
	v_lshrrev_b32_e32 v6, 24, v4
	v_and_b32_e32 v9, 0x7f800000, v4
	v_and_b32_e32 v2, 0x7fffff, v4
	;; [unrolled: 1-line block ×3, first 2 shown]
	s_delay_alu instid0(VALU_DEP_1) | instskip(NEXT) | instid1(VALU_DEP_4)
	v_or_b32_e32 v5, 0x7e, v8
	v_cmpx_ne_u64_e32 0x7f800000, v[9:10]
	s_xor_b32 s9, exec_lo, s0
	s_cbranch_execz .LBB105_65
; %bb.50:                               ;   in Loop: Header=BB105_49 Depth=1
	v_dual_mov_b32 v7, v3 :: v_dual_and_b32 v6, 0x7fffffff, v4
	s_mov_b32 s0, exec_lo
	s_delay_alu instid0(VALU_DEP_1)
	v_cmpx_gt_u64_e32 0x43e00001, v[6:7]
	s_xor_b32 s10, exec_lo, s0
	s_cbranch_execz .LBB105_64
; %bb.51:                               ;   in Loop: Header=BB105_49 Depth=1
	v_mov_b32_e32 v5, 0
	s_mov_b32 s11, exec_lo
	v_cmpx_ne_u32_e32 0, v4
	s_cbranch_execz .LBB105_63
; %bb.52:                               ;   in Loop: Header=BB105_49 Depth=1
	v_bfe_u32 v9, v4, 23, 8
	v_or_b32_e32 v6, 0x800000, v2
	s_delay_alu instid0(VALU_DEP_2) | instskip(SKIP_1) | instid1(VALU_DEP_2)
	v_sub_nc_u32_e32 v4, 0x79, v9
	v_cmp_gt_u32_e32 vcc_lo, 0x7a, v9
	v_cndmask_b32_e32 v4, 0, v4, vcc_lo
	v_cmp_eq_u32_e32 vcc_lo, 0, v9
	s_delay_alu instid0(VALU_DEP_2) | instskip(SKIP_1) | instid1(VALU_DEP_2)
	v_cndmask_b32_e64 v10, v4, 0x78, vcc_lo
	v_cndmask_b32_e32 v2, v6, v2, vcc_lo
	v_add_nc_u32_e32 v4, 20, v10
	v_add_nc_u32_e32 v6, 19, v10
	s_delay_alu instid0(VALU_DEP_2) | instskip(NEXT) | instid1(VALU_DEP_2)
	v_lshlrev_b64 v[4:5], v4, -1
	v_lshlrev_b64 v[6:7], v6, 1
	s_delay_alu instid0(VALU_DEP_2) | instskip(NEXT) | instid1(VALU_DEP_3)
	v_not_b32_e32 v5, v5
	v_not_b32_e32 v4, v4
	s_delay_alu instid0(VALU_DEP_2) | instskip(NEXT) | instid1(VALU_DEP_2)
	v_and_b32_e32 v12, 0, v5
	v_and_b32_e32 v11, v2, v4
	v_lshrrev_b64 v[4:5], v10, v[2:3]
	s_delay_alu instid0(VALU_DEP_2) | instskip(NEXT) | instid1(VALU_DEP_2)
	v_cmp_eq_u64_e64 s0, v[11:12], v[6:7]
	v_dual_mov_b32 v7, v5 :: v_dual_mov_b32 v6, v4
	s_delay_alu instid0(VALU_DEP_2)
	s_and_saveexec_b32 s12, s0
; %bb.53:                               ;   in Loop: Header=BB105_49 Depth=1
	v_bfe_u32 v2, v4, 20, 1
	s_delay_alu instid0(VALU_DEP_1) | instskip(NEXT) | instid1(VALU_DEP_1)
	v_add_co_u32 v2, s0, v4, v2
	v_add_co_u32 v6, s0, v2, -1
; %bb.54:                               ;   in Loop: Header=BB105_49 Depth=1
	s_or_b32 exec_lo, exec_lo, s12
	v_add_nc_u32_e32 v2, 0xffffff81, v9
	v_lshrrev_b32_e32 v7, 23, v4
	s_mov_b32 s0, exec_lo
	s_delay_alu instid0(VALU_DEP_2) | instskip(NEXT) | instid1(VALU_DEP_1)
	v_cndmask_b32_e64 v2, v2, 0xffffff82, vcc_lo
	v_add3_u32 v7, v10, v2, v7
	v_and_b32_e32 v2, 0xfffff, v6
	s_delay_alu instid0(VALU_DEP_2) | instskip(NEXT) | instid1(VALU_DEP_2)
	v_add_nc_u32_e32 v6, 6, v7
	v_add_co_u32 v4, vcc_lo, v2, v4
	v_add_co_ci_u32_e32 v5, vcc_lo, 0, v5, vcc_lo
                                        ; implicit-def: $vgpr2
	s_delay_alu instid0(VALU_DEP_3)
	v_cmpx_ne_u32_e32 0, v6
	s_xor_b32 s0, exec_lo, s0
; %bb.55:                               ;   in Loop: Header=BB105_49 Depth=1
	s_delay_alu instid0(VALU_DEP_2) | instskip(SKIP_1) | instid1(VALU_DEP_1)
	v_cmp_lt_u64_e32 vcc_lo, 0xffffff, v[4:5]
	v_add_nc_u32_e32 v2, 7, v7
	v_cndmask_b32_e32 v2, v6, v2, vcc_lo
	v_cndmask_b32_e64 v6, 0, 1, vcc_lo
	s_delay_alu instid0(VALU_DEP_1)
	v_lshrrev_b64 v[4:5], v6, v[4:5]
; %bb.56:                               ;   in Loop: Header=BB105_49 Depth=1
	s_and_not1_saveexec_b32 s0, s0
; %bb.57:                               ;   in Loop: Header=BB105_49 Depth=1
	s_delay_alu instid0(VALU_DEP_1)
	v_bfe_u32 v2, v4, 23, 1
; %bb.58:                               ;   in Loop: Header=BB105_49 Depth=1
	s_or_b32 exec_lo, exec_lo, s0
	s_delay_alu instid0(VALU_DEP_2) | instskip(NEXT) | instid1(VALU_DEP_2)
	v_lshrrev_b64 v[4:5], 20, v[4:5]
	v_cmp_gt_i32_e32 vcc_lo, 16, v2
	v_cmp_ne_u32_e64 s0, 0, v2
	s_delay_alu instid0(VALU_DEP_3) | instskip(NEXT) | instid1(VALU_DEP_1)
	v_dual_cndmask_b32 v5, 0, v5 :: v_dual_cndmask_b32 v4, 7, v4
	v_cmp_ne_u64_e32 vcc_lo, 0, v[4:5]
                                        ; implicit-def: $vgpr5
	s_delay_alu instid0(VALU_DEP_3) | instskip(NEXT) | instid1(SALU_CYCLE_1)
	s_or_b32 s0, s0, vcc_lo
	s_and_saveexec_b32 s12, s0
	s_delay_alu instid0(SALU_CYCLE_1)
	s_xor_b32 s0, exec_lo, s12
; %bb.59:                               ;   in Loop: Header=BB105_49 Depth=1
	v_min_i32_e32 v2, 15, v2
	s_delay_alu instid0(VALU_DEP_1) | instskip(NEXT) | instid1(VALU_DEP_1)
	v_lshl_or_b32 v2, v2, 3, v8
                                        ; implicit-def: $vgpr8
	v_and_or_b32 v5, v4, 7, v2
; %bb.60:                               ;   in Loop: Header=BB105_49 Depth=1
	s_and_not1_saveexec_b32 s0, s0
; %bb.61:                               ;   in Loop: Header=BB105_49 Depth=1
	v_mov_b32_e32 v5, v8
; %bb.62:                               ;   in Loop: Header=BB105_49 Depth=1
	s_or_b32 exec_lo, exec_lo, s0
.LBB105_63:                             ;   in Loop: Header=BB105_49 Depth=1
	s_delay_alu instid0(SALU_CYCLE_1)
	s_or_b32 exec_lo, exec_lo, s11
.LBB105_64:                             ;   in Loop: Header=BB105_49 Depth=1
	s_and_not1_saveexec_b32 s0, s10
	s_delay_alu instid0(SALU_CYCLE_1)
	s_or_b32 exec_lo, exec_lo, s0
                                        ; implicit-def: $vgpr6
.LBB105_65:                             ;   in Loop: Header=BB105_49 Depth=1
	s_and_not1_saveexec_b32 s0, s9
	s_cbranch_execz .LBB105_48
; %bb.66:                               ;   in Loop: Header=BB105_49 Depth=1
	v_cmp_eq_u64_e32 vcc_lo, 0, v[2:3]
	v_or_b32_e32 v4, 0x7f, v6
	s_delay_alu instid0(VALU_DEP_1)
	v_cndmask_b32_e32 v5, v4, v5, vcc_lo
	s_branch .LBB105_48
.LBB105_67:
	s_nop 0
	s_sendmsg sendmsg(MSG_DEALLOC_VGPRS)
	s_endpgm
.LBB105_68:
                                        ; implicit-def: $sgpr22_sgpr23
	s_branch .LBB105_6
	.section	.rodata,"a",@progbits
	.p2align	6, 0x0
	.amdhsa_kernel _ZN4vllm38concat_and_cache_mla_rope_fused_kernelIN3c108BFloat16ENS1_4HalfELb0E14__hip_bfloat16hLNS_18Fp8KVCacheDataTypeE1EEEvPKlPT_S9_PKS8_PKT0_illlliPT3_S7_iiiiPKf
		.amdhsa_group_segment_fixed_size 0
		.amdhsa_private_segment_fixed_size 0
		.amdhsa_kernarg_size 384
		.amdhsa_user_sgpr_count 15
		.amdhsa_user_sgpr_dispatch_ptr 0
		.amdhsa_user_sgpr_queue_ptr 0
		.amdhsa_user_sgpr_kernarg_segment_ptr 1
		.amdhsa_user_sgpr_dispatch_id 0
		.amdhsa_user_sgpr_private_segment_size 0
		.amdhsa_wavefront_size32 1
		.amdhsa_uses_dynamic_stack 0
		.amdhsa_enable_private_segment 0
		.amdhsa_system_sgpr_workgroup_id_x 1
		.amdhsa_system_sgpr_workgroup_id_y 0
		.amdhsa_system_sgpr_workgroup_id_z 0
		.amdhsa_system_sgpr_workgroup_info 0
		.amdhsa_system_vgpr_workitem_id 0
		.amdhsa_next_free_vgpr 23
		.amdhsa_next_free_sgpr 43
		.amdhsa_reserve_vcc 1
		.amdhsa_float_round_mode_32 0
		.amdhsa_float_round_mode_16_64 0
		.amdhsa_float_denorm_mode_32 3
		.amdhsa_float_denorm_mode_16_64 3
		.amdhsa_dx10_clamp 1
		.amdhsa_ieee_mode 1
		.amdhsa_fp16_overflow 0
		.amdhsa_workgroup_processor_mode 1
		.amdhsa_memory_ordered 1
		.amdhsa_forward_progress 0
		.amdhsa_shared_vgpr_count 0
		.amdhsa_exception_fp_ieee_invalid_op 0
		.amdhsa_exception_fp_denorm_src 0
		.amdhsa_exception_fp_ieee_div_zero 0
		.amdhsa_exception_fp_ieee_overflow 0
		.amdhsa_exception_fp_ieee_underflow 0
		.amdhsa_exception_fp_ieee_inexact 0
		.amdhsa_exception_int_div_zero 0
	.end_amdhsa_kernel
	.section	.text._ZN4vllm38concat_and_cache_mla_rope_fused_kernelIN3c108BFloat16ENS1_4HalfELb0E14__hip_bfloat16hLNS_18Fp8KVCacheDataTypeE1EEEvPKlPT_S9_PKS8_PKT0_illlliPT3_S7_iiiiPKf,"axG",@progbits,_ZN4vllm38concat_and_cache_mla_rope_fused_kernelIN3c108BFloat16ENS1_4HalfELb0E14__hip_bfloat16hLNS_18Fp8KVCacheDataTypeE1EEEvPKlPT_S9_PKS8_PKT0_illlliPT3_S7_iiiiPKf,comdat
.Lfunc_end105:
	.size	_ZN4vllm38concat_and_cache_mla_rope_fused_kernelIN3c108BFloat16ENS1_4HalfELb0E14__hip_bfloat16hLNS_18Fp8KVCacheDataTypeE1EEEvPKlPT_S9_PKS8_PKT0_illlliPT3_S7_iiiiPKf, .Lfunc_end105-_ZN4vllm38concat_and_cache_mla_rope_fused_kernelIN3c108BFloat16ENS1_4HalfELb0E14__hip_bfloat16hLNS_18Fp8KVCacheDataTypeE1EEEvPKlPT_S9_PKS8_PKT0_illlliPT3_S7_iiiiPKf
                                        ; -- End function
	.section	.AMDGPU.csdata,"",@progbits
; Kernel info:
; codeLenInByte = 5200
; NumSgprs: 45
; NumVgprs: 23
; ScratchSize: 0
; MemoryBound: 0
; FloatMode: 240
; IeeeMode: 1
; LDSByteSize: 0 bytes/workgroup (compile time only)
; SGPRBlocks: 5
; VGPRBlocks: 2
; NumSGPRsForWavesPerEU: 45
; NumVGPRsForWavesPerEU: 23
; Occupancy: 16
; WaveLimiterHint : 1
; COMPUTE_PGM_RSRC2:SCRATCH_EN: 0
; COMPUTE_PGM_RSRC2:USER_SGPR: 15
; COMPUTE_PGM_RSRC2:TRAP_HANDLER: 0
; COMPUTE_PGM_RSRC2:TGID_X_EN: 1
; COMPUTE_PGM_RSRC2:TGID_Y_EN: 0
; COMPUTE_PGM_RSRC2:TGID_Z_EN: 0
; COMPUTE_PGM_RSRC2:TIDIG_COMP_CNT: 0
	.section	.text._ZN4vllm38concat_and_cache_mla_rope_fused_kernelIN3c108BFloat16ES2_Lb1E14__hip_bfloat16hLNS_18Fp8KVCacheDataTypeE1EEEvPKlPT_S8_PKS7_PKT0_illlliPT3_S6_iiiiPKf,"axG",@progbits,_ZN4vllm38concat_and_cache_mla_rope_fused_kernelIN3c108BFloat16ES2_Lb1E14__hip_bfloat16hLNS_18Fp8KVCacheDataTypeE1EEEvPKlPT_S8_PKS7_PKT0_illlliPT3_S6_iiiiPKf,comdat
	.protected	_ZN4vllm38concat_and_cache_mla_rope_fused_kernelIN3c108BFloat16ES2_Lb1E14__hip_bfloat16hLNS_18Fp8KVCacheDataTypeE1EEEvPKlPT_S8_PKS7_PKT0_illlliPT3_S6_iiiiPKf ; -- Begin function _ZN4vllm38concat_and_cache_mla_rope_fused_kernelIN3c108BFloat16ES2_Lb1E14__hip_bfloat16hLNS_18Fp8KVCacheDataTypeE1EEEvPKlPT_S8_PKS7_PKT0_illlliPT3_S6_iiiiPKf
	.globl	_ZN4vllm38concat_and_cache_mla_rope_fused_kernelIN3c108BFloat16ES2_Lb1E14__hip_bfloat16hLNS_18Fp8KVCacheDataTypeE1EEEvPKlPT_S8_PKS7_PKT0_illlliPT3_S6_iiiiPKf
	.p2align	8
	.type	_ZN4vllm38concat_and_cache_mla_rope_fused_kernelIN3c108BFloat16ES2_Lb1E14__hip_bfloat16hLNS_18Fp8KVCacheDataTypeE1EEEvPKlPT_S8_PKS7_PKT0_illlliPT3_S6_iiiiPKf,@function
_ZN4vllm38concat_and_cache_mla_rope_fused_kernelIN3c108BFloat16ES2_Lb1E14__hip_bfloat16hLNS_18Fp8KVCacheDataTypeE1EEEvPKlPT_S8_PKS7_PKT0_illlliPT3_S6_iiiiPKf: ; @_ZN4vllm38concat_and_cache_mla_rope_fused_kernelIN3c108BFloat16ES2_Lb1E14__hip_bfloat16hLNS_18Fp8KVCacheDataTypeE1EEEvPKlPT_S8_PKS7_PKT0_illlliPT3_S6_iiiiPKf
; %bb.0:
	s_load_b64 s[4:5], s[0:1], 0x60
	s_mov_b32 s16, s15
	s_mov_b32 s17, 0
	s_delay_alu instid0(SALU_CYCLE_1)
	s_lshl_b64 s[2:3], s[16:17], 3
	s_waitcnt lgkmcnt(0)
	s_add_u32 s4, s4, s2
	s_addc_u32 s5, s5, s3
	s_load_b64 s[30:31], s[4:5], 0x0
	s_waitcnt lgkmcnt(0)
	v_cmp_lt_i64_e64 s4, s[30:31], 0
	s_delay_alu instid0(VALU_DEP_1)
	s_and_b32 vcc_lo, exec_lo, s4
	s_cbranch_vccnz .LBB106_67
; %bb.1:
	s_clause 0x2
	s_load_b32 s20, s[0:1], 0x28
	s_load_b64 s[4:5], s[0:1], 0x0
	s_load_b128 s[12:15], s[0:1], 0x10
	s_mov_b32 s23, exec_lo
	s_waitcnt lgkmcnt(0)
	s_ashr_i32 s17, s20, 31
	s_add_u32 s2, s4, s2
	s_addc_u32 s3, s5, s3
	s_load_b64 s[2:3], s[2:3], 0x0
	s_clause 0x3
	s_load_b64 s[26:27], s[0:1], 0x20
	s_load_b32 s21, s[0:1], 0x50
	s_load_b64 s[18:19], s[0:1], 0x58
	s_load_b256 s[4:11], s[0:1], 0x30
	s_waitcnt lgkmcnt(0)
	s_mul_i32 s17, s2, s17
	s_mul_hi_u32 s22, s2, s20
	s_mul_i32 s3, s3, s20
	s_add_i32 s17, s22, s17
	s_mul_i32 s2, s2, s20
	s_add_i32 s3, s17, s3
	s_delay_alu instid0(SALU_CYCLE_1) | instskip(NEXT) | instid1(SALU_CYCLE_1)
	s_lshl_b64 s[28:29], s[2:3], 1
	s_add_u32 s17, s26, s28
	s_addc_u32 s33, s27, s29
	s_lshr_b32 s2, s20, 31
	s_delay_alu instid0(SALU_CYCLE_1) | instskip(NEXT) | instid1(SALU_CYCLE_1)
	s_add_i32 s20, s20, s2
	s_ashr_i32 s20, s20, 1
	s_delay_alu instid0(SALU_CYCLE_1) | instskip(NEXT) | instid1(SALU_CYCLE_1)
	s_mul_i32 s22, s20, s21
	v_cmpx_gt_i32_e64 s22, v0
	s_cbranch_execz .LBB106_4
; %bb.2:
	s_clause 0x1
	s_load_b64 s[2:3], s[0:1], 0x8
	s_load_b32 s35, s[0:1], 0x8c
	s_mul_i32 s5, s16, s5
	s_mul_hi_u32 s21, s16, s4
	s_mul_i32 s4, s16, s4
	s_add_i32 s5, s21, s5
	s_ashr_i32 s21, s20, 31
	s_lshl_b64 s[4:5], s[4:5], 1
	s_mov_b32 s36, 0
	s_waitcnt lgkmcnt(0)
	s_add_u32 s24, s2, s4
	s_addc_u32 s25, s3, s5
	s_abs_i32 s34, s20
	s_and_b32 s35, s35, 0xffff
	v_cvt_f32_u32_e32 v1, s34
	s_sub_i32 s2, 0, s34
	s_sub_i32 s37, 0, s20
	s_lshl_b64 s[4:5], s[20:21], 1
	s_delay_alu instid0(VALU_DEP_1) | instskip(SKIP_2) | instid1(VALU_DEP_1)
	v_rcp_iflag_f32_e32 v1, v1
	s_waitcnt_depctr 0xfff
	v_mul_f32_e32 v1, 0x4f7ffffe, v1
	v_cvt_u32_f32_e32 v1, v1
	s_delay_alu instid0(VALU_DEP_1) | instskip(NEXT) | instid1(VALU_DEP_1)
	v_mul_lo_u32 v2, s2, v1
	v_mul_hi_u32 v2, v1, v2
	s_delay_alu instid0(VALU_DEP_1)
	v_dual_mov_b32 v1, v0 :: v_dual_add_nc_u32 v2, v1, v2
.LBB106_3:                              ; =>This Inner Loop Header: Depth=1
	s_delay_alu instid0(VALU_DEP_1) | instskip(SKIP_1) | instid1(VALU_DEP_2)
	v_sub_nc_u32_e32 v3, 0, v1
	v_ashrrev_i32_e32 v4, 31, v1
	v_max_i32_e32 v3, v1, v3
	s_delay_alu instid0(VALU_DEP_2) | instskip(NEXT) | instid1(VALU_DEP_2)
	v_xor_b32_e32 v4, s21, v4
	v_mul_hi_u32 v5, v3, v2
	s_delay_alu instid0(VALU_DEP_1) | instskip(SKIP_1) | instid1(VALU_DEP_2)
	v_mul_lo_u32 v6, v5, s34
	v_add_nc_u32_e32 v7, 1, v5
	v_sub_nc_u32_e32 v3, v3, v6
	s_delay_alu instid0(VALU_DEP_1) | instskip(SKIP_1) | instid1(VALU_DEP_4)
	v_subrev_nc_u32_e32 v6, s34, v3
	v_cmp_le_u32_e32 vcc_lo, s34, v3
	v_cndmask_b32_e32 v5, v5, v7, vcc_lo
	s_delay_alu instid0(VALU_DEP_1) | instskip(NEXT) | instid1(VALU_DEP_1)
	v_dual_cndmask_b32 v3, v3, v6 :: v_dual_add_nc_u32 v6, 1, v5
	v_cmp_le_u32_e32 vcc_lo, s34, v3
	s_delay_alu instid0(VALU_DEP_2) | instskip(NEXT) | instid1(VALU_DEP_1)
	v_cndmask_b32_e32 v3, v5, v6, vcc_lo
	v_xor_b32_e32 v3, v3, v4
	s_delay_alu instid0(VALU_DEP_1) | instskip(NEXT) | instid1(VALU_DEP_1)
	v_sub_nc_u32_e32 v7, v3, v4
	v_mad_u64_u32 v[3:4], null, s37, v7, v[1:2]
	v_ashrrev_i32_e32 v8, 31, v7
	v_mul_lo_u32 v9, v7, s7
	v_mad_u64_u32 v[5:6], null, v7, s6, 0
	v_add_nc_u32_e32 v1, s35, v1
	s_delay_alu instid0(VALU_DEP_4) | instskip(SKIP_1) | instid1(VALU_DEP_1)
	v_mul_lo_u32 v7, v8, s6
	v_ashrrev_i32_e32 v4, 31, v3
	v_lshlrev_b64 v[3:4], 1, v[3:4]
	s_delay_alu instid0(VALU_DEP_3) | instskip(NEXT) | instid1(VALU_DEP_2)
	v_add3_u32 v6, v6, v9, v7
	v_add_co_u32 v7, vcc_lo, s17, v3
	s_delay_alu instid0(VALU_DEP_2) | instskip(NEXT) | instid1(VALU_DEP_4)
	v_lshlrev_b64 v[5:6], 1, v[5:6]
	v_add_co_ci_u32_e32 v8, vcc_lo, s33, v4, vcc_lo
	s_delay_alu instid0(VALU_DEP_3) | instskip(NEXT) | instid1(VALU_DEP_2)
	v_add_co_u32 v9, vcc_lo, v7, s4
	v_add_co_ci_u32_e32 v10, vcc_lo, s5, v8, vcc_lo
	s_delay_alu instid0(VALU_DEP_4)
	v_add_co_u32 v5, vcc_lo, s24, v5
	v_add_co_ci_u32_e32 v6, vcc_lo, s25, v6, vcc_lo
	global_load_u16 v7, v[7:8], off
	v_add_co_u32 v3, vcc_lo, v5, v3
	v_add_co_ci_u32_e32 v4, vcc_lo, v6, v4, vcc_lo
	global_load_u16 v8, v[9:10], off
	v_add_co_u32 v5, vcc_lo, v3, s4
	v_add_co_ci_u32_e32 v6, vcc_lo, s5, v4, vcc_lo
	s_clause 0x1
	global_load_u16 v9, v[3:4], off
	global_load_u16 v10, v[5:6], off
	s_waitcnt vmcnt(3)
	v_lshlrev_b32_e32 v7, 16, v7
	s_waitcnt vmcnt(2)
	v_lshlrev_b32_e32 v8, 16, v8
	;; [unrolled: 2-line block ×3, first 2 shown]
	s_waitcnt vmcnt(0)
	s_delay_alu instid0(VALU_DEP_1) | instskip(SKIP_1) | instid1(VALU_DEP_2)
	v_dual_mul_f32 v11, v7, v9 :: v_dual_lshlrev_b32 v10, 16, v10
	v_mul_f32_e32 v9, v8, v9
	v_mul_f32_e32 v8, v8, v10
	;; [unrolled: 1-line block ×3, first 2 shown]
	s_delay_alu instid0(VALU_DEP_4) | instskip(NEXT) | instid1(VALU_DEP_4)
	v_bfe_u32 v12, v11, 16, 1
	v_bfe_u32 v10, v9, 16, 1
	s_delay_alu instid0(VALU_DEP_4) | instskip(NEXT) | instid1(VALU_DEP_4)
	v_bfe_u32 v13, v8, 16, 1
	v_bfe_u32 v14, v7, 16, 1
	v_cmp_o_f32_e64 s2, v11, v11
	v_add3_u32 v12, v11, v12, 0x7fff
	v_add3_u32 v10, v9, v10, 0x7fff
	;; [unrolled: 1-line block ×4, first 2 shown]
	s_delay_alu instid0(VALU_DEP_4) | instskip(NEXT) | instid1(VALU_DEP_4)
	v_and_b32_e32 v12, 0xffff0000, v12
	v_and_b32_e32 v10, 0xffff0000, v10
	v_cmp_o_f32_e32 vcc_lo, v9, v9
	v_and_b32_e32 v9, 0xffff0000, v13
	s_delay_alu instid0(VALU_DEP_4) | instskip(SKIP_3) | instid1(VALU_DEP_3)
	v_cndmask_b32_e64 v11, 0x7fc00000, v12, s2
	v_cmp_o_f32_e64 s2, v8, v8
	v_cndmask_b32_e32 v10, 0x7fc00000, v10, vcc_lo
	v_cmp_o_f32_e32 vcc_lo, v7, v7
	v_cndmask_b32_e64 v7, 0x7fc00000, v9, s2
	s_delay_alu instid0(VALU_DEP_1) | instskip(NEXT) | instid1(VALU_DEP_1)
	v_dual_sub_f32 v7, v11, v7 :: v_dual_and_b32 v12, 0xffff0000, v14
	v_cndmask_b32_e32 v8, 0x7fc00000, v12, vcc_lo
	v_cmp_le_i32_e32 vcc_lo, s22, v1
	s_delay_alu instid0(VALU_DEP_3) | instskip(NEXT) | instid1(VALU_DEP_3)
	v_bfe_u32 v9, v7, 16, 1
	v_add_f32_e32 v8, v10, v8
	v_cmp_o_f32_e64 s3, v7, v7
	s_or_b32 s36, vcc_lo, s36
	s_delay_alu instid0(VALU_DEP_3) | instskip(NEXT) | instid1(VALU_DEP_3)
	v_add3_u32 v9, v7, v9, 0x7fff
	v_bfe_u32 v10, v8, 16, 1
	v_cmp_o_f32_e64 s2, v8, v8
	s_delay_alu instid0(VALU_DEP_3) | instskip(NEXT) | instid1(VALU_DEP_3)
	v_lshrrev_b32_e32 v9, 16, v9
	v_add3_u32 v10, v8, v10, 0x7fff
	s_delay_alu instid0(VALU_DEP_2) | instskip(NEXT) | instid1(VALU_DEP_2)
	v_cndmask_b32_e64 v7, 0x7fc0, v9, s3
	v_lshrrev_b32_e32 v10, 16, v10
	s_delay_alu instid0(VALU_DEP_1)
	v_cndmask_b32_e64 v8, 0x7fc0, v10, s2
	s_clause 0x1
	global_store_b16 v[3:4], v7, off
	global_store_b16 v[5:6], v8, off
	s_and_not1_b32 exec_lo, exec_lo, s36
	s_cbranch_execnz .LBB106_3
.LBB106_4:
	s_or_b32 exec_lo, exec_lo, s23
	s_load_b128 s[4:7], s[0:1], 0x68
	s_waitcnt lgkmcnt(0)
	s_ashr_i32 s3, s7, 31
	s_mov_b32 s2, s7
	s_delay_alu instid0(SALU_CYCLE_1) | instskip(SKIP_1) | instid1(SALU_CYCLE_1)
	s_or_b64 s[24:25], s[30:31], s[2:3]
	s_mov_b32 s24, 0
	s_cmp_lg_u64 s[24:25], 0
	s_cbranch_scc0 .LBB106_68
; %bb.5:
	s_add_u32 s34, s2, s3
	s_mov_b32 s22, s3
	s_mov_b32 s23, s3
	s_addc_u32 s35, s3, s3
	s_delay_alu instid0(SALU_CYCLE_1) | instskip(NEXT) | instid1(SALU_CYCLE_1)
	s_xor_b64 s[34:35], s[34:35], s[22:23]
	v_cvt_f32_u32_e32 v1, s34
	v_cvt_f32_u32_e32 v2, s35
	s_sub_u32 s25, 0, s34
	s_subb_u32 s36, 0, s35
	s_delay_alu instid0(VALU_DEP_1) | instskip(NEXT) | instid1(VALU_DEP_1)
	v_fmamk_f32 v1, v2, 0x4f800000, v1
	v_rcp_f32_e32 v1, v1
	s_waitcnt_depctr 0xfff
	v_mul_f32_e32 v1, 0x5f7ffffc, v1
	s_delay_alu instid0(VALU_DEP_1) | instskip(NEXT) | instid1(VALU_DEP_1)
	v_mul_f32_e32 v2, 0x2f800000, v1
	v_trunc_f32_e32 v2, v2
	s_delay_alu instid0(VALU_DEP_1) | instskip(SKIP_1) | instid1(VALU_DEP_2)
	v_fmamk_f32 v1, v2, 0xcf800000, v1
	v_cvt_u32_f32_e32 v2, v2
	v_cvt_u32_f32_e32 v1, v1
	s_delay_alu instid0(VALU_DEP_2) | instskip(NEXT) | instid1(VALU_DEP_2)
	v_readfirstlane_b32 s7, v2
	v_readfirstlane_b32 s21, v1
	s_delay_alu instid0(VALU_DEP_2) | instskip(NEXT) | instid1(VALU_DEP_1)
	s_mul_i32 s37, s25, s7
	s_mul_hi_u32 s39, s25, s21
	s_mul_i32 s38, s36, s21
	s_add_i32 s37, s39, s37
	s_mul_i32 s40, s25, s21
	s_add_i32 s37, s37, s38
	s_mul_hi_u32 s39, s21, s40
	s_mul_hi_u32 s41, s7, s40
	s_mul_i32 s38, s7, s40
	s_mul_hi_u32 s40, s21, s37
	s_mul_i32 s21, s21, s37
	s_mul_hi_u32 s42, s7, s37
	s_add_u32 s21, s39, s21
	s_addc_u32 s39, 0, s40
	s_add_u32 s21, s21, s38
	s_mul_i32 s37, s7, s37
	s_addc_u32 s21, s39, s41
	s_addc_u32 s38, s42, 0
	s_add_u32 s21, s21, s37
	s_addc_u32 s37, 0, s38
	v_add_co_u32 v1, s21, v1, s21
	s_delay_alu instid0(VALU_DEP_1) | instskip(SKIP_1) | instid1(VALU_DEP_1)
	s_cmp_lg_u32 s21, 0
	s_addc_u32 s7, s7, s37
	v_readfirstlane_b32 s21, v1
	s_mul_i32 s37, s25, s7
	s_delay_alu instid0(VALU_DEP_1)
	s_mul_hi_u32 s38, s25, s21
	s_mul_i32 s36, s36, s21
	s_add_i32 s37, s38, s37
	s_mul_i32 s25, s25, s21
	s_add_i32 s37, s37, s36
	s_mul_hi_u32 s38, s7, s25
	s_mul_i32 s39, s7, s25
	s_mul_hi_u32 s25, s21, s25
	s_mul_hi_u32 s40, s21, s37
	s_mul_i32 s21, s21, s37
	s_mul_hi_u32 s36, s7, s37
	s_add_u32 s21, s25, s21
	s_addc_u32 s25, 0, s40
	s_add_u32 s21, s21, s39
	s_mul_i32 s37, s7, s37
	s_addc_u32 s21, s25, s38
	s_addc_u32 s25, s36, 0
	s_add_u32 s21, s21, s37
	s_addc_u32 s25, 0, s25
	v_add_co_u32 v1, s21, v1, s21
	s_delay_alu instid0(VALU_DEP_1) | instskip(SKIP_2) | instid1(VALU_DEP_1)
	s_cmp_lg_u32 s21, 0
	s_addc_u32 s7, s7, s25
	s_ashr_i32 s36, s31, 31
	v_readfirstlane_b32 s21, v1
	s_add_u32 s38, s30, s36
	s_mov_b32 s37, s36
	s_addc_u32 s39, s31, s36
	s_delay_alu instid0(SALU_CYCLE_1) | instskip(NEXT) | instid1(SALU_CYCLE_1)
	s_xor_b64 s[38:39], s[38:39], s[36:37]
	s_mul_i32 s40, s38, s7
	s_mul_hi_u32 s41, s38, s21
	s_mul_hi_u32 s25, s38, s7
	;; [unrolled: 1-line block ×3, first 2 shown]
	s_mul_i32 s21, s39, s21
	s_add_u32 s40, s41, s40
	s_addc_u32 s25, 0, s25
	s_mul_hi_u32 s42, s39, s7
	s_add_u32 s21, s40, s21
	s_mul_i32 s7, s39, s7
	s_addc_u32 s21, s25, s43
	s_addc_u32 s25, s42, 0
	s_add_u32 s7, s21, s7
	s_addc_u32 s21, 0, s25
	s_mul_i32 s42, s34, s7
	s_mul_hi_u32 s25, s34, s7
	s_mul_i32 s41, s34, s21
	v_sub_co_u32 v1, s38, s38, s42
	s_mul_i32 s40, s35, s7
	s_add_i32 s25, s25, s41
	s_delay_alu instid0(SALU_CYCLE_1) | instskip(NEXT) | instid1(VALU_DEP_1)
	s_add_i32 s25, s25, s40
	v_sub_co_u32 v2, s41, v1, s34
	s_sub_i32 s40, s39, s25
	s_cmp_lg_u32 s38, 0
	s_subb_u32 s40, s40, s35
	s_cmp_lg_u32 s41, 0
	v_readfirstlane_b32 s41, v2
	s_subb_u32 s40, s40, 0
	s_delay_alu instid0(SALU_CYCLE_1) | instskip(SKIP_1) | instid1(VALU_DEP_1)
	s_cmp_ge_u32 s40, s35
	s_cselect_b32 s42, -1, 0
	s_cmp_ge_u32 s41, s34
	s_cselect_b32 s41, -1, 0
	s_cmp_eq_u32 s40, s35
	s_cselect_b32 s40, s41, s42
	s_add_u32 s41, s7, 1
	s_addc_u32 s42, s21, 0
	s_add_u32 s43, s7, 2
	s_addc_u32 s44, s21, 0
	s_cmp_lg_u32 s40, 0
	s_cselect_b32 s40, s43, s41
	s_cselect_b32 s41, s44, s42
	s_cmp_lg_u32 s38, 0
	v_readfirstlane_b32 s38, v1
	s_subb_u32 s25, s39, s25
	s_delay_alu instid0(SALU_CYCLE_1) | instskip(SKIP_1) | instid1(VALU_DEP_1)
	s_cmp_ge_u32 s25, s35
	s_cselect_b32 s39, -1, 0
	s_cmp_ge_u32 s38, s34
	s_cselect_b32 s34, -1, 0
	s_cmp_eq_u32 s25, s35
	s_cselect_b32 s25, s34, s39
	s_delay_alu instid0(SALU_CYCLE_1) | instskip(SKIP_3) | instid1(SALU_CYCLE_1)
	s_cmp_lg_u32 s25, 0
	s_cselect_b32 s35, s41, s21
	s_cselect_b32 s34, s40, s7
	s_xor_b64 s[22:23], s[36:37], s[22:23]
	s_xor_b64 s[34:35], s[34:35], s[22:23]
	s_delay_alu instid0(SALU_CYCLE_1)
	s_sub_u32 s22, s34, s22
	s_subb_u32 s23, s35, s23
	s_and_not1_b32 vcc_lo, exec_lo, s24
	s_cbranch_vccnz .LBB106_7
.LBB106_6:
	v_cvt_f32_u32_e32 v1, s2
	s_sub_i32 s21, 0, s2
	s_delay_alu instid0(VALU_DEP_1) | instskip(SKIP_2) | instid1(VALU_DEP_1)
	v_rcp_iflag_f32_e32 v1, v1
	s_waitcnt_depctr 0xfff
	v_mul_f32_e32 v1, 0x4f7ffffe, v1
	v_cvt_u32_f32_e32 v1, v1
	s_delay_alu instid0(VALU_DEP_1) | instskip(NEXT) | instid1(VALU_DEP_1)
	v_readfirstlane_b32 s7, v1
	s_mul_i32 s21, s21, s7
	s_delay_alu instid0(SALU_CYCLE_1) | instskip(NEXT) | instid1(SALU_CYCLE_1)
	s_mul_hi_u32 s21, s7, s21
	s_add_i32 s7, s7, s21
	s_delay_alu instid0(SALU_CYCLE_1) | instskip(NEXT) | instid1(SALU_CYCLE_1)
	s_mul_hi_u32 s7, s30, s7
	s_mul_i32 s21, s7, s2
	s_add_i32 s22, s7, 1
	s_sub_i32 s21, s30, s21
	s_delay_alu instid0(SALU_CYCLE_1)
	s_sub_i32 s23, s21, s2
	s_cmp_ge_u32 s21, s2
	s_cselect_b32 s7, s22, s7
	s_cselect_b32 s21, s23, s21
	s_add_i32 s22, s7, 1
	s_cmp_ge_u32 s21, s2
	s_mov_b32 s23, 0
	s_cselect_b32 s22, s22, s7
.LBB106_7:
	s_load_b64 s[24:25], s[0:1], 0x78
	s_mul_i32 s3, s22, s3
	s_mul_hi_u32 s7, s22, s2
	s_mul_i32 s34, s23, s4
	s_add_i32 s3, s7, s3
	s_mul_i32 s7, s23, s2
	s_mul_i32 s2, s22, s2
	s_add_i32 s7, s3, s7
	s_sub_u32 s3, s30, s2
	s_subb_u32 s7, s31, s7
	s_mul_hi_u32 s31, s22, s4
	s_mul_i32 s35, s22, s4
	s_mul_hi_u32 s30, s3, s5
	s_mul_i32 s7, s7, s5
	s_mul_i32 s23, s3, s5
	s_mov_b32 s36, exec_lo
	v_cmpx_gt_i32_e64 s20, v0
	s_cbranch_execz .LBB106_46
; %bb.8:
	s_load_b32 s2, s[0:1], 0x8c
	s_mul_i32 s9, s16, s9
	s_mul_hi_u32 s37, s16, s8
	s_mul_i32 s38, s16, s8
	s_add_i32 s39, s37, s9
	s_ashr_i32 s21, s20, 31
	s_lshl_b64 s[40:41], s[38:39], 1
	s_waitcnt lgkmcnt(0)
	s_load_b32 s8, s[24:25], 0x0
	s_add_u32 s9, s12, s40
	s_addc_u32 s37, s13, s41
	s_ashr_i32 s38, s4, 31
	s_ashr_i32 s39, s5, 31
	s_mul_i32 s38, s22, s38
	s_mul_i32 s39, s3, s39
	s_add_i32 s38, s31, s38
	s_add_i32 s39, s30, s39
	;; [unrolled: 1-line block ×3, first 2 shown]
	s_lshl_b64 s[42:43], s[20:21], 1
	s_ashr_i32 s44, s6, 31
	s_add_i32 s46, s39, s7
	s_and_b32 s38, s2, 0xffff
	v_dual_mov_b32 v2, 0 :: v_dual_lshlrev_b32 v9, 1, v0
	s_lshl_b32 s39, s38, 1
	s_add_u32 s2, s28, s42
	s_addc_u32 s28, s29, s43
	s_add_u32 s26, s26, s2
	s_addc_u32 s27, s27, s28
	;; [unrolled: 2-line block ×7, first 2 shown]
	v_add_co_u32 v3, s2, s2, v0
	s_delay_alu instid0(VALU_DEP_1)
	v_add_co_ci_u32_e64 v4, null, s28, 0, s2
	v_mov_b32_e32 v10, v0
	s_mov_b32 s28, 0
	s_branch .LBB106_10
.LBB106_9:                              ;   in Loop: Header=BB106_10 Depth=1
	s_or_b32 exec_lo, exec_lo, s2
	v_add_nc_u32_e32 v10, s38, v10
	v_add_co_u32 v7, vcc_lo, v3, s20
	s_add_u32 s17, s17, s39
	s_addc_u32 s33, s33, 0
	v_add_co_ci_u32_e32 v8, vcc_lo, s21, v4, vcc_lo
	s_add_u32 s26, s26, s39
	s_addc_u32 s27, s27, 0
	v_cmp_le_i32_e32 vcc_lo, s20, v10
	v_add_co_u32 v3, s2, v3, s38
	s_add_u32 s12, s12, s39
	s_addc_u32 s13, s13, 0
	v_add_co_ci_u32_e64 v4, s2, 0, v4, s2
	s_add_u32 s9, s9, s39
	s_addc_u32 s37, s37, 0
	s_or_b32 s28, vcc_lo, s28
	global_store_b8 v[7:8], v6, off
	s_and_not1_b32 exec_lo, exec_lo, s28
	s_cbranch_execz .LBB106_46
.LBB106_10:                             ; =>This Inner Loop Header: Depth=1
	v_add_co_u32 v5, s2, s17, v9
	s_delay_alu instid0(VALU_DEP_1) | instskip(SKIP_1) | instid1(VALU_DEP_1)
	v_add_co_ci_u32_e64 v6, null, s33, 0, s2
	v_add_co_u32 v13, s2, s9, v9
	v_add_co_ci_u32_e64 v14, null, s37, 0, s2
	v_add_co_u32 v15, s2, s12, v9
	s_delay_alu instid0(VALU_DEP_1) | instskip(SKIP_1) | instid1(VALU_DEP_1)
	v_add_co_ci_u32_e64 v16, null, s13, 0, s2
	v_add_co_u32 v7, s2, s26, v9
	v_add_co_ci_u32_e64 v8, null, s27, 0, s2
	global_load_u16 v1, v[13:14], off
	global_load_u16 v5, v[5:6], off
	;; [unrolled: 1-line block ×4, first 2 shown]
	s_waitcnt vmcnt(3)
	v_lshlrev_b32_e32 v1, 16, v1
	s_waitcnt vmcnt(2)
	v_lshlrev_b32_e32 v5, 16, v5
	;; [unrolled: 2-line block ×3, first 2 shown]
	s_waitcnt vmcnt(0)
	s_delay_alu instid0(VALU_DEP_2) | instskip(NEXT) | instid1(VALU_DEP_1)
	v_dual_mul_f32 v8, v5, v1 :: v_dual_lshlrev_b32 v7, 16, v7
	v_bfe_u32 v12, v8, 16, 1
	v_cmp_o_f32_e32 vcc_lo, v8, v8
	s_delay_alu instid0(VALU_DEP_2) | instskip(NEXT) | instid1(VALU_DEP_1)
	v_add3_u32 v12, v8, v12, 0x7fff
	v_dual_mul_f32 v11, v7, v6 :: v_dual_and_b32 v12, 0xffff0000, v12
	s_delay_alu instid0(VALU_DEP_1) | instskip(NEXT) | instid1(VALU_DEP_2)
	v_bfe_u32 v17, v11, 16, 1
	v_cndmask_b32_e32 v8, 0x7fc00000, v12, vcc_lo
	s_delay_alu instid0(VALU_DEP_2) | instskip(SKIP_2) | instid1(VALU_DEP_3)
	v_add3_u32 v17, v11, v17, 0x7fff
	v_cmp_o_f32_e32 vcc_lo, v11, v11
	v_mul_f32_e32 v1, v7, v1
	v_and_b32_e32 v17, 0xffff0000, v17
	s_delay_alu instid0(VALU_DEP_2) | instskip(NEXT) | instid1(VALU_DEP_2)
	v_bfe_u32 v18, v1, 16, 1
	v_cndmask_b32_e32 v11, 0x7fc00000, v17, vcc_lo
	s_delay_alu instid0(VALU_DEP_2) | instskip(NEXT) | instid1(VALU_DEP_2)
	v_add3_u32 v18, v1, v18, 0x7fff
	v_dual_sub_f32 v8, v8, v11 :: v_dual_mul_f32 v5, v5, v6
	s_delay_alu instid0(VALU_DEP_2) | instskip(NEXT) | instid1(VALU_DEP_2)
	v_and_b32_e32 v18, 0xffff0000, v18
	v_bfe_u32 v11, v8, 16, 1
	v_cmp_o_f32_e32 vcc_lo, v8, v8
	s_delay_alu instid0(VALU_DEP_4) | instskip(SKIP_1) | instid1(VALU_DEP_4)
	v_bfe_u32 v7, v5, 16, 1
	v_cmp_o_f32_e64 s2, v5, v5
	v_add3_u32 v11, v8, v11, 0x7fff
	s_delay_alu instid0(VALU_DEP_3) | instskip(NEXT) | instid1(VALU_DEP_2)
	v_add3_u32 v7, v5, v7, 0x7fff
	v_lshrrev_b32_e32 v11, 16, v11
	s_delay_alu instid0(VALU_DEP_2) | instskip(NEXT) | instid1(VALU_DEP_2)
	v_and_b32_e32 v7, 0xffff0000, v7
	v_cndmask_b32_e32 v17, 0x7fc0, v11, vcc_lo
	s_delay_alu instid0(VALU_DEP_2) | instskip(SKIP_1) | instid1(VALU_DEP_3)
	v_cndmask_b32_e64 v5, 0x7fc00000, v7, s2
	v_cmp_o_f32_e64 s2, v1, v1
	v_lshlrev_b32_e32 v8, 16, v17
	s_delay_alu instid0(VALU_DEP_2) | instskip(SKIP_1) | instid1(VALU_DEP_2)
	v_cndmask_b32_e64 v1, 0x7fc00000, v18, s2
	s_waitcnt lgkmcnt(0)
	v_div_scale_f32 v11, null, s8, s8, v8
	s_delay_alu instid0(VALU_DEP_2) | instskip(NEXT) | instid1(VALU_DEP_2)
	v_add_f32_e32 v1, v1, v5
	v_rcp_f32_e32 v12, v11
	s_waitcnt_depctr 0xfff
	v_fma_f32 v6, -v11, v12, 1.0
	s_delay_alu instid0(VALU_DEP_1) | instskip(SKIP_1) | instid1(VALU_DEP_1)
	v_fmac_f32_e32 v12, v6, v12
	v_div_scale_f32 v6, vcc_lo, v8, s8, v8
	v_mul_f32_e32 v19, v6, v12
	s_delay_alu instid0(VALU_DEP_1) | instskip(NEXT) | instid1(VALU_DEP_1)
	v_fma_f32 v20, -v11, v19, v6
	v_fmac_f32_e32 v19, v20, v12
	s_delay_alu instid0(VALU_DEP_1) | instskip(NEXT) | instid1(VALU_DEP_1)
	v_fma_f32 v6, -v11, v19, v6
	v_div_fmas_f32 v5, v6, v12, v19
	v_bfe_u32 v6, v1, 16, 1
	v_cmp_o_f32_e32 vcc_lo, v1, v1
	s_delay_alu instid0(VALU_DEP_3) | instskip(NEXT) | instid1(VALU_DEP_3)
	v_div_fixup_f32 v5, v5, s8, v8
	v_add3_u32 v7, v1, v6, 0x7fff
	v_mov_b32_e32 v8, v2
	s_delay_alu instid0(VALU_DEP_3) | instskip(NEXT) | instid1(VALU_DEP_3)
	v_lshrrev_b32_e32 v6, 24, v5
	v_lshrrev_b32_e32 v11, 16, v7
	v_and_b32_e32 v7, 0x7f800000, v5
	v_and_b32_e32 v1, 0x7fffff, v5
	s_delay_alu instid0(VALU_DEP_4) | instskip(NEXT) | instid1(VALU_DEP_4)
	v_and_b32_e32 v12, 0x80, v6
	v_cndmask_b32_e32 v11, 0x7fc0, v11, vcc_lo
	s_delay_alu instid0(VALU_DEP_4) | instskip(SKIP_4) | instid1(SALU_CYCLE_1)
	v_cmp_ne_u64_e32 vcc_lo, 0x7f800000, v[7:8]
	global_store_b16 v[13:14], v17, off
	global_store_b16 v[15:16], v11, off
	v_or_b32_e32 v7, 0x7e, v12
	s_and_saveexec_b32 s2, vcc_lo
	s_xor_b32 s29, exec_lo, s2
	s_cbranch_execz .LBB106_26
; %bb.11:                               ;   in Loop: Header=BB106_10 Depth=1
	v_dual_mov_b32 v14, v2 :: v_dual_and_b32 v13, 0x7fffffff, v5
	s_mov_b32 s2, exec_lo
	s_delay_alu instid0(VALU_DEP_1)
	v_cmpx_gt_u64_e32 0x43e00001, v[13:14]
	s_xor_b32 s40, exec_lo, s2
	s_cbranch_execz .LBB106_25
; %bb.12:                               ;   in Loop: Header=BB106_10 Depth=1
	v_mov_b32_e32 v7, 0
	s_mov_b32 s41, exec_lo
	v_cmpx_ne_u32_e32 0, v5
	s_cbranch_execz .LBB106_24
; %bb.13:                               ;   in Loop: Header=BB106_10 Depth=1
	v_bfe_u32 v13, v5, 23, 8
	v_or_b32_e32 v7, 0x800000, v1
	s_delay_alu instid0(VALU_DEP_2) | instskip(SKIP_1) | instid1(VALU_DEP_2)
	v_sub_nc_u32_e32 v5, 0x79, v13
	v_cmp_gt_u32_e32 vcc_lo, 0x7a, v13
	v_cndmask_b32_e32 v5, 0, v5, vcc_lo
	v_cmp_eq_u32_e32 vcc_lo, 0, v13
	s_delay_alu instid0(VALU_DEP_2) | instskip(SKIP_1) | instid1(VALU_DEP_2)
	v_cndmask_b32_e64 v14, v5, 0x78, vcc_lo
	v_cndmask_b32_e32 v1, v7, v1, vcc_lo
	v_add_nc_u32_e32 v5, 20, v14
	v_add_nc_u32_e32 v7, 19, v14
	s_delay_alu instid0(VALU_DEP_2) | instskip(NEXT) | instid1(VALU_DEP_2)
	v_lshlrev_b64 v[5:6], v5, -1
	v_lshlrev_b64 v[7:8], v7, 1
	s_delay_alu instid0(VALU_DEP_2) | instskip(NEXT) | instid1(VALU_DEP_3)
	v_not_b32_e32 v6, v6
	v_not_b32_e32 v5, v5
	s_delay_alu instid0(VALU_DEP_2) | instskip(NEXT) | instid1(VALU_DEP_2)
	v_and_b32_e32 v16, 0, v6
	v_and_b32_e32 v15, v1, v5
	v_lshrrev_b64 v[5:6], v14, v[1:2]
	s_delay_alu instid0(VALU_DEP_2) | instskip(NEXT) | instid1(VALU_DEP_2)
	v_cmp_eq_u64_e64 s2, v[15:16], v[7:8]
	v_dual_mov_b32 v8, v6 :: v_dual_mov_b32 v7, v5
	s_delay_alu instid0(VALU_DEP_2)
	s_and_saveexec_b32 s42, s2
; %bb.14:                               ;   in Loop: Header=BB106_10 Depth=1
	v_bfe_u32 v1, v5, 20, 1
	s_delay_alu instid0(VALU_DEP_1) | instskip(NEXT) | instid1(VALU_DEP_1)
	v_add_co_u32 v1, s2, v5, v1
	v_add_co_u32 v7, s2, v1, -1
; %bb.15:                               ;   in Loop: Header=BB106_10 Depth=1
	s_or_b32 exec_lo, exec_lo, s42
	v_add_nc_u32_e32 v1, 0xffffff81, v13
	v_lshrrev_b32_e32 v8, 23, v5
	s_mov_b32 s2, exec_lo
	s_delay_alu instid0(VALU_DEP_2) | instskip(NEXT) | instid1(VALU_DEP_1)
	v_cndmask_b32_e64 v1, v1, 0xffffff82, vcc_lo
	v_add3_u32 v8, v14, v1, v8
	v_and_b32_e32 v1, 0xfffff, v7
	s_delay_alu instid0(VALU_DEP_2) | instskip(NEXT) | instid1(VALU_DEP_2)
	v_add_nc_u32_e32 v7, 6, v8
	v_add_co_u32 v5, vcc_lo, v1, v5
	v_add_co_ci_u32_e32 v6, vcc_lo, 0, v6, vcc_lo
                                        ; implicit-def: $vgpr1
	s_delay_alu instid0(VALU_DEP_3)
	v_cmpx_ne_u32_e32 0, v7
	s_xor_b32 s2, exec_lo, s2
; %bb.16:                               ;   in Loop: Header=BB106_10 Depth=1
	s_delay_alu instid0(VALU_DEP_2) | instskip(SKIP_1) | instid1(VALU_DEP_1)
	v_cmp_lt_u64_e32 vcc_lo, 0xffffff, v[5:6]
	v_add_nc_u32_e32 v1, 7, v8
	v_cndmask_b32_e32 v1, v7, v1, vcc_lo
	v_cndmask_b32_e64 v7, 0, 1, vcc_lo
	s_delay_alu instid0(VALU_DEP_1)
	v_lshrrev_b64 v[5:6], v7, v[5:6]
; %bb.17:                               ;   in Loop: Header=BB106_10 Depth=1
	s_and_not1_saveexec_b32 s2, s2
; %bb.18:                               ;   in Loop: Header=BB106_10 Depth=1
	s_delay_alu instid0(VALU_DEP_1)
	v_bfe_u32 v1, v5, 23, 1
; %bb.19:                               ;   in Loop: Header=BB106_10 Depth=1
	s_or_b32 exec_lo, exec_lo, s2
	s_delay_alu instid0(VALU_DEP_2) | instskip(NEXT) | instid1(VALU_DEP_2)
	v_lshrrev_b64 v[5:6], 20, v[5:6]
	v_cmp_gt_i32_e32 vcc_lo, 16, v1
	v_cmp_ne_u32_e64 s2, 0, v1
                                        ; implicit-def: $vgpr7
	s_delay_alu instid0(VALU_DEP_3) | instskip(NEXT) | instid1(VALU_DEP_1)
	v_dual_cndmask_b32 v6, 0, v6 :: v_dual_cndmask_b32 v5, 7, v5
	v_cmp_ne_u64_e32 vcc_lo, 0, v[5:6]
	s_delay_alu instid0(VALU_DEP_3) | instskip(NEXT) | instid1(SALU_CYCLE_1)
	s_or_b32 s2, s2, vcc_lo
	s_and_saveexec_b32 s42, s2
	s_delay_alu instid0(SALU_CYCLE_1)
	s_xor_b32 s2, exec_lo, s42
; %bb.20:                               ;   in Loop: Header=BB106_10 Depth=1
	v_min_i32_e32 v1, 15, v1
	s_delay_alu instid0(VALU_DEP_1) | instskip(NEXT) | instid1(VALU_DEP_1)
	v_lshl_or_b32 v1, v1, 3, v12
                                        ; implicit-def: $vgpr12
	v_and_or_b32 v7, v5, 7, v1
; %bb.21:                               ;   in Loop: Header=BB106_10 Depth=1
	s_and_not1_saveexec_b32 s2, s2
; %bb.22:                               ;   in Loop: Header=BB106_10 Depth=1
	v_mov_b32_e32 v7, v12
; %bb.23:                               ;   in Loop: Header=BB106_10 Depth=1
	s_or_b32 exec_lo, exec_lo, s2
.LBB106_24:                             ;   in Loop: Header=BB106_10 Depth=1
	s_delay_alu instid0(SALU_CYCLE_1)
	s_or_b32 exec_lo, exec_lo, s41
.LBB106_25:                             ;   in Loop: Header=BB106_10 Depth=1
	s_and_not1_saveexec_b32 s2, s40
	s_delay_alu instid0(SALU_CYCLE_1)
	s_or_b32 exec_lo, exec_lo, s2
                                        ; implicit-def: $vgpr6
.LBB106_26:                             ;   in Loop: Header=BB106_10 Depth=1
	s_and_not1_saveexec_b32 s2, s29
; %bb.27:                               ;   in Loop: Header=BB106_10 Depth=1
	v_cmp_eq_u64_e32 vcc_lo, 0, v[1:2]
	v_or_b32_e32 v5, 0x7f, v6
	s_delay_alu instid0(VALU_DEP_1)
	v_cndmask_b32_e32 v7, v5, v7, vcc_lo
; %bb.28:                               ;   in Loop: Header=BB106_10 Depth=1
	s_or_b32 exec_lo, exec_lo, s2
	v_lshlrev_b32_e32 v1, 16, v11
	v_mov_b32_e32 v13, v2
	global_store_b8 v[3:4], v7, off
	s_mov_b32 s2, exec_lo
	v_div_scale_f32 v5, null, s8, s8, v1
	s_delay_alu instid0(VALU_DEP_1) | instskip(SKIP_2) | instid1(VALU_DEP_1)
	v_rcp_f32_e32 v6, v5
	s_waitcnt_depctr 0xfff
	v_fma_f32 v8, -v5, v6, 1.0
	v_fmac_f32_e32 v6, v8, v6
	v_div_scale_f32 v8, vcc_lo, v1, s8, v1
	s_delay_alu instid0(VALU_DEP_1) | instskip(NEXT) | instid1(VALU_DEP_1)
	v_mul_f32_e32 v11, v8, v6
	v_fma_f32 v12, -v5, v11, v8
	s_delay_alu instid0(VALU_DEP_1) | instskip(NEXT) | instid1(VALU_DEP_1)
	v_fmac_f32_e32 v11, v12, v6
	v_fma_f32 v5, -v5, v11, v8
	s_delay_alu instid0(VALU_DEP_1) | instskip(NEXT) | instid1(VALU_DEP_1)
	v_div_fmas_f32 v5, v5, v6, v11
	v_div_fixup_f32 v5, v5, s8, v1
	s_delay_alu instid0(VALU_DEP_1) | instskip(SKIP_2) | instid1(VALU_DEP_2)
	v_and_b32_e32 v12, 0x7f800000, v5
	v_lshrrev_b32_e32 v8, 24, v5
	v_and_b32_e32 v1, 0x7fffff, v5
	v_and_b32_e32 v11, 0x80, v8
	s_delay_alu instid0(VALU_DEP_1)
	v_or_b32_e32 v6, 0x7e, v11
	v_cmpx_ne_u64_e32 0x7f800000, v[12:13]
	s_xor_b32 s29, exec_lo, s2
	s_cbranch_execz .LBB106_44
; %bb.29:                               ;   in Loop: Header=BB106_10 Depth=1
	v_dual_mov_b32 v8, v2 :: v_dual_and_b32 v7, 0x7fffffff, v5
	s_mov_b32 s2, exec_lo
	s_delay_alu instid0(VALU_DEP_1)
	v_cmpx_gt_u64_e32 0x43e00001, v[7:8]
	s_xor_b32 s40, exec_lo, s2
	s_cbranch_execz .LBB106_43
; %bb.30:                               ;   in Loop: Header=BB106_10 Depth=1
	v_mov_b32_e32 v6, 0
	s_mov_b32 s41, exec_lo
	v_cmpx_ne_u32_e32 0, v5
	s_cbranch_execz .LBB106_42
; %bb.31:                               ;   in Loop: Header=BB106_10 Depth=1
	v_bfe_u32 v12, v5, 23, 8
	v_or_b32_e32 v7, 0x800000, v1
	s_delay_alu instid0(VALU_DEP_2) | instskip(SKIP_1) | instid1(VALU_DEP_2)
	v_sub_nc_u32_e32 v5, 0x79, v12
	v_cmp_gt_u32_e32 vcc_lo, 0x7a, v12
	v_cndmask_b32_e32 v5, 0, v5, vcc_lo
	v_cmp_eq_u32_e32 vcc_lo, 0, v12
	s_delay_alu instid0(VALU_DEP_2) | instskip(SKIP_1) | instid1(VALU_DEP_2)
	v_cndmask_b32_e64 v13, v5, 0x78, vcc_lo
	v_cndmask_b32_e32 v1, v7, v1, vcc_lo
	v_add_nc_u32_e32 v5, 20, v13
	v_add_nc_u32_e32 v7, 19, v13
	s_delay_alu instid0(VALU_DEP_2) | instskip(NEXT) | instid1(VALU_DEP_2)
	v_lshlrev_b64 v[5:6], v5, -1
	v_lshlrev_b64 v[7:8], v7, 1
	s_delay_alu instid0(VALU_DEP_2) | instskip(NEXT) | instid1(VALU_DEP_3)
	v_not_b32_e32 v6, v6
	v_not_b32_e32 v5, v5
	s_delay_alu instid0(VALU_DEP_2) | instskip(NEXT) | instid1(VALU_DEP_2)
	v_and_b32_e32 v15, 0, v6
	v_and_b32_e32 v14, v1, v5
	v_lshrrev_b64 v[5:6], v13, v[1:2]
	s_delay_alu instid0(VALU_DEP_2) | instskip(NEXT) | instid1(VALU_DEP_2)
	v_cmp_eq_u64_e64 s2, v[14:15], v[7:8]
	v_dual_mov_b32 v8, v6 :: v_dual_mov_b32 v7, v5
	s_delay_alu instid0(VALU_DEP_2)
	s_and_saveexec_b32 s42, s2
; %bb.32:                               ;   in Loop: Header=BB106_10 Depth=1
	v_bfe_u32 v1, v5, 20, 1
	s_delay_alu instid0(VALU_DEP_1) | instskip(NEXT) | instid1(VALU_DEP_1)
	v_add_co_u32 v1, s2, v5, v1
	v_add_co_u32 v7, s2, v1, -1
; %bb.33:                               ;   in Loop: Header=BB106_10 Depth=1
	s_or_b32 exec_lo, exec_lo, s42
	v_add_nc_u32_e32 v1, 0xffffff81, v12
	v_lshrrev_b32_e32 v8, 23, v5
	s_mov_b32 s2, exec_lo
	s_delay_alu instid0(VALU_DEP_2) | instskip(NEXT) | instid1(VALU_DEP_1)
	v_cndmask_b32_e64 v1, v1, 0xffffff82, vcc_lo
	v_add3_u32 v8, v13, v1, v8
	v_and_b32_e32 v1, 0xfffff, v7
	s_delay_alu instid0(VALU_DEP_2) | instskip(NEXT) | instid1(VALU_DEP_2)
	v_add_nc_u32_e32 v7, 6, v8
	v_add_co_u32 v5, vcc_lo, v1, v5
	v_add_co_ci_u32_e32 v6, vcc_lo, 0, v6, vcc_lo
                                        ; implicit-def: $vgpr1
	s_delay_alu instid0(VALU_DEP_3)
	v_cmpx_ne_u32_e32 0, v7
	s_xor_b32 s2, exec_lo, s2
; %bb.34:                               ;   in Loop: Header=BB106_10 Depth=1
	s_delay_alu instid0(VALU_DEP_2) | instskip(SKIP_1) | instid1(VALU_DEP_1)
	v_cmp_lt_u64_e32 vcc_lo, 0xffffff, v[5:6]
	v_add_nc_u32_e32 v1, 7, v8
	v_cndmask_b32_e32 v1, v7, v1, vcc_lo
	v_cndmask_b32_e64 v7, 0, 1, vcc_lo
	s_delay_alu instid0(VALU_DEP_1)
	v_lshrrev_b64 v[5:6], v7, v[5:6]
; %bb.35:                               ;   in Loop: Header=BB106_10 Depth=1
	s_and_not1_saveexec_b32 s2, s2
; %bb.36:                               ;   in Loop: Header=BB106_10 Depth=1
	s_delay_alu instid0(VALU_DEP_1)
	v_bfe_u32 v1, v5, 23, 1
; %bb.37:                               ;   in Loop: Header=BB106_10 Depth=1
	s_or_b32 exec_lo, exec_lo, s2
	s_delay_alu instid0(VALU_DEP_2) | instskip(NEXT) | instid1(VALU_DEP_2)
	v_lshrrev_b64 v[5:6], 20, v[5:6]
	v_cmp_gt_i32_e32 vcc_lo, 16, v1
	v_cmp_ne_u32_e64 s2, 0, v1
	s_delay_alu instid0(VALU_DEP_3) | instskip(NEXT) | instid1(VALU_DEP_1)
	v_dual_cndmask_b32 v6, 0, v6 :: v_dual_cndmask_b32 v5, 7, v5
	v_cmp_ne_u64_e32 vcc_lo, 0, v[5:6]
                                        ; implicit-def: $vgpr6
	s_delay_alu instid0(VALU_DEP_3) | instskip(NEXT) | instid1(SALU_CYCLE_1)
	s_or_b32 s2, s2, vcc_lo
	s_and_saveexec_b32 s42, s2
	s_delay_alu instid0(SALU_CYCLE_1)
	s_xor_b32 s2, exec_lo, s42
; %bb.38:                               ;   in Loop: Header=BB106_10 Depth=1
	v_min_i32_e32 v1, 15, v1
	s_delay_alu instid0(VALU_DEP_1) | instskip(NEXT) | instid1(VALU_DEP_1)
	v_lshl_or_b32 v1, v1, 3, v11
                                        ; implicit-def: $vgpr11
	v_and_or_b32 v6, v5, 7, v1
; %bb.39:                               ;   in Loop: Header=BB106_10 Depth=1
	s_and_not1_saveexec_b32 s2, s2
; %bb.40:                               ;   in Loop: Header=BB106_10 Depth=1
	v_mov_b32_e32 v6, v11
; %bb.41:                               ;   in Loop: Header=BB106_10 Depth=1
	s_or_b32 exec_lo, exec_lo, s2
.LBB106_42:                             ;   in Loop: Header=BB106_10 Depth=1
	s_delay_alu instid0(SALU_CYCLE_1)
	s_or_b32 exec_lo, exec_lo, s41
.LBB106_43:                             ;   in Loop: Header=BB106_10 Depth=1
	s_and_not1_saveexec_b32 s2, s40
	s_delay_alu instid0(SALU_CYCLE_1)
	s_or_b32 exec_lo, exec_lo, s2
                                        ; implicit-def: $vgpr8
.LBB106_44:                             ;   in Loop: Header=BB106_10 Depth=1
	s_and_not1_saveexec_b32 s2, s29
	s_cbranch_execz .LBB106_9
; %bb.45:                               ;   in Loop: Header=BB106_10 Depth=1
	v_cmp_eq_u64_e32 vcc_lo, 0, v[1:2]
	v_or_b32_e32 v5, 0x7f, v8
	s_delay_alu instid0(VALU_DEP_1)
	v_cndmask_b32_e32 v6, v5, v6, vcc_lo
	s_branch .LBB106_9
.LBB106_46:
	s_or_b32 exec_lo, exec_lo, s36
	s_delay_alu instid0(SALU_CYCLE_1)
	s_mov_b32 s2, exec_lo
	v_cmpx_gt_i32_e64 s6, v0
	s_cbranch_execz .LBB106_67
; %bb.47:
	s_mul_i32 s2, s16, s11
	s_mul_hi_u32 s9, s16, s10
	s_mul_i32 s8, s16, s10
	s_add_i32 s9, s9, s2
	s_load_b32 s0, s[0:1], 0x8c
	s_lshl_b64 s[8:9], s[8:9], 1
	v_mov_b32_e32 v3, 0
	s_add_u32 s1, s14, s8
	s_addc_u32 s2, s15, s9
	s_ashr_i32 s8, s4, 31
	s_waitcnt lgkmcnt(0)
	s_load_b32 s4, s[24:25], 0x0
	s_mul_i32 s8, s22, s8
	s_delay_alu instid0(SALU_CYCLE_1) | instskip(NEXT) | instid1(SALU_CYCLE_1)
	s_add_i32 s8, s31, s8
	s_add_i32 s8, s8, s34
	s_add_u32 s9, s18, s35
	s_addc_u32 s8, s19, s8
	s_ashr_i32 s5, s5, 31
	s_delay_alu instid0(SALU_CYCLE_1) | instskip(NEXT) | instid1(SALU_CYCLE_1)
	s_mul_i32 s3, s3, s5
	s_add_i32 s3, s30, s3
	s_delay_alu instid0(SALU_CYCLE_1)
	s_add_i32 s5, s3, s7
	s_add_u32 s3, s9, s23
	s_addc_u32 s5, s8, s5
	s_and_b32 s7, s0, 0xffff
	s_mov_b32 s8, 0
	s_branch .LBB106_49
.LBB106_48:                             ;   in Loop: Header=BB106_49 Depth=1
	s_or_b32 exec_lo, exec_lo, s0
	v_add_co_u32 v6, vcc_lo, s3, v0
	v_add_nc_u32_e32 v0, s7, v0
	v_add_co_ci_u32_e32 v7, vcc_lo, s5, v1, vcc_lo
	s_delay_alu instid0(VALU_DEP_2) | instskip(SKIP_2) | instid1(SALU_CYCLE_1)
	v_cmp_le_i32_e32 vcc_lo, s6, v0
	global_store_b8 v[6:7], v5, off
	s_or_b32 s8, vcc_lo, s8
	s_and_not1_b32 exec_lo, exec_lo, s8
	s_cbranch_execz .LBB106_67
.LBB106_49:                             ; =>This Inner Loop Header: Depth=1
	v_ashrrev_i32_e32 v1, 31, v0
	s_mov_b32 s0, exec_lo
	v_mov_b32_e32 v10, v3
	s_delay_alu instid0(VALU_DEP_2) | instskip(NEXT) | instid1(VALU_DEP_1)
	v_lshlrev_b64 v[4:5], 1, v[0:1]
	v_add_co_u32 v4, vcc_lo, s1, v4
	s_delay_alu instid0(VALU_DEP_2) | instskip(SKIP_4) | instid1(VALU_DEP_1)
	v_add_co_ci_u32_e32 v5, vcc_lo, s2, v5, vcc_lo
	global_load_u16 v2, v[4:5], off
	s_waitcnt vmcnt(0)
	v_lshlrev_b32_e32 v2, 16, v2
	s_waitcnt lgkmcnt(0)
	v_div_scale_f32 v4, null, s4, s4, v2
	s_delay_alu instid0(VALU_DEP_1) | instskip(SKIP_2) | instid1(VALU_DEP_1)
	v_rcp_f32_e32 v5, v4
	s_waitcnt_depctr 0xfff
	v_fma_f32 v6, -v4, v5, 1.0
	v_fmac_f32_e32 v5, v6, v5
	v_div_scale_f32 v6, vcc_lo, v2, s4, v2
	s_delay_alu instid0(VALU_DEP_1) | instskip(NEXT) | instid1(VALU_DEP_1)
	v_mul_f32_e32 v7, v6, v5
	v_fma_f32 v8, -v4, v7, v6
	s_delay_alu instid0(VALU_DEP_1) | instskip(NEXT) | instid1(VALU_DEP_1)
	v_fmac_f32_e32 v7, v8, v5
	v_fma_f32 v4, -v4, v7, v6
	s_delay_alu instid0(VALU_DEP_1) | instskip(NEXT) | instid1(VALU_DEP_1)
	v_div_fmas_f32 v4, v4, v5, v7
	v_div_fixup_f32 v4, v4, s4, v2
	s_delay_alu instid0(VALU_DEP_1) | instskip(SKIP_2) | instid1(VALU_DEP_3)
	v_lshrrev_b32_e32 v6, 24, v4
	v_and_b32_e32 v9, 0x7f800000, v4
	v_and_b32_e32 v2, 0x7fffff, v4
	;; [unrolled: 1-line block ×3, first 2 shown]
	s_delay_alu instid0(VALU_DEP_1) | instskip(NEXT) | instid1(VALU_DEP_4)
	v_or_b32_e32 v5, 0x7e, v8
	v_cmpx_ne_u64_e32 0x7f800000, v[9:10]
	s_xor_b32 s9, exec_lo, s0
	s_cbranch_execz .LBB106_65
; %bb.50:                               ;   in Loop: Header=BB106_49 Depth=1
	v_dual_mov_b32 v7, v3 :: v_dual_and_b32 v6, 0x7fffffff, v4
	s_mov_b32 s0, exec_lo
	s_delay_alu instid0(VALU_DEP_1)
	v_cmpx_gt_u64_e32 0x43e00001, v[6:7]
	s_xor_b32 s10, exec_lo, s0
	s_cbranch_execz .LBB106_64
; %bb.51:                               ;   in Loop: Header=BB106_49 Depth=1
	v_mov_b32_e32 v5, 0
	s_mov_b32 s11, exec_lo
	v_cmpx_ne_u32_e32 0, v4
	s_cbranch_execz .LBB106_63
; %bb.52:                               ;   in Loop: Header=BB106_49 Depth=1
	v_bfe_u32 v9, v4, 23, 8
	v_or_b32_e32 v6, 0x800000, v2
	s_delay_alu instid0(VALU_DEP_2) | instskip(SKIP_1) | instid1(VALU_DEP_2)
	v_sub_nc_u32_e32 v4, 0x79, v9
	v_cmp_gt_u32_e32 vcc_lo, 0x7a, v9
	v_cndmask_b32_e32 v4, 0, v4, vcc_lo
	v_cmp_eq_u32_e32 vcc_lo, 0, v9
	s_delay_alu instid0(VALU_DEP_2) | instskip(SKIP_1) | instid1(VALU_DEP_2)
	v_cndmask_b32_e64 v10, v4, 0x78, vcc_lo
	v_cndmask_b32_e32 v2, v6, v2, vcc_lo
	v_add_nc_u32_e32 v4, 20, v10
	v_add_nc_u32_e32 v6, 19, v10
	s_delay_alu instid0(VALU_DEP_2) | instskip(NEXT) | instid1(VALU_DEP_2)
	v_lshlrev_b64 v[4:5], v4, -1
	v_lshlrev_b64 v[6:7], v6, 1
	s_delay_alu instid0(VALU_DEP_2) | instskip(NEXT) | instid1(VALU_DEP_3)
	v_not_b32_e32 v5, v5
	v_not_b32_e32 v4, v4
	s_delay_alu instid0(VALU_DEP_2) | instskip(NEXT) | instid1(VALU_DEP_2)
	v_and_b32_e32 v12, 0, v5
	v_and_b32_e32 v11, v2, v4
	v_lshrrev_b64 v[4:5], v10, v[2:3]
	s_delay_alu instid0(VALU_DEP_2) | instskip(NEXT) | instid1(VALU_DEP_2)
	v_cmp_eq_u64_e64 s0, v[11:12], v[6:7]
	v_dual_mov_b32 v7, v5 :: v_dual_mov_b32 v6, v4
	s_delay_alu instid0(VALU_DEP_2)
	s_and_saveexec_b32 s12, s0
; %bb.53:                               ;   in Loop: Header=BB106_49 Depth=1
	v_bfe_u32 v2, v4, 20, 1
	s_delay_alu instid0(VALU_DEP_1) | instskip(NEXT) | instid1(VALU_DEP_1)
	v_add_co_u32 v2, s0, v4, v2
	v_add_co_u32 v6, s0, v2, -1
; %bb.54:                               ;   in Loop: Header=BB106_49 Depth=1
	s_or_b32 exec_lo, exec_lo, s12
	v_add_nc_u32_e32 v2, 0xffffff81, v9
	v_lshrrev_b32_e32 v7, 23, v4
	s_mov_b32 s0, exec_lo
	s_delay_alu instid0(VALU_DEP_2) | instskip(NEXT) | instid1(VALU_DEP_1)
	v_cndmask_b32_e64 v2, v2, 0xffffff82, vcc_lo
	v_add3_u32 v7, v10, v2, v7
	v_and_b32_e32 v2, 0xfffff, v6
	s_delay_alu instid0(VALU_DEP_2) | instskip(NEXT) | instid1(VALU_DEP_2)
	v_add_nc_u32_e32 v6, 6, v7
	v_add_co_u32 v4, vcc_lo, v2, v4
	v_add_co_ci_u32_e32 v5, vcc_lo, 0, v5, vcc_lo
                                        ; implicit-def: $vgpr2
	s_delay_alu instid0(VALU_DEP_3)
	v_cmpx_ne_u32_e32 0, v6
	s_xor_b32 s0, exec_lo, s0
; %bb.55:                               ;   in Loop: Header=BB106_49 Depth=1
	s_delay_alu instid0(VALU_DEP_2) | instskip(SKIP_1) | instid1(VALU_DEP_1)
	v_cmp_lt_u64_e32 vcc_lo, 0xffffff, v[4:5]
	v_add_nc_u32_e32 v2, 7, v7
	v_cndmask_b32_e32 v2, v6, v2, vcc_lo
	v_cndmask_b32_e64 v6, 0, 1, vcc_lo
	s_delay_alu instid0(VALU_DEP_1)
	v_lshrrev_b64 v[4:5], v6, v[4:5]
; %bb.56:                               ;   in Loop: Header=BB106_49 Depth=1
	s_and_not1_saveexec_b32 s0, s0
; %bb.57:                               ;   in Loop: Header=BB106_49 Depth=1
	s_delay_alu instid0(VALU_DEP_1)
	v_bfe_u32 v2, v4, 23, 1
; %bb.58:                               ;   in Loop: Header=BB106_49 Depth=1
	s_or_b32 exec_lo, exec_lo, s0
	s_delay_alu instid0(VALU_DEP_2) | instskip(NEXT) | instid1(VALU_DEP_2)
	v_lshrrev_b64 v[4:5], 20, v[4:5]
	v_cmp_gt_i32_e32 vcc_lo, 16, v2
	v_cmp_ne_u32_e64 s0, 0, v2
	s_delay_alu instid0(VALU_DEP_3) | instskip(NEXT) | instid1(VALU_DEP_1)
	v_dual_cndmask_b32 v5, 0, v5 :: v_dual_cndmask_b32 v4, 7, v4
	v_cmp_ne_u64_e32 vcc_lo, 0, v[4:5]
                                        ; implicit-def: $vgpr5
	s_delay_alu instid0(VALU_DEP_3) | instskip(NEXT) | instid1(SALU_CYCLE_1)
	s_or_b32 s0, s0, vcc_lo
	s_and_saveexec_b32 s12, s0
	s_delay_alu instid0(SALU_CYCLE_1)
	s_xor_b32 s0, exec_lo, s12
; %bb.59:                               ;   in Loop: Header=BB106_49 Depth=1
	v_min_i32_e32 v2, 15, v2
	s_delay_alu instid0(VALU_DEP_1) | instskip(NEXT) | instid1(VALU_DEP_1)
	v_lshl_or_b32 v2, v2, 3, v8
                                        ; implicit-def: $vgpr8
	v_and_or_b32 v5, v4, 7, v2
; %bb.60:                               ;   in Loop: Header=BB106_49 Depth=1
	s_and_not1_saveexec_b32 s0, s0
; %bb.61:                               ;   in Loop: Header=BB106_49 Depth=1
	v_mov_b32_e32 v5, v8
; %bb.62:                               ;   in Loop: Header=BB106_49 Depth=1
	s_or_b32 exec_lo, exec_lo, s0
.LBB106_63:                             ;   in Loop: Header=BB106_49 Depth=1
	s_delay_alu instid0(SALU_CYCLE_1)
	s_or_b32 exec_lo, exec_lo, s11
.LBB106_64:                             ;   in Loop: Header=BB106_49 Depth=1
	s_and_not1_saveexec_b32 s0, s10
	s_delay_alu instid0(SALU_CYCLE_1)
	s_or_b32 exec_lo, exec_lo, s0
                                        ; implicit-def: $vgpr6
.LBB106_65:                             ;   in Loop: Header=BB106_49 Depth=1
	s_and_not1_saveexec_b32 s0, s9
	s_cbranch_execz .LBB106_48
; %bb.66:                               ;   in Loop: Header=BB106_49 Depth=1
	v_cmp_eq_u64_e32 vcc_lo, 0, v[2:3]
	v_or_b32_e32 v4, 0x7f, v6
	s_delay_alu instid0(VALU_DEP_1)
	v_cndmask_b32_e32 v5, v4, v5, vcc_lo
	s_branch .LBB106_48
.LBB106_67:
	s_nop 0
	s_sendmsg sendmsg(MSG_DEALLOC_VGPRS)
	s_endpgm
.LBB106_68:
                                        ; implicit-def: $sgpr22_sgpr23
	s_branch .LBB106_6
	.section	.rodata,"a",@progbits
	.p2align	6, 0x0
	.amdhsa_kernel _ZN4vllm38concat_and_cache_mla_rope_fused_kernelIN3c108BFloat16ES2_Lb1E14__hip_bfloat16hLNS_18Fp8KVCacheDataTypeE1EEEvPKlPT_S8_PKS7_PKT0_illlliPT3_S6_iiiiPKf
		.amdhsa_group_segment_fixed_size 0
		.amdhsa_private_segment_fixed_size 0
		.amdhsa_kernarg_size 384
		.amdhsa_user_sgpr_count 15
		.amdhsa_user_sgpr_dispatch_ptr 0
		.amdhsa_user_sgpr_queue_ptr 0
		.amdhsa_user_sgpr_kernarg_segment_ptr 1
		.amdhsa_user_sgpr_dispatch_id 0
		.amdhsa_user_sgpr_private_segment_size 0
		.amdhsa_wavefront_size32 1
		.amdhsa_uses_dynamic_stack 0
		.amdhsa_enable_private_segment 0
		.amdhsa_system_sgpr_workgroup_id_x 1
		.amdhsa_system_sgpr_workgroup_id_y 0
		.amdhsa_system_sgpr_workgroup_id_z 0
		.amdhsa_system_sgpr_workgroup_info 0
		.amdhsa_system_vgpr_workitem_id 0
		.amdhsa_next_free_vgpr 21
		.amdhsa_next_free_sgpr 47
		.amdhsa_reserve_vcc 1
		.amdhsa_float_round_mode_32 0
		.amdhsa_float_round_mode_16_64 0
		.amdhsa_float_denorm_mode_32 3
		.amdhsa_float_denorm_mode_16_64 3
		.amdhsa_dx10_clamp 1
		.amdhsa_ieee_mode 1
		.amdhsa_fp16_overflow 0
		.amdhsa_workgroup_processor_mode 1
		.amdhsa_memory_ordered 1
		.amdhsa_forward_progress 0
		.amdhsa_shared_vgpr_count 0
		.amdhsa_exception_fp_ieee_invalid_op 0
		.amdhsa_exception_fp_denorm_src 0
		.amdhsa_exception_fp_ieee_div_zero 0
		.amdhsa_exception_fp_ieee_overflow 0
		.amdhsa_exception_fp_ieee_underflow 0
		.amdhsa_exception_fp_ieee_inexact 0
		.amdhsa_exception_int_div_zero 0
	.end_amdhsa_kernel
	.section	.text._ZN4vllm38concat_and_cache_mla_rope_fused_kernelIN3c108BFloat16ES2_Lb1E14__hip_bfloat16hLNS_18Fp8KVCacheDataTypeE1EEEvPKlPT_S8_PKS7_PKT0_illlliPT3_S6_iiiiPKf,"axG",@progbits,_ZN4vllm38concat_and_cache_mla_rope_fused_kernelIN3c108BFloat16ES2_Lb1E14__hip_bfloat16hLNS_18Fp8KVCacheDataTypeE1EEEvPKlPT_S8_PKS7_PKT0_illlliPT3_S6_iiiiPKf,comdat
.Lfunc_end106:
	.size	_ZN4vllm38concat_and_cache_mla_rope_fused_kernelIN3c108BFloat16ES2_Lb1E14__hip_bfloat16hLNS_18Fp8KVCacheDataTypeE1EEEvPKlPT_S8_PKS7_PKT0_illlliPT3_S6_iiiiPKf, .Lfunc_end106-_ZN4vllm38concat_and_cache_mla_rope_fused_kernelIN3c108BFloat16ES2_Lb1E14__hip_bfloat16hLNS_18Fp8KVCacheDataTypeE1EEEvPKlPT_S8_PKS7_PKT0_illlliPT3_S6_iiiiPKf
                                        ; -- End function
	.section	.AMDGPU.csdata,"",@progbits
; Kernel info:
; codeLenInByte = 5036
; NumSgprs: 49
; NumVgprs: 21
; ScratchSize: 0
; MemoryBound: 0
; FloatMode: 240
; IeeeMode: 1
; LDSByteSize: 0 bytes/workgroup (compile time only)
; SGPRBlocks: 6
; VGPRBlocks: 2
; NumSGPRsForWavesPerEU: 49
; NumVGPRsForWavesPerEU: 21
; Occupancy: 16
; WaveLimiterHint : 1
; COMPUTE_PGM_RSRC2:SCRATCH_EN: 0
; COMPUTE_PGM_RSRC2:USER_SGPR: 15
; COMPUTE_PGM_RSRC2:TRAP_HANDLER: 0
; COMPUTE_PGM_RSRC2:TGID_X_EN: 1
; COMPUTE_PGM_RSRC2:TGID_Y_EN: 0
; COMPUTE_PGM_RSRC2:TGID_Z_EN: 0
; COMPUTE_PGM_RSRC2:TIDIG_COMP_CNT: 0
	.section	.text._ZN4vllm38concat_and_cache_mla_rope_fused_kernelIN3c108BFloat16ES2_Lb0E14__hip_bfloat16hLNS_18Fp8KVCacheDataTypeE1EEEvPKlPT_S8_PKS7_PKT0_illlliPT3_S6_iiiiPKf,"axG",@progbits,_ZN4vllm38concat_and_cache_mla_rope_fused_kernelIN3c108BFloat16ES2_Lb0E14__hip_bfloat16hLNS_18Fp8KVCacheDataTypeE1EEEvPKlPT_S8_PKS7_PKT0_illlliPT3_S6_iiiiPKf,comdat
	.protected	_ZN4vllm38concat_and_cache_mla_rope_fused_kernelIN3c108BFloat16ES2_Lb0E14__hip_bfloat16hLNS_18Fp8KVCacheDataTypeE1EEEvPKlPT_S8_PKS7_PKT0_illlliPT3_S6_iiiiPKf ; -- Begin function _ZN4vllm38concat_and_cache_mla_rope_fused_kernelIN3c108BFloat16ES2_Lb0E14__hip_bfloat16hLNS_18Fp8KVCacheDataTypeE1EEEvPKlPT_S8_PKS7_PKT0_illlliPT3_S6_iiiiPKf
	.globl	_ZN4vllm38concat_and_cache_mla_rope_fused_kernelIN3c108BFloat16ES2_Lb0E14__hip_bfloat16hLNS_18Fp8KVCacheDataTypeE1EEEvPKlPT_S8_PKS7_PKT0_illlliPT3_S6_iiiiPKf
	.p2align	8
	.type	_ZN4vllm38concat_and_cache_mla_rope_fused_kernelIN3c108BFloat16ES2_Lb0E14__hip_bfloat16hLNS_18Fp8KVCacheDataTypeE1EEEvPKlPT_S8_PKS7_PKT0_illlliPT3_S6_iiiiPKf,@function
_ZN4vllm38concat_and_cache_mla_rope_fused_kernelIN3c108BFloat16ES2_Lb0E14__hip_bfloat16hLNS_18Fp8KVCacheDataTypeE1EEEvPKlPT_S8_PKS7_PKT0_illlliPT3_S6_iiiiPKf: ; @_ZN4vllm38concat_and_cache_mla_rope_fused_kernelIN3c108BFloat16ES2_Lb0E14__hip_bfloat16hLNS_18Fp8KVCacheDataTypeE1EEEvPKlPT_S8_PKS7_PKT0_illlliPT3_S6_iiiiPKf
; %bb.0:
	s_load_b64 s[4:5], s[0:1], 0x60
	s_mov_b32 s16, s15
	s_mov_b32 s17, 0
	s_delay_alu instid0(SALU_CYCLE_1)
	s_lshl_b64 s[2:3], s[16:17], 3
	s_waitcnt lgkmcnt(0)
	s_add_u32 s4, s4, s2
	s_addc_u32 s5, s5, s3
	s_load_b64 s[28:29], s[4:5], 0x0
	s_waitcnt lgkmcnt(0)
	v_cmp_lt_i64_e64 s4, s[28:29], 0
	s_delay_alu instid0(VALU_DEP_1)
	s_and_b32 vcc_lo, exec_lo, s4
	s_cbranch_vccnz .LBB107_67
; %bb.1:
	s_clause 0x3
	s_load_b32 s21, s[0:1], 0x28
	s_load_b64 s[4:5], s[0:1], 0x0
	s_load_b128 s[12:15], s[0:1], 0x10
	s_load_b32 s17, s[0:1], 0x50
	v_lshlrev_b32_e32 v3, 1, v0
	s_mov_b32 s24, exec_lo
	s_waitcnt lgkmcnt(0)
	s_ashr_i32 s22, s21, 31
	s_add_u32 s2, s4, s2
	s_addc_u32 s3, s5, s3
	s_lshr_b32 s20, s21, 31
	s_load_b64 s[2:3], s[2:3], 0x0
	s_clause 0x2
	s_load_b64 s[26:27], s[0:1], 0x20
	s_load_b64 s[18:19], s[0:1], 0x58
	s_load_b256 s[4:11], s[0:1], 0x30
	s_add_i32 s20, s21, s20
	s_delay_alu instid0(SALU_CYCLE_1) | instskip(NEXT) | instid1(SALU_CYCLE_1)
	s_ashr_i32 s20, s20, 1
	s_mul_i32 s17, s20, s17
	s_waitcnt lgkmcnt(0)
	s_mul_i32 s22, s2, s22
	s_mul_hi_u32 s23, s2, s21
	s_mul_i32 s3, s3, s21
	s_add_i32 s22, s23, s22
	s_mul_i32 s30, s2, s21
	s_add_i32 s31, s22, s3
	v_cmpx_gt_i32_e64 s17, v0
	s_cbranch_execz .LBB107_4
; %bb.2:
	s_load_b64 s[2:3], s[0:1], 0x8
	s_lshl_b64 s[22:23], s[30:31], 1
	s_mul_i32 s21, s16, s5
	s_mul_hi_u32 s33, s16, s4
	s_add_u32 s5, s26, s22
	s_mul_i32 s34, s16, s4
	s_load_b32 s4, s[0:1], 0x8c
	s_addc_u32 s25, s27, s23
	s_add_i32 s35, s33, s21
	s_ashr_i32 s21, s20, 31
	s_lshl_b64 s[22:23], s[34:35], 1
	s_mov_b32 s36, 0
	s_waitcnt lgkmcnt(0)
	s_add_u32 s33, s2, s22
	s_addc_u32 s34, s3, s23
	s_abs_i32 s35, s20
	s_sub_i32 s38, 0, s20
	v_cvt_f32_u32_e32 v1, s35
	s_sub_i32 s2, 0, s35
	s_and_b32 s37, s4, 0xffff
	s_lshl_b64 s[22:23], s[20:21], 1
	s_lshl_b32 s40, s37, 1
	v_rcp_iflag_f32_e32 v1, v1
	s_waitcnt_depctr 0xfff
	v_mul_f32_e32 v1, 0x4f7ffffe, v1
	s_delay_alu instid0(VALU_DEP_1) | instskip(NEXT) | instid1(VALU_DEP_1)
	v_cvt_u32_f32_e32 v2, v1
	v_mul_lo_u32 v1, s2, v2
	s_lshl_b32 s2, s20, 1
	s_delay_alu instid0(SALU_CYCLE_1) | instskip(NEXT) | instid1(VALU_DEP_1)
	s_sub_i32 s39, 0, s2
	v_mul_hi_u32 v4, v2, v1
	s_delay_alu instid0(VALU_DEP_1)
	v_dual_mov_b32 v1, v3 :: v_dual_add_nc_u32 v4, v2, v4
	v_mov_b32_e32 v2, v0
.LBB107_3:                              ; =>This Inner Loop Header: Depth=1
	s_delay_alu instid0(VALU_DEP_1) | instskip(SKIP_1) | instid1(VALU_DEP_2)
	v_sub_nc_u32_e32 v5, 0, v2
	v_ashrrev_i32_e32 v6, 31, v2
	v_max_i32_e32 v5, v2, v5
	s_delay_alu instid0(VALU_DEP_2) | instskip(NEXT) | instid1(VALU_DEP_2)
	v_xor_b32_e32 v6, s21, v6
	v_mul_hi_u32 v7, v5, v4
	s_delay_alu instid0(VALU_DEP_1) | instskip(SKIP_1) | instid1(VALU_DEP_2)
	v_mul_lo_u32 v8, v7, s35
	v_add_nc_u32_e32 v9, 1, v7
	v_sub_nc_u32_e32 v5, v5, v8
	s_delay_alu instid0(VALU_DEP_1) | instskip(SKIP_1) | instid1(VALU_DEP_4)
	v_subrev_nc_u32_e32 v8, s35, v5
	v_cmp_le_u32_e32 vcc_lo, s35, v5
	v_cndmask_b32_e32 v7, v7, v9, vcc_lo
	s_delay_alu instid0(VALU_DEP_1) | instskip(NEXT) | instid1(VALU_DEP_1)
	v_dual_cndmask_b32 v5, v5, v8 :: v_dual_add_nc_u32 v8, 1, v7
	v_cmp_le_u32_e32 vcc_lo, s35, v5
	s_delay_alu instid0(VALU_DEP_2) | instskip(NEXT) | instid1(VALU_DEP_1)
	v_cndmask_b32_e32 v5, v7, v8, vcc_lo
	v_xor_b32_e32 v5, v5, v6
	s_delay_alu instid0(VALU_DEP_1) | instskip(NEXT) | instid1(VALU_DEP_1)
	v_sub_nc_u32_e32 v11, v5, v6
	v_mad_u64_u32 v[5:6], null, s38, v11, v[2:3]
	v_ashrrev_i32_e32 v6, 31, v11
	v_mul_lo_u32 v12, v11, s7
	v_mad_u64_u32 v[7:8], null, v11, s6, 0
	v_mad_u64_u32 v[9:10], null, s39, v11, v[1:2]
	s_delay_alu instid0(VALU_DEP_4) | instskip(SKIP_3) | instid1(VALU_DEP_3)
	v_mul_lo_u32 v11, v6, s6
	v_ashrrev_i32_e32 v6, 31, v5
	v_add_nc_u32_e32 v2, s37, v2
	v_add_nc_u32_e32 v1, s40, v1
	v_lshlrev_b64 v[5:6], 1, v[5:6]
	v_ashrrev_i32_e32 v10, 31, v9
	v_add3_u32 v8, v8, v12, v11
	s_delay_alu instid0(VALU_DEP_3) | instskip(NEXT) | instid1(VALU_DEP_2)
	v_add_co_u32 v5, vcc_lo, s5, v5
	v_lshlrev_b64 v[7:8], 1, v[7:8]
	v_add_co_ci_u32_e32 v6, vcc_lo, s25, v6, vcc_lo
	s_delay_alu instid0(VALU_DEP_3) | instskip(SKIP_1) | instid1(VALU_DEP_3)
	v_add_co_u32 v11, vcc_lo, v5, s22
	v_lshlrev_b64 v[9:10], 1, v[9:10]
	v_add_co_ci_u32_e32 v12, vcc_lo, s23, v6, vcc_lo
	v_add_co_u32 v7, vcc_lo, s33, v7
	v_add_co_ci_u32_e32 v8, vcc_lo, s34, v8, vcc_lo
	global_load_u16 v13, v[5:6], off
	v_add_co_u32 v5, vcc_lo, v7, v9
	v_add_co_ci_u32_e32 v6, vcc_lo, v8, v10, vcc_lo
	global_load_u16 v7, v[11:12], off
	global_load_b32 v8, v[5:6], off
	s_waitcnt vmcnt(2)
	v_lshlrev_b32_e32 v9, 16, v13
	s_waitcnt vmcnt(1)
	v_lshlrev_b32_e32 v7, 16, v7
	s_waitcnt vmcnt(0)
	v_and_b32_e32 v10, 0xffff0000, v8
	s_delay_alu instid0(VALU_DEP_1) | instskip(NEXT) | instid1(VALU_DEP_1)
	v_dual_mul_f32 v11, v7, v10 :: v_dual_lshlrev_b32 v8, 16, v8
	v_dual_mul_f32 v7, v8, v7 :: v_dual_mul_f32 v10, v9, v10
	s_delay_alu instid0(VALU_DEP_2) | instskip(NEXT) | instid1(VALU_DEP_2)
	v_cmp_o_f32_e32 vcc_lo, v11, v11
	v_bfe_u32 v14, v7, 16, 1
	s_delay_alu instid0(VALU_DEP_3) | instskip(SKIP_1) | instid1(VALU_DEP_3)
	v_bfe_u32 v12, v10, 16, 1
	v_cmp_o_f32_e64 s4, v10, v10
	v_add3_u32 v14, v7, v14, 0x7fff
	v_mul_f32_e32 v9, v9, v8
	v_bfe_u32 v8, v11, 16, 1
	v_add3_u32 v12, v10, v12, 0x7fff
	s_delay_alu instid0(VALU_DEP_4) | instskip(NEXT) | instid1(VALU_DEP_4)
	v_and_b32_e32 v14, 0xffff0000, v14
	v_bfe_u32 v13, v9, 16, 1
	s_delay_alu instid0(VALU_DEP_4) | instskip(SKIP_1) | instid1(VALU_DEP_3)
	v_add3_u32 v8, v11, v8, 0x7fff
	v_cmp_o_f32_e64 s3, v9, v9
	v_add3_u32 v13, v9, v13, 0x7fff
	s_delay_alu instid0(VALU_DEP_3) | instskip(SKIP_1) | instid1(VALU_DEP_3)
	v_and_b32_e32 v8, 0xffff0000, v8
	v_cmp_o_f32_e64 s2, v7, v7
	v_and_b32_e32 v13, 0xffff0000, v13
	s_delay_alu instid0(VALU_DEP_3) | instskip(NEXT) | instid1(VALU_DEP_3)
	v_cndmask_b32_e32 v8, 0x7fc00000, v8, vcc_lo
	v_cndmask_b32_e64 v10, 0x7fc00000, v14, s2
	v_and_b32_e32 v12, 0xffff0000, v12
	s_delay_alu instid0(VALU_DEP_4) | instskip(NEXT) | instid1(VALU_DEP_2)
	v_cndmask_b32_e64 v9, 0x7fc00000, v13, s3
	v_cndmask_b32_e64 v7, 0x7fc00000, v12, s4
	s_delay_alu instid0(VALU_DEP_1) | instskip(NEXT) | instid1(VALU_DEP_1)
	v_dual_sub_f32 v8, v9, v8 :: v_dual_add_f32 v7, v10, v7
	v_bfe_u32 v9, v8, 16, 1
	v_cmp_o_f32_e64 s2, v8, v8
	s_delay_alu instid0(VALU_DEP_3) | instskip(SKIP_1) | instid1(VALU_DEP_4)
	v_bfe_u32 v10, v7, 16, 1
	v_cmp_o_f32_e32 vcc_lo, v7, v7
	v_add3_u32 v9, v8, v9, 0x7fff
	s_delay_alu instid0(VALU_DEP_3) | instskip(NEXT) | instid1(VALU_DEP_2)
	v_add3_u32 v10, v7, v10, 0x7fff
	v_lshrrev_b32_e32 v9, 16, v9
	s_delay_alu instid0(VALU_DEP_2) | instskip(NEXT) | instid1(VALU_DEP_2)
	v_lshrrev_b32_e32 v10, 16, v10
	v_cndmask_b32_e64 v7, 0x7fc0, v9, s2
	s_delay_alu instid0(VALU_DEP_2) | instskip(SKIP_1) | instid1(VALU_DEP_2)
	v_cndmask_b32_e32 v8, 0x7fc0, v10, vcc_lo
	v_cmp_le_i32_e32 vcc_lo, s17, v2
	v_perm_b32 v7, v8, v7, 0x5040100
	s_or_b32 s36, vcc_lo, s36
	global_store_b32 v[5:6], v7, off
	s_and_not1_b32 exec_lo, exec_lo, s36
	s_cbranch_execnz .LBB107_3
.LBB107_4:
	s_or_b32 exec_lo, exec_lo, s24
	s_load_b128 s[4:7], s[0:1], 0x68
	s_waitcnt lgkmcnt(0)
	s_ashr_i32 s3, s7, 31
	s_mov_b32 s2, s7
	s_delay_alu instid0(SALU_CYCLE_1) | instskip(SKIP_1) | instid1(SALU_CYCLE_1)
	s_or_b64 s[24:25], s[28:29], s[2:3]
	s_mov_b32 s24, 0
	s_cmp_lg_u64 s[24:25], 0
	s_cbranch_scc0 .LBB107_68
; %bb.5:
	s_add_u32 s34, s2, s3
	s_mov_b32 s22, s3
	s_mov_b32 s23, s3
	s_addc_u32 s35, s3, s3
	s_delay_alu instid0(SALU_CYCLE_1) | instskip(NEXT) | instid1(SALU_CYCLE_1)
	s_xor_b64 s[34:35], s[34:35], s[22:23]
	v_cvt_f32_u32_e32 v1, s34
	v_cvt_f32_u32_e32 v2, s35
	s_sub_u32 s21, 0, s34
	s_subb_u32 s25, 0, s35
	s_delay_alu instid0(VALU_DEP_1) | instskip(NEXT) | instid1(VALU_DEP_1)
	v_fmamk_f32 v1, v2, 0x4f800000, v1
	v_rcp_f32_e32 v1, v1
	s_waitcnt_depctr 0xfff
	v_mul_f32_e32 v1, 0x5f7ffffc, v1
	s_delay_alu instid0(VALU_DEP_1) | instskip(NEXT) | instid1(VALU_DEP_1)
	v_mul_f32_e32 v2, 0x2f800000, v1
	v_trunc_f32_e32 v2, v2
	s_delay_alu instid0(VALU_DEP_1) | instskip(SKIP_1) | instid1(VALU_DEP_2)
	v_fmamk_f32 v1, v2, 0xcf800000, v1
	v_cvt_u32_f32_e32 v2, v2
	v_cvt_u32_f32_e32 v1, v1
	s_delay_alu instid0(VALU_DEP_2) | instskip(NEXT) | instid1(VALU_DEP_2)
	v_readfirstlane_b32 s7, v2
	v_readfirstlane_b32 s17, v1
	s_delay_alu instid0(VALU_DEP_2) | instskip(NEXT) | instid1(VALU_DEP_1)
	s_mul_i32 s33, s21, s7
	s_mul_hi_u32 s37, s21, s17
	s_mul_i32 s36, s25, s17
	s_add_i32 s33, s37, s33
	s_mul_i32 s38, s21, s17
	s_add_i32 s33, s33, s36
	s_mul_hi_u32 s37, s17, s38
	s_mul_hi_u32 s39, s7, s38
	s_mul_i32 s36, s7, s38
	s_mul_hi_u32 s38, s17, s33
	s_mul_i32 s17, s17, s33
	s_mul_hi_u32 s40, s7, s33
	s_add_u32 s17, s37, s17
	s_addc_u32 s37, 0, s38
	s_add_u32 s17, s17, s36
	s_mul_i32 s33, s7, s33
	s_addc_u32 s17, s37, s39
	s_addc_u32 s36, s40, 0
	s_add_u32 s17, s17, s33
	s_addc_u32 s33, 0, s36
	v_add_co_u32 v1, s17, v1, s17
	s_delay_alu instid0(VALU_DEP_1) | instskip(SKIP_1) | instid1(VALU_DEP_1)
	s_cmp_lg_u32 s17, 0
	s_addc_u32 s7, s7, s33
	v_readfirstlane_b32 s17, v1
	s_mul_i32 s33, s21, s7
	s_delay_alu instid0(VALU_DEP_1)
	s_mul_hi_u32 s36, s21, s17
	s_mul_i32 s25, s25, s17
	s_add_i32 s33, s36, s33
	s_mul_i32 s21, s21, s17
	s_add_i32 s33, s33, s25
	s_mul_hi_u32 s36, s7, s21
	s_mul_i32 s37, s7, s21
	s_mul_hi_u32 s21, s17, s21
	s_mul_hi_u32 s38, s17, s33
	s_mul_i32 s17, s17, s33
	s_mul_hi_u32 s25, s7, s33
	s_add_u32 s17, s21, s17
	s_addc_u32 s21, 0, s38
	s_add_u32 s17, s17, s37
	s_mul_i32 s33, s7, s33
	s_addc_u32 s17, s21, s36
	s_addc_u32 s21, s25, 0
	s_add_u32 s17, s17, s33
	s_addc_u32 s21, 0, s21
	v_add_co_u32 v1, s17, v1, s17
	s_delay_alu instid0(VALU_DEP_1) | instskip(SKIP_2) | instid1(VALU_DEP_1)
	s_cmp_lg_u32 s17, 0
	s_addc_u32 s7, s7, s21
	s_ashr_i32 s36, s29, 31
	v_readfirstlane_b32 s17, v1
	s_add_u32 s38, s28, s36
	s_mov_b32 s37, s36
	s_addc_u32 s39, s29, s36
	s_delay_alu instid0(SALU_CYCLE_1) | instskip(NEXT) | instid1(SALU_CYCLE_1)
	s_xor_b64 s[38:39], s[38:39], s[36:37]
	s_mul_i32 s25, s38, s7
	s_mul_hi_u32 s33, s38, s17
	s_mul_hi_u32 s21, s38, s7
	s_mul_hi_u32 s41, s39, s17
	s_mul_i32 s17, s39, s17
	s_add_u32 s25, s33, s25
	s_addc_u32 s21, 0, s21
	s_mul_hi_u32 s40, s39, s7
	s_add_u32 s17, s25, s17
	s_mul_i32 s7, s39, s7
	s_addc_u32 s17, s21, s41
	s_addc_u32 s21, s40, 0
	s_add_u32 s7, s17, s7
	s_addc_u32 s17, 0, s21
	s_mul_hi_u32 s21, s34, s7
	s_mul_i32 s33, s34, s17
	s_mul_i32 s40, s34, s7
	s_add_i32 s21, s21, s33
	v_sub_co_u32 v1, s33, s38, s40
	s_mul_i32 s25, s35, s7
	s_delay_alu instid0(SALU_CYCLE_1) | instskip(NEXT) | instid1(VALU_DEP_1)
	s_add_i32 s21, s21, s25
	v_sub_co_u32 v2, s38, v1, s34
	s_sub_i32 s25, s39, s21
	s_cmp_lg_u32 s33, 0
	s_subb_u32 s25, s25, s35
	s_cmp_lg_u32 s38, 0
	v_readfirstlane_b32 s38, v2
	s_subb_u32 s25, s25, 0
	s_delay_alu instid0(SALU_CYCLE_1) | instskip(SKIP_1) | instid1(VALU_DEP_1)
	s_cmp_ge_u32 s25, s35
	s_cselect_b32 s40, -1, 0
	s_cmp_ge_u32 s38, s34
	s_cselect_b32 s38, -1, 0
	s_cmp_eq_u32 s25, s35
	s_cselect_b32 s25, s38, s40
	s_add_u32 s38, s7, 1
	s_addc_u32 s40, s17, 0
	s_add_u32 s41, s7, 2
	s_addc_u32 s42, s17, 0
	s_cmp_lg_u32 s25, 0
	s_cselect_b32 s25, s41, s38
	s_cselect_b32 s38, s42, s40
	s_cmp_lg_u32 s33, 0
	v_readfirstlane_b32 s33, v1
	s_subb_u32 s21, s39, s21
	s_delay_alu instid0(SALU_CYCLE_1) | instskip(SKIP_1) | instid1(VALU_DEP_1)
	s_cmp_ge_u32 s21, s35
	s_cselect_b32 s39, -1, 0
	s_cmp_ge_u32 s33, s34
	s_cselect_b32 s33, -1, 0
	s_cmp_eq_u32 s21, s35
	s_cselect_b32 s21, s33, s39
	s_delay_alu instid0(SALU_CYCLE_1) | instskip(SKIP_3) | instid1(SALU_CYCLE_1)
	s_cmp_lg_u32 s21, 0
	s_cselect_b32 s35, s38, s17
	s_cselect_b32 s34, s25, s7
	s_xor_b64 s[22:23], s[36:37], s[22:23]
	s_xor_b64 s[34:35], s[34:35], s[22:23]
	s_delay_alu instid0(SALU_CYCLE_1)
	s_sub_u32 s22, s34, s22
	s_subb_u32 s23, s35, s23
	s_and_not1_b32 vcc_lo, exec_lo, s24
	s_cbranch_vccnz .LBB107_7
.LBB107_6:
	v_cvt_f32_u32_e32 v1, s2
	s_sub_i32 s17, 0, s2
	s_mov_b32 s23, 0
	s_delay_alu instid0(VALU_DEP_1) | instskip(SKIP_2) | instid1(VALU_DEP_1)
	v_rcp_iflag_f32_e32 v1, v1
	s_waitcnt_depctr 0xfff
	v_mul_f32_e32 v1, 0x4f7ffffe, v1
	v_cvt_u32_f32_e32 v1, v1
	s_delay_alu instid0(VALU_DEP_1) | instskip(NEXT) | instid1(VALU_DEP_1)
	v_readfirstlane_b32 s7, v1
	s_mul_i32 s17, s17, s7
	s_delay_alu instid0(SALU_CYCLE_1) | instskip(NEXT) | instid1(SALU_CYCLE_1)
	s_mul_hi_u32 s17, s7, s17
	s_add_i32 s7, s7, s17
	s_delay_alu instid0(SALU_CYCLE_1) | instskip(NEXT) | instid1(SALU_CYCLE_1)
	s_mul_hi_u32 s7, s28, s7
	s_mul_i32 s17, s7, s2
	s_add_i32 s21, s7, 1
	s_sub_i32 s17, s28, s17
	s_delay_alu instid0(SALU_CYCLE_1)
	s_sub_i32 s22, s17, s2
	s_cmp_ge_u32 s17, s2
	s_cselect_b32 s7, s21, s7
	s_cselect_b32 s17, s22, s17
	s_add_i32 s21, s7, 1
	s_cmp_ge_u32 s17, s2
	s_cselect_b32 s22, s21, s7
.LBB107_7:
	s_load_b64 s[24:25], s[0:1], 0x78
	s_mul_i32 s3, s22, s3
	s_mul_hi_u32 s7, s22, s2
	s_mul_i32 s33, s22, s4
	s_add_i32 s3, s7, s3
	s_mul_i32 s7, s23, s2
	s_mul_i32 s2, s22, s2
	s_add_i32 s7, s3, s7
	s_sub_u32 s3, s28, s2
	s_subb_u32 s7, s29, s7
	s_mul_hi_u32 s28, s22, s4
	s_mul_i32 s29, s23, s4
	s_mul_hi_u32 s23, s3, s5
	s_mul_i32 s7, s7, s5
	s_mul_i32 s17, s3, s5
	s_mov_b32 s34, exec_lo
	v_cmpx_gt_i32_e64 s20, v0
	s_cbranch_execz .LBB107_46
; %bb.8:
	s_load_b32 s2, s[0:1], 0x8c
	s_ashr_i32 s38, s4, 31
	s_ashr_i32 s39, s5, 31
	s_lshl_b64 s[36:37], s[30:31], 1
	s_mul_i32 s30, s22, s38
	s_mul_i32 s38, s3, s39
	s_add_i32 s30, s28, s30
	s_add_i32 s38, s23, s38
	s_ashr_i32 s21, s20, 31
	s_ashr_i32 s40, s6, 31
	s_mul_i32 s9, s9, s16
	s_mul_hi_u32 s31, s8, s16
	s_add_i32 s39, s30, s29
	s_add_i32 s38, s38, s7
	s_mul_i32 s8, s8, s16
	v_dual_mov_b32 v13, v0 :: v_dual_lshlrev_b32 v4, 2, v0
	s_waitcnt lgkmcnt(0)
	s_load_b32 s35, s[24:25], 0x0
	v_mov_b32_e32 v8, 0
	s_and_b32 s30, s2, 0xffff
	s_add_u32 s2, s26, s36
	s_addc_u32 s27, s27, s37
	s_add_i32 s9, s31, s9
	v_add_co_u32 v1, s2, s2, v3
	s_lshl_b64 s[36:37], s[8:9], 1
	s_lshl_b32 s26, s30, 1
	s_lshl_b64 s[8:9], s[20:21], 1
	v_add_co_ci_u32_e64 v2, null, s27, 0, s2
	s_add_u32 s2, s12, s36
	s_addc_u32 s12, s13, s37
	v_add_co_u32 v4, s2, s2, v4
	s_delay_alu instid0(VALU_DEP_1)
	v_add_co_ci_u32_e64 v5, null, s12, 0, s2
	s_lshl_b32 s12, s30, 2
	s_add_u32 s2, s33, s17
	s_addc_u32 s13, s39, s38
	s_add_u32 s21, s18, s6
	s_addc_u32 s27, s19, s40
	;; [unrolled: 2-line block ×3, first 2 shown]
	v_add_co_u32 v6, s2, s2, v3
	s_delay_alu instid0(VALU_DEP_1) | instskip(SKIP_2) | instid1(VALU_DEP_4)
	v_add_co_ci_u32_e64 v7, null, s13, 0, s2
	v_add_co_u32 v3, vcc_lo, v4, 2
	v_add_co_ci_u32_e32 v4, vcc_lo, 0, v5, vcc_lo
	v_add_co_u32 v5, vcc_lo, v6, 1
	s_delay_alu instid0(VALU_DEP_4)
	v_add_co_ci_u32_e32 v6, vcc_lo, 0, v7, vcc_lo
	s_mov_b32 s13, 0
	s_branch .LBB107_10
.LBB107_9:                              ;   in Loop: Header=BB107_10 Depth=1
	s_or_b32 exec_lo, exec_lo, s2
	v_add_co_u32 v1, vcc_lo, v1, s26
	v_add_nc_u32_e32 v13, s30, v13
	v_add_co_ci_u32_e32 v2, vcc_lo, 0, v2, vcc_lo
	v_add_co_u32 v3, vcc_lo, v3, s12
	v_add_co_ci_u32_e32 v4, vcc_lo, 0, v4, vcc_lo
	global_store_b8 v[5:6], v11, off
	v_cmp_le_i32_e32 vcc_lo, s20, v13
	v_add_co_u32 v5, s2, v5, s26
	s_delay_alu instid0(VALU_DEP_1) | instskip(SKIP_1) | instid1(SALU_CYCLE_1)
	v_add_co_ci_u32_e64 v6, s2, 0, v6, s2
	s_or_b32 s13, vcc_lo, s13
	s_and_not1_b32 exec_lo, exec_lo, s13
	s_cbranch_execz .LBB107_46
.LBB107_10:                             ; =>This Inner Loop Header: Depth=1
	v_add_co_u32 v9, vcc_lo, v1, s8
	v_add_co_ci_u32_e32 v10, vcc_lo, s9, v2, vcc_lo
	global_load_u16 v7, v[1:2], off
	global_load_b32 v11, v[3:4], off offset:-2
	global_load_u16 v9, v[9:10], off
	s_waitcnt vmcnt(1)
	v_lshlrev_b32_e32 v10, 16, v11
	v_and_b32_e32 v11, 0xffff0000, v11
	s_waitcnt vmcnt(0)
	v_lshlrev_b32_e32 v9, 16, v9
	s_delay_alu instid0(VALU_DEP_1) | instskip(NEXT) | instid1(VALU_DEP_1)
	v_mul_f32_e32 v14, v9, v11
	v_bfe_u32 v16, v14, 16, 1
	s_delay_alu instid0(VALU_DEP_1) | instskip(NEXT) | instid1(VALU_DEP_1)
	v_add3_u32 v16, v14, v16, 0x7fff
	v_and_b32_e32 v16, 0xffff0000, v16
	v_lshlrev_b32_e32 v7, 16, v7
	s_delay_alu instid0(VALU_DEP_1) | instskip(NEXT) | instid1(VALU_DEP_1)
	v_mul_f32_e32 v12, v7, v10
	v_bfe_u32 v15, v12, 16, 1
	v_cmp_o_f32_e32 vcc_lo, v12, v12
	s_delay_alu instid0(VALU_DEP_2) | instskip(NEXT) | instid1(VALU_DEP_1)
	v_add3_u32 v15, v12, v15, 0x7fff
	v_and_b32_e32 v15, 0xffff0000, v15
	s_delay_alu instid0(VALU_DEP_1) | instskip(SKIP_1) | instid1(VALU_DEP_2)
	v_dual_cndmask_b32 v12, 0x7fc00000, v15 :: v_dual_mul_f32 v9, v10, v9
	v_cmp_o_f32_e32 vcc_lo, v14, v14
	v_bfe_u32 v17, v9, 16, 1
	v_dual_cndmask_b32 v14, 0x7fc00000, v16 :: v_dual_mul_f32 v7, v7, v11
	s_delay_alu instid0(VALU_DEP_2) | instskip(NEXT) | instid1(VALU_DEP_2)
	v_add3_u32 v17, v9, v17, 0x7fff
	v_sub_f32_e32 v12, v12, v14
	s_delay_alu instid0(VALU_DEP_3) | instskip(SKIP_1) | instid1(VALU_DEP_4)
	v_bfe_u32 v11, v7, 16, 1
	v_cmp_o_f32_e64 s2, v7, v7
	v_and_b32_e32 v17, 0xffff0000, v17
	s_delay_alu instid0(VALU_DEP_4) | instskip(NEXT) | instid1(VALU_DEP_4)
	v_bfe_u32 v14, v12, 16, 1
	v_add3_u32 v11, v7, v11, 0x7fff
	v_cmp_o_f32_e32 vcc_lo, v12, v12
	s_delay_alu instid0(VALU_DEP_3) | instskip(NEXT) | instid1(VALU_DEP_3)
	v_add3_u32 v14, v12, v14, 0x7fff
	v_and_b32_e32 v11, 0xffff0000, v11
	s_delay_alu instid0(VALU_DEP_2) | instskip(NEXT) | instid1(VALU_DEP_2)
	v_lshrrev_b32_e32 v14, 16, v14
	v_cndmask_b32_e64 v7, 0x7fc00000, v11, s2
	v_cmp_o_f32_e64 s2, v9, v9
	s_delay_alu instid0(VALU_DEP_1) | instskip(NEXT) | instid1(VALU_DEP_4)
	v_cndmask_b32_e64 v9, 0x7fc00000, v17, s2
	v_dual_cndmask_b32 v12, 0x7fc0, v14 :: v_dual_mov_b32 v17, v8
	s_mov_b32 s2, exec_lo
	s_delay_alu instid0(VALU_DEP_1) | instskip(SKIP_1) | instid1(VALU_DEP_1)
	v_dual_add_f32 v7, v9, v7 :: v_dual_lshlrev_b32 v14, 16, v12
	s_waitcnt lgkmcnt(0)
	v_div_scale_f32 v15, null, s35, s35, v14
	s_delay_alu instid0(VALU_DEP_1) | instskip(SKIP_2) | instid1(VALU_DEP_1)
	v_rcp_f32_e32 v16, v15
	s_waitcnt_depctr 0xfff
	v_fma_f32 v10, -v15, v16, 1.0
	v_fmac_f32_e32 v16, v10, v16
	v_div_scale_f32 v10, vcc_lo, v14, s35, v14
	s_delay_alu instid0(VALU_DEP_1) | instskip(NEXT) | instid1(VALU_DEP_1)
	v_mul_f32_e32 v18, v10, v16
	v_fma_f32 v11, -v15, v18, v10
	s_delay_alu instid0(VALU_DEP_1) | instskip(NEXT) | instid1(VALU_DEP_1)
	v_fmac_f32_e32 v18, v11, v16
	v_fma_f32 v9, -v15, v18, v10
	v_bfe_u32 v10, v7, 16, 1
	s_delay_alu instid0(VALU_DEP_2) | instskip(NEXT) | instid1(VALU_DEP_2)
	v_div_fmas_f32 v9, v9, v16, v18
	v_add3_u32 v10, v7, v10, 0x7fff
	v_cmp_o_f32_e32 vcc_lo, v7, v7
	s_delay_alu instid0(VALU_DEP_2) | instskip(NEXT) | instid1(VALU_DEP_1)
	v_lshrrev_b32_e32 v10, 16, v10
	v_cndmask_b32_e32 v7, 0x7fc0, v10, vcc_lo
	v_div_fixup_f32 v9, v9, s35, v14
	s_delay_alu instid0(VALU_DEP_2) | instskip(NEXT) | instid1(VALU_DEP_2)
	v_perm_b32 v14, v7, v12, 0x5040100
	v_lshrrev_b32_e32 v11, 24, v9
	v_and_b32_e32 v16, 0x7f800000, v9
	v_and_b32_e32 v7, 0x7fffff, v9
	global_store_b32 v[3:4], v14, off offset:-2
	v_and_b32_e32 v15, 0x80, v11
	s_delay_alu instid0(VALU_DEP_1)
	v_or_b32_e32 v10, 0x7e, v15
	v_cmpx_ne_u64_e32 0x7f800000, v[16:17]
	s_xor_b32 s21, exec_lo, s2
	s_cbranch_execz .LBB107_26
; %bb.11:                               ;   in Loop: Header=BB107_10 Depth=1
	v_dual_mov_b32 v12, v8 :: v_dual_and_b32 v11, 0x7fffffff, v9
	s_mov_b32 s2, exec_lo
	s_delay_alu instid0(VALU_DEP_1)
	v_cmpx_gt_u64_e32 0x43e00001, v[11:12]
	s_xor_b32 s27, exec_lo, s2
	s_cbranch_execz .LBB107_25
; %bb.12:                               ;   in Loop: Header=BB107_10 Depth=1
	v_mov_b32_e32 v10, 0
	s_mov_b32 s31, exec_lo
	v_cmpx_ne_u32_e32 0, v9
	s_cbranch_execz .LBB107_24
; %bb.13:                               ;   in Loop: Header=BB107_10 Depth=1
	v_bfe_u32 v16, v9, 23, 8
	v_or_b32_e32 v11, 0x800000, v7
	s_delay_alu instid0(VALU_DEP_2) | instskip(SKIP_1) | instid1(VALU_DEP_2)
	v_sub_nc_u32_e32 v9, 0x79, v16
	v_cmp_gt_u32_e32 vcc_lo, 0x7a, v16
	v_cndmask_b32_e32 v9, 0, v9, vcc_lo
	v_cmp_eq_u32_e32 vcc_lo, 0, v16
	s_delay_alu instid0(VALU_DEP_2) | instskip(SKIP_1) | instid1(VALU_DEP_2)
	v_cndmask_b32_e64 v17, v9, 0x78, vcc_lo
	v_cndmask_b32_e32 v7, v11, v7, vcc_lo
	v_add_nc_u32_e32 v9, 20, v17
	v_add_nc_u32_e32 v11, 19, v17
	s_delay_alu instid0(VALU_DEP_2) | instskip(NEXT) | instid1(VALU_DEP_2)
	v_lshlrev_b64 v[9:10], v9, -1
	v_lshlrev_b64 v[11:12], v11, 1
	s_delay_alu instid0(VALU_DEP_2) | instskip(NEXT) | instid1(VALU_DEP_3)
	v_not_b32_e32 v10, v10
	v_not_b32_e32 v9, v9
	s_delay_alu instid0(VALU_DEP_2) | instskip(NEXT) | instid1(VALU_DEP_2)
	v_and_b32_e32 v19, 0, v10
	v_and_b32_e32 v18, v7, v9
	v_lshrrev_b64 v[9:10], v17, v[7:8]
	s_delay_alu instid0(VALU_DEP_2) | instskip(NEXT) | instid1(VALU_DEP_2)
	v_cmp_eq_u64_e64 s2, v[18:19], v[11:12]
	v_dual_mov_b32 v12, v10 :: v_dual_mov_b32 v11, v9
	s_delay_alu instid0(VALU_DEP_2)
	s_and_saveexec_b32 s36, s2
; %bb.14:                               ;   in Loop: Header=BB107_10 Depth=1
	v_bfe_u32 v7, v9, 20, 1
	s_delay_alu instid0(VALU_DEP_1) | instskip(NEXT) | instid1(VALU_DEP_1)
	v_add_co_u32 v7, s2, v9, v7
	v_add_co_u32 v11, s2, v7, -1
; %bb.15:                               ;   in Loop: Header=BB107_10 Depth=1
	s_or_b32 exec_lo, exec_lo, s36
	v_add_nc_u32_e32 v7, 0xffffff81, v16
	v_lshrrev_b32_e32 v12, 23, v9
	s_mov_b32 s2, exec_lo
	s_delay_alu instid0(VALU_DEP_2) | instskip(NEXT) | instid1(VALU_DEP_1)
	v_cndmask_b32_e64 v7, v7, 0xffffff82, vcc_lo
	v_add3_u32 v12, v17, v7, v12
	v_and_b32_e32 v7, 0xfffff, v11
	s_delay_alu instid0(VALU_DEP_2) | instskip(NEXT) | instid1(VALU_DEP_2)
	v_add_nc_u32_e32 v11, 6, v12
	v_add_co_u32 v9, vcc_lo, v7, v9
	v_add_co_ci_u32_e32 v10, vcc_lo, 0, v10, vcc_lo
                                        ; implicit-def: $vgpr7
	s_delay_alu instid0(VALU_DEP_3)
	v_cmpx_ne_u32_e32 0, v11
	s_xor_b32 s2, exec_lo, s2
; %bb.16:                               ;   in Loop: Header=BB107_10 Depth=1
	s_delay_alu instid0(VALU_DEP_2) | instskip(SKIP_1) | instid1(VALU_DEP_1)
	v_cmp_lt_u64_e32 vcc_lo, 0xffffff, v[9:10]
	v_add_nc_u32_e32 v7, 7, v12
	v_cndmask_b32_e32 v7, v11, v7, vcc_lo
	v_cndmask_b32_e64 v11, 0, 1, vcc_lo
	s_delay_alu instid0(VALU_DEP_1)
	v_lshrrev_b64 v[9:10], v11, v[9:10]
; %bb.17:                               ;   in Loop: Header=BB107_10 Depth=1
	s_and_not1_saveexec_b32 s2, s2
; %bb.18:                               ;   in Loop: Header=BB107_10 Depth=1
	s_delay_alu instid0(VALU_DEP_1)
	v_bfe_u32 v7, v9, 23, 1
; %bb.19:                               ;   in Loop: Header=BB107_10 Depth=1
	s_or_b32 exec_lo, exec_lo, s2
	s_delay_alu instid0(VALU_DEP_2) | instskip(NEXT) | instid1(VALU_DEP_2)
	v_lshrrev_b64 v[9:10], 20, v[9:10]
	v_cmp_gt_i32_e32 vcc_lo, 16, v7
	v_cmp_ne_u32_e64 s2, 0, v7
	s_delay_alu instid0(VALU_DEP_3) | instskip(NEXT) | instid1(VALU_DEP_1)
	v_dual_cndmask_b32 v10, 0, v10 :: v_dual_cndmask_b32 v9, 7, v9
	v_cmp_ne_u64_e32 vcc_lo, 0, v[9:10]
                                        ; implicit-def: $vgpr10
	s_delay_alu instid0(VALU_DEP_3) | instskip(NEXT) | instid1(SALU_CYCLE_1)
	s_or_b32 s2, s2, vcc_lo
	s_and_saveexec_b32 s36, s2
	s_delay_alu instid0(SALU_CYCLE_1)
	s_xor_b32 s2, exec_lo, s36
; %bb.20:                               ;   in Loop: Header=BB107_10 Depth=1
	v_min_i32_e32 v7, 15, v7
	s_delay_alu instid0(VALU_DEP_1) | instskip(NEXT) | instid1(VALU_DEP_1)
	v_lshl_or_b32 v7, v7, 3, v15
                                        ; implicit-def: $vgpr15
	v_and_or_b32 v10, v9, 7, v7
; %bb.21:                               ;   in Loop: Header=BB107_10 Depth=1
	s_and_not1_saveexec_b32 s2, s2
; %bb.22:                               ;   in Loop: Header=BB107_10 Depth=1
	v_mov_b32_e32 v10, v15
; %bb.23:                               ;   in Loop: Header=BB107_10 Depth=1
	s_or_b32 exec_lo, exec_lo, s2
.LBB107_24:                             ;   in Loop: Header=BB107_10 Depth=1
	s_delay_alu instid0(SALU_CYCLE_1)
	s_or_b32 exec_lo, exec_lo, s31
.LBB107_25:                             ;   in Loop: Header=BB107_10 Depth=1
	s_and_not1_saveexec_b32 s2, s27
	s_delay_alu instid0(SALU_CYCLE_1)
	s_or_b32 exec_lo, exec_lo, s2
                                        ; implicit-def: $vgpr11
.LBB107_26:                             ;   in Loop: Header=BB107_10 Depth=1
	s_and_not1_saveexec_b32 s2, s21
; %bb.27:                               ;   in Loop: Header=BB107_10 Depth=1
	v_cmp_eq_u64_e32 vcc_lo, 0, v[7:8]
	v_or_b32_e32 v9, 0x7f, v11
	s_delay_alu instid0(VALU_DEP_1)
	v_cndmask_b32_e32 v10, v9, v10, vcc_lo
; %bb.28:                               ;   in Loop: Header=BB107_10 Depth=1
	s_or_b32 exec_lo, exec_lo, s2
	v_and_b32_e32 v7, 0xffff0000, v14
	global_store_b8 v[5:6], v10, off offset:-1
	s_mov_b32 s2, exec_lo
	v_div_scale_f32 v9, null, s35, s35, v7
	s_delay_alu instid0(VALU_DEP_1) | instskip(SKIP_2) | instid1(VALU_DEP_1)
	v_rcp_f32_e32 v11, v9
	s_waitcnt_depctr 0xfff
	v_fma_f32 v12, -v9, v11, 1.0
	v_fmac_f32_e32 v11, v12, v11
	v_div_scale_f32 v12, vcc_lo, v7, s35, v7
	s_delay_alu instid0(VALU_DEP_1) | instskip(NEXT) | instid1(VALU_DEP_1)
	v_mul_f32_e32 v14, v12, v11
	v_fma_f32 v15, -v9, v14, v12
	s_delay_alu instid0(VALU_DEP_1) | instskip(NEXT) | instid1(VALU_DEP_1)
	v_fmac_f32_e32 v14, v15, v11
	v_fma_f32 v9, -v9, v14, v12
	s_delay_alu instid0(VALU_DEP_1) | instskip(NEXT) | instid1(VALU_DEP_1)
	v_div_fmas_f32 v9, v9, v11, v14
	v_div_fixup_f32 v9, v9, s35, v7
	s_delay_alu instid0(VALU_DEP_1) | instskip(SKIP_2) | instid1(VALU_DEP_2)
	v_dual_mov_b32 v16, v8 :: v_dual_and_b32 v7, 0x7fffff, v9
	v_lshrrev_b32_e32 v12, 24, v9
	v_and_b32_e32 v15, 0x7f800000, v9
	v_and_b32_e32 v14, 0x80, v12
	s_delay_alu instid0(VALU_DEP_1) | instskip(NEXT) | instid1(VALU_DEP_3)
	v_or_b32_e32 v11, 0x7e, v14
	v_cmpx_ne_u64_e32 0x7f800000, v[15:16]
	s_xor_b32 s21, exec_lo, s2
	s_cbranch_execz .LBB107_44
; %bb.29:                               ;   in Loop: Header=BB107_10 Depth=1
	v_dual_mov_b32 v16, v8 :: v_dual_and_b32 v15, 0x7fffffff, v9
	s_mov_b32 s2, exec_lo
	s_delay_alu instid0(VALU_DEP_1)
	v_cmpx_gt_u64_e32 0x43e00001, v[15:16]
	s_xor_b32 s27, exec_lo, s2
	s_cbranch_execz .LBB107_43
; %bb.30:                               ;   in Loop: Header=BB107_10 Depth=1
	v_mov_b32_e32 v11, 0
	s_mov_b32 s31, exec_lo
	v_cmpx_ne_u32_e32 0, v9
	s_cbranch_execz .LBB107_42
; %bb.31:                               ;   in Loop: Header=BB107_10 Depth=1
	v_bfe_u32 v15, v9, 23, 8
	v_or_b32_e32 v11, 0x800000, v7
	s_delay_alu instid0(VALU_DEP_2) | instskip(SKIP_1) | instid1(VALU_DEP_2)
	v_sub_nc_u32_e32 v9, 0x79, v15
	v_cmp_gt_u32_e32 vcc_lo, 0x7a, v15
	v_cndmask_b32_e32 v9, 0, v9, vcc_lo
	v_cmp_eq_u32_e32 vcc_lo, 0, v15
	s_delay_alu instid0(VALU_DEP_2) | instskip(SKIP_1) | instid1(VALU_DEP_2)
	v_cndmask_b32_e64 v16, v9, 0x78, vcc_lo
	v_cndmask_b32_e32 v7, v11, v7, vcc_lo
	v_add_nc_u32_e32 v9, 20, v16
	v_add_nc_u32_e32 v11, 19, v16
	s_delay_alu instid0(VALU_DEP_2) | instskip(NEXT) | instid1(VALU_DEP_2)
	v_lshlrev_b64 v[9:10], v9, -1
	v_lshlrev_b64 v[11:12], v11, 1
	s_delay_alu instid0(VALU_DEP_2) | instskip(NEXT) | instid1(VALU_DEP_3)
	v_not_b32_e32 v10, v10
	v_not_b32_e32 v9, v9
	s_delay_alu instid0(VALU_DEP_2) | instskip(NEXT) | instid1(VALU_DEP_2)
	v_and_b32_e32 v18, 0, v10
	v_and_b32_e32 v17, v7, v9
	v_lshrrev_b64 v[9:10], v16, v[7:8]
	s_delay_alu instid0(VALU_DEP_2) | instskip(NEXT) | instid1(VALU_DEP_2)
	v_cmp_eq_u64_e64 s2, v[17:18], v[11:12]
	v_dual_mov_b32 v12, v10 :: v_dual_mov_b32 v11, v9
	s_delay_alu instid0(VALU_DEP_2)
	s_and_saveexec_b32 s36, s2
; %bb.32:                               ;   in Loop: Header=BB107_10 Depth=1
	v_bfe_u32 v7, v9, 20, 1
	s_delay_alu instid0(VALU_DEP_1) | instskip(NEXT) | instid1(VALU_DEP_1)
	v_add_co_u32 v7, s2, v9, v7
	v_add_co_u32 v11, s2, v7, -1
; %bb.33:                               ;   in Loop: Header=BB107_10 Depth=1
	s_or_b32 exec_lo, exec_lo, s36
	v_add_nc_u32_e32 v7, 0xffffff81, v15
	v_lshrrev_b32_e32 v12, 23, v9
	s_mov_b32 s2, exec_lo
	s_delay_alu instid0(VALU_DEP_2) | instskip(NEXT) | instid1(VALU_DEP_1)
	v_cndmask_b32_e64 v7, v7, 0xffffff82, vcc_lo
	v_add3_u32 v12, v16, v7, v12
	v_and_b32_e32 v7, 0xfffff, v11
	s_delay_alu instid0(VALU_DEP_2) | instskip(NEXT) | instid1(VALU_DEP_2)
	v_add_nc_u32_e32 v11, 6, v12
	v_add_co_u32 v9, vcc_lo, v7, v9
	v_add_co_ci_u32_e32 v10, vcc_lo, 0, v10, vcc_lo
                                        ; implicit-def: $vgpr7
	s_delay_alu instid0(VALU_DEP_3)
	v_cmpx_ne_u32_e32 0, v11
	s_xor_b32 s2, exec_lo, s2
; %bb.34:                               ;   in Loop: Header=BB107_10 Depth=1
	s_delay_alu instid0(VALU_DEP_2) | instskip(SKIP_1) | instid1(VALU_DEP_1)
	v_cmp_lt_u64_e32 vcc_lo, 0xffffff, v[9:10]
	v_add_nc_u32_e32 v7, 7, v12
	v_cndmask_b32_e32 v7, v11, v7, vcc_lo
	v_cndmask_b32_e64 v11, 0, 1, vcc_lo
	s_delay_alu instid0(VALU_DEP_1)
	v_lshrrev_b64 v[9:10], v11, v[9:10]
; %bb.35:                               ;   in Loop: Header=BB107_10 Depth=1
	s_and_not1_saveexec_b32 s2, s2
; %bb.36:                               ;   in Loop: Header=BB107_10 Depth=1
	s_delay_alu instid0(VALU_DEP_1)
	v_bfe_u32 v7, v9, 23, 1
; %bb.37:                               ;   in Loop: Header=BB107_10 Depth=1
	s_or_b32 exec_lo, exec_lo, s2
	s_delay_alu instid0(VALU_DEP_2) | instskip(NEXT) | instid1(VALU_DEP_2)
	v_lshrrev_b64 v[9:10], 20, v[9:10]
	v_cmp_gt_i32_e32 vcc_lo, 16, v7
	v_cmp_ne_u32_e64 s2, 0, v7
                                        ; implicit-def: $vgpr11
	s_delay_alu instid0(VALU_DEP_3) | instskip(NEXT) | instid1(VALU_DEP_1)
	v_dual_cndmask_b32 v10, 0, v10 :: v_dual_cndmask_b32 v9, 7, v9
	v_cmp_ne_u64_e32 vcc_lo, 0, v[9:10]
	s_delay_alu instid0(VALU_DEP_3) | instskip(NEXT) | instid1(SALU_CYCLE_1)
	s_or_b32 s2, s2, vcc_lo
	s_and_saveexec_b32 s36, s2
	s_delay_alu instid0(SALU_CYCLE_1)
	s_xor_b32 s2, exec_lo, s36
; %bb.38:                               ;   in Loop: Header=BB107_10 Depth=1
	v_min_i32_e32 v7, 15, v7
	s_delay_alu instid0(VALU_DEP_1) | instskip(NEXT) | instid1(VALU_DEP_1)
	v_lshl_or_b32 v7, v7, 3, v14
                                        ; implicit-def: $vgpr14
	v_and_or_b32 v11, v9, 7, v7
; %bb.39:                               ;   in Loop: Header=BB107_10 Depth=1
	s_and_not1_saveexec_b32 s2, s2
; %bb.40:                               ;   in Loop: Header=BB107_10 Depth=1
	v_mov_b32_e32 v11, v14
; %bb.41:                               ;   in Loop: Header=BB107_10 Depth=1
	s_or_b32 exec_lo, exec_lo, s2
.LBB107_42:                             ;   in Loop: Header=BB107_10 Depth=1
	s_delay_alu instid0(SALU_CYCLE_1)
	s_or_b32 exec_lo, exec_lo, s31
.LBB107_43:                             ;   in Loop: Header=BB107_10 Depth=1
	s_and_not1_saveexec_b32 s2, s27
	s_delay_alu instid0(SALU_CYCLE_1)
	s_or_b32 exec_lo, exec_lo, s2
                                        ; implicit-def: $vgpr12
.LBB107_44:                             ;   in Loop: Header=BB107_10 Depth=1
	s_and_not1_saveexec_b32 s2, s21
	s_cbranch_execz .LBB107_9
; %bb.45:                               ;   in Loop: Header=BB107_10 Depth=1
	v_cmp_eq_u64_e32 vcc_lo, 0, v[7:8]
	v_or_b32_e32 v9, 0x7f, v12
	s_delay_alu instid0(VALU_DEP_1)
	v_cndmask_b32_e32 v11, v9, v11, vcc_lo
	s_branch .LBB107_9
.LBB107_46:
	s_or_b32 exec_lo, exec_lo, s34
	s_delay_alu instid0(SALU_CYCLE_1)
	s_mov_b32 s2, exec_lo
	v_cmpx_gt_i32_e64 s6, v0
	s_cbranch_execz .LBB107_67
; %bb.47:
	s_mul_i32 s2, s16, s11
	s_mul_hi_u32 s9, s16, s10
	s_mul_i32 s8, s16, s10
	s_add_i32 s9, s9, s2
	s_load_b32 s0, s[0:1], 0x8c
	s_lshl_b64 s[8:9], s[8:9], 1
	v_mov_b32_e32 v3, 0
	s_add_u32 s1, s14, s8
	s_addc_u32 s2, s15, s9
	s_ashr_i32 s8, s4, 31
	s_waitcnt lgkmcnt(0)
	s_load_b32 s4, s[24:25], 0x0
	s_mul_i32 s8, s22, s8
	s_delay_alu instid0(SALU_CYCLE_1) | instskip(NEXT) | instid1(SALU_CYCLE_1)
	s_add_i32 s8, s28, s8
	s_add_i32 s8, s8, s29
	s_add_u32 s9, s18, s33
	s_addc_u32 s8, s19, s8
	s_ashr_i32 s5, s5, 31
	s_delay_alu instid0(SALU_CYCLE_1) | instskip(NEXT) | instid1(SALU_CYCLE_1)
	s_mul_i32 s3, s3, s5
	s_add_i32 s3, s23, s3
	s_delay_alu instid0(SALU_CYCLE_1)
	s_add_i32 s5, s3, s7
	s_add_u32 s3, s9, s17
	s_addc_u32 s5, s8, s5
	s_and_b32 s7, s0, 0xffff
	s_mov_b32 s8, 0
	s_branch .LBB107_49
.LBB107_48:                             ;   in Loop: Header=BB107_49 Depth=1
	s_or_b32 exec_lo, exec_lo, s0
	v_add_co_u32 v6, vcc_lo, s3, v0
	v_add_nc_u32_e32 v0, s7, v0
	v_add_co_ci_u32_e32 v7, vcc_lo, s5, v1, vcc_lo
	s_delay_alu instid0(VALU_DEP_2) | instskip(SKIP_2) | instid1(SALU_CYCLE_1)
	v_cmp_le_i32_e32 vcc_lo, s6, v0
	global_store_b8 v[6:7], v5, off
	s_or_b32 s8, vcc_lo, s8
	s_and_not1_b32 exec_lo, exec_lo, s8
	s_cbranch_execz .LBB107_67
.LBB107_49:                             ; =>This Inner Loop Header: Depth=1
	v_ashrrev_i32_e32 v1, 31, v0
	s_mov_b32 s0, exec_lo
	v_mov_b32_e32 v10, v3
	s_delay_alu instid0(VALU_DEP_2) | instskip(NEXT) | instid1(VALU_DEP_1)
	v_lshlrev_b64 v[4:5], 1, v[0:1]
	v_add_co_u32 v4, vcc_lo, s1, v4
	s_delay_alu instid0(VALU_DEP_2) | instskip(SKIP_4) | instid1(VALU_DEP_1)
	v_add_co_ci_u32_e32 v5, vcc_lo, s2, v5, vcc_lo
	global_load_u16 v2, v[4:5], off
	s_waitcnt vmcnt(0)
	v_lshlrev_b32_e32 v2, 16, v2
	s_waitcnt lgkmcnt(0)
	v_div_scale_f32 v4, null, s4, s4, v2
	s_delay_alu instid0(VALU_DEP_1) | instskip(SKIP_2) | instid1(VALU_DEP_1)
	v_rcp_f32_e32 v5, v4
	s_waitcnt_depctr 0xfff
	v_fma_f32 v6, -v4, v5, 1.0
	v_fmac_f32_e32 v5, v6, v5
	v_div_scale_f32 v6, vcc_lo, v2, s4, v2
	s_delay_alu instid0(VALU_DEP_1) | instskip(NEXT) | instid1(VALU_DEP_1)
	v_mul_f32_e32 v7, v6, v5
	v_fma_f32 v8, -v4, v7, v6
	s_delay_alu instid0(VALU_DEP_1) | instskip(NEXT) | instid1(VALU_DEP_1)
	v_fmac_f32_e32 v7, v8, v5
	v_fma_f32 v4, -v4, v7, v6
	s_delay_alu instid0(VALU_DEP_1) | instskip(NEXT) | instid1(VALU_DEP_1)
	v_div_fmas_f32 v4, v4, v5, v7
	v_div_fixup_f32 v4, v4, s4, v2
	s_delay_alu instid0(VALU_DEP_1) | instskip(SKIP_2) | instid1(VALU_DEP_3)
	v_lshrrev_b32_e32 v6, 24, v4
	v_and_b32_e32 v9, 0x7f800000, v4
	v_and_b32_e32 v2, 0x7fffff, v4
	;; [unrolled: 1-line block ×3, first 2 shown]
	s_delay_alu instid0(VALU_DEP_1) | instskip(NEXT) | instid1(VALU_DEP_4)
	v_or_b32_e32 v5, 0x7e, v8
	v_cmpx_ne_u64_e32 0x7f800000, v[9:10]
	s_xor_b32 s9, exec_lo, s0
	s_cbranch_execz .LBB107_65
; %bb.50:                               ;   in Loop: Header=BB107_49 Depth=1
	v_dual_mov_b32 v7, v3 :: v_dual_and_b32 v6, 0x7fffffff, v4
	s_mov_b32 s0, exec_lo
	s_delay_alu instid0(VALU_DEP_1)
	v_cmpx_gt_u64_e32 0x43e00001, v[6:7]
	s_xor_b32 s10, exec_lo, s0
	s_cbranch_execz .LBB107_64
; %bb.51:                               ;   in Loop: Header=BB107_49 Depth=1
	v_mov_b32_e32 v5, 0
	s_mov_b32 s11, exec_lo
	v_cmpx_ne_u32_e32 0, v4
	s_cbranch_execz .LBB107_63
; %bb.52:                               ;   in Loop: Header=BB107_49 Depth=1
	v_bfe_u32 v9, v4, 23, 8
	v_or_b32_e32 v6, 0x800000, v2
	s_delay_alu instid0(VALU_DEP_2) | instskip(SKIP_1) | instid1(VALU_DEP_2)
	v_sub_nc_u32_e32 v4, 0x79, v9
	v_cmp_gt_u32_e32 vcc_lo, 0x7a, v9
	v_cndmask_b32_e32 v4, 0, v4, vcc_lo
	v_cmp_eq_u32_e32 vcc_lo, 0, v9
	s_delay_alu instid0(VALU_DEP_2) | instskip(SKIP_1) | instid1(VALU_DEP_2)
	v_cndmask_b32_e64 v10, v4, 0x78, vcc_lo
	v_cndmask_b32_e32 v2, v6, v2, vcc_lo
	v_add_nc_u32_e32 v4, 20, v10
	v_add_nc_u32_e32 v6, 19, v10
	s_delay_alu instid0(VALU_DEP_2) | instskip(NEXT) | instid1(VALU_DEP_2)
	v_lshlrev_b64 v[4:5], v4, -1
	v_lshlrev_b64 v[6:7], v6, 1
	s_delay_alu instid0(VALU_DEP_2) | instskip(NEXT) | instid1(VALU_DEP_3)
	v_not_b32_e32 v5, v5
	v_not_b32_e32 v4, v4
	s_delay_alu instid0(VALU_DEP_2) | instskip(NEXT) | instid1(VALU_DEP_2)
	v_and_b32_e32 v12, 0, v5
	v_and_b32_e32 v11, v2, v4
	v_lshrrev_b64 v[4:5], v10, v[2:3]
	s_delay_alu instid0(VALU_DEP_2) | instskip(NEXT) | instid1(VALU_DEP_2)
	v_cmp_eq_u64_e64 s0, v[11:12], v[6:7]
	v_dual_mov_b32 v7, v5 :: v_dual_mov_b32 v6, v4
	s_delay_alu instid0(VALU_DEP_2)
	s_and_saveexec_b32 s12, s0
; %bb.53:                               ;   in Loop: Header=BB107_49 Depth=1
	v_bfe_u32 v2, v4, 20, 1
	s_delay_alu instid0(VALU_DEP_1) | instskip(NEXT) | instid1(VALU_DEP_1)
	v_add_co_u32 v2, s0, v4, v2
	v_add_co_u32 v6, s0, v2, -1
; %bb.54:                               ;   in Loop: Header=BB107_49 Depth=1
	s_or_b32 exec_lo, exec_lo, s12
	v_add_nc_u32_e32 v2, 0xffffff81, v9
	v_lshrrev_b32_e32 v7, 23, v4
	s_mov_b32 s0, exec_lo
	s_delay_alu instid0(VALU_DEP_2) | instskip(NEXT) | instid1(VALU_DEP_1)
	v_cndmask_b32_e64 v2, v2, 0xffffff82, vcc_lo
	v_add3_u32 v7, v10, v2, v7
	v_and_b32_e32 v2, 0xfffff, v6
	s_delay_alu instid0(VALU_DEP_2) | instskip(NEXT) | instid1(VALU_DEP_2)
	v_add_nc_u32_e32 v6, 6, v7
	v_add_co_u32 v4, vcc_lo, v2, v4
	v_add_co_ci_u32_e32 v5, vcc_lo, 0, v5, vcc_lo
                                        ; implicit-def: $vgpr2
	s_delay_alu instid0(VALU_DEP_3)
	v_cmpx_ne_u32_e32 0, v6
	s_xor_b32 s0, exec_lo, s0
; %bb.55:                               ;   in Loop: Header=BB107_49 Depth=1
	s_delay_alu instid0(VALU_DEP_2) | instskip(SKIP_1) | instid1(VALU_DEP_1)
	v_cmp_lt_u64_e32 vcc_lo, 0xffffff, v[4:5]
	v_add_nc_u32_e32 v2, 7, v7
	v_cndmask_b32_e32 v2, v6, v2, vcc_lo
	v_cndmask_b32_e64 v6, 0, 1, vcc_lo
	s_delay_alu instid0(VALU_DEP_1)
	v_lshrrev_b64 v[4:5], v6, v[4:5]
; %bb.56:                               ;   in Loop: Header=BB107_49 Depth=1
	s_and_not1_saveexec_b32 s0, s0
; %bb.57:                               ;   in Loop: Header=BB107_49 Depth=1
	s_delay_alu instid0(VALU_DEP_1)
	v_bfe_u32 v2, v4, 23, 1
; %bb.58:                               ;   in Loop: Header=BB107_49 Depth=1
	s_or_b32 exec_lo, exec_lo, s0
	s_delay_alu instid0(VALU_DEP_2) | instskip(NEXT) | instid1(VALU_DEP_2)
	v_lshrrev_b64 v[4:5], 20, v[4:5]
	v_cmp_gt_i32_e32 vcc_lo, 16, v2
	v_cmp_ne_u32_e64 s0, 0, v2
	s_delay_alu instid0(VALU_DEP_3) | instskip(NEXT) | instid1(VALU_DEP_1)
	v_dual_cndmask_b32 v5, 0, v5 :: v_dual_cndmask_b32 v4, 7, v4
	v_cmp_ne_u64_e32 vcc_lo, 0, v[4:5]
                                        ; implicit-def: $vgpr5
	s_delay_alu instid0(VALU_DEP_3) | instskip(NEXT) | instid1(SALU_CYCLE_1)
	s_or_b32 s0, s0, vcc_lo
	s_and_saveexec_b32 s12, s0
	s_delay_alu instid0(SALU_CYCLE_1)
	s_xor_b32 s0, exec_lo, s12
; %bb.59:                               ;   in Loop: Header=BB107_49 Depth=1
	v_min_i32_e32 v2, 15, v2
	s_delay_alu instid0(VALU_DEP_1) | instskip(NEXT) | instid1(VALU_DEP_1)
	v_lshl_or_b32 v2, v2, 3, v8
                                        ; implicit-def: $vgpr8
	v_and_or_b32 v5, v4, 7, v2
; %bb.60:                               ;   in Loop: Header=BB107_49 Depth=1
	s_and_not1_saveexec_b32 s0, s0
; %bb.61:                               ;   in Loop: Header=BB107_49 Depth=1
	v_mov_b32_e32 v5, v8
; %bb.62:                               ;   in Loop: Header=BB107_49 Depth=1
	s_or_b32 exec_lo, exec_lo, s0
.LBB107_63:                             ;   in Loop: Header=BB107_49 Depth=1
	s_delay_alu instid0(SALU_CYCLE_1)
	s_or_b32 exec_lo, exec_lo, s11
.LBB107_64:                             ;   in Loop: Header=BB107_49 Depth=1
	s_and_not1_saveexec_b32 s0, s10
	s_delay_alu instid0(SALU_CYCLE_1)
	s_or_b32 exec_lo, exec_lo, s0
                                        ; implicit-def: $vgpr6
.LBB107_65:                             ;   in Loop: Header=BB107_49 Depth=1
	s_and_not1_saveexec_b32 s0, s9
	s_cbranch_execz .LBB107_48
; %bb.66:                               ;   in Loop: Header=BB107_49 Depth=1
	v_cmp_eq_u64_e32 vcc_lo, 0, v[2:3]
	v_or_b32_e32 v4, 0x7f, v6
	s_delay_alu instid0(VALU_DEP_1)
	v_cndmask_b32_e32 v5, v4, v5, vcc_lo
	s_branch .LBB107_48
.LBB107_67:
	s_nop 0
	s_sendmsg sendmsg(MSG_DEALLOC_VGPRS)
	s_endpgm
.LBB107_68:
                                        ; implicit-def: $sgpr22_sgpr23
	s_branch .LBB107_6
	.section	.rodata,"a",@progbits
	.p2align	6, 0x0
	.amdhsa_kernel _ZN4vllm38concat_and_cache_mla_rope_fused_kernelIN3c108BFloat16ES2_Lb0E14__hip_bfloat16hLNS_18Fp8KVCacheDataTypeE1EEEvPKlPT_S8_PKS7_PKT0_illlliPT3_S6_iiiiPKf
		.amdhsa_group_segment_fixed_size 0
		.amdhsa_private_segment_fixed_size 0
		.amdhsa_kernarg_size 384
		.amdhsa_user_sgpr_count 15
		.amdhsa_user_sgpr_dispatch_ptr 0
		.amdhsa_user_sgpr_queue_ptr 0
		.amdhsa_user_sgpr_kernarg_segment_ptr 1
		.amdhsa_user_sgpr_dispatch_id 0
		.amdhsa_user_sgpr_private_segment_size 0
		.amdhsa_wavefront_size32 1
		.amdhsa_uses_dynamic_stack 0
		.amdhsa_enable_private_segment 0
		.amdhsa_system_sgpr_workgroup_id_x 1
		.amdhsa_system_sgpr_workgroup_id_y 0
		.amdhsa_system_sgpr_workgroup_id_z 0
		.amdhsa_system_sgpr_workgroup_info 0
		.amdhsa_system_vgpr_workitem_id 0
		.amdhsa_next_free_vgpr 20
		.amdhsa_next_free_sgpr 43
		.amdhsa_reserve_vcc 1
		.amdhsa_float_round_mode_32 0
		.amdhsa_float_round_mode_16_64 0
		.amdhsa_float_denorm_mode_32 3
		.amdhsa_float_denorm_mode_16_64 3
		.amdhsa_dx10_clamp 1
		.amdhsa_ieee_mode 1
		.amdhsa_fp16_overflow 0
		.amdhsa_workgroup_processor_mode 1
		.amdhsa_memory_ordered 1
		.amdhsa_forward_progress 0
		.amdhsa_shared_vgpr_count 0
		.amdhsa_exception_fp_ieee_invalid_op 0
		.amdhsa_exception_fp_denorm_src 0
		.amdhsa_exception_fp_ieee_div_zero 0
		.amdhsa_exception_fp_ieee_overflow 0
		.amdhsa_exception_fp_ieee_underflow 0
		.amdhsa_exception_fp_ieee_inexact 0
		.amdhsa_exception_int_div_zero 0
	.end_amdhsa_kernel
	.section	.text._ZN4vllm38concat_and_cache_mla_rope_fused_kernelIN3c108BFloat16ES2_Lb0E14__hip_bfloat16hLNS_18Fp8KVCacheDataTypeE1EEEvPKlPT_S8_PKS7_PKT0_illlliPT3_S6_iiiiPKf,"axG",@progbits,_ZN4vllm38concat_and_cache_mla_rope_fused_kernelIN3c108BFloat16ES2_Lb0E14__hip_bfloat16hLNS_18Fp8KVCacheDataTypeE1EEEvPKlPT_S8_PKS7_PKT0_illlliPT3_S6_iiiiPKf,comdat
.Lfunc_end107:
	.size	_ZN4vllm38concat_and_cache_mla_rope_fused_kernelIN3c108BFloat16ES2_Lb0E14__hip_bfloat16hLNS_18Fp8KVCacheDataTypeE1EEEvPKlPT_S8_PKS7_PKT0_illlliPT3_S6_iiiiPKf, .Lfunc_end107-_ZN4vllm38concat_and_cache_mla_rope_fused_kernelIN3c108BFloat16ES2_Lb0E14__hip_bfloat16hLNS_18Fp8KVCacheDataTypeE1EEEvPKlPT_S8_PKS7_PKT0_illlliPT3_S6_iiiiPKf
                                        ; -- End function
	.section	.AMDGPU.csdata,"",@progbits
; Kernel info:
; codeLenInByte = 5008
; NumSgprs: 45
; NumVgprs: 20
; ScratchSize: 0
; MemoryBound: 0
; FloatMode: 240
; IeeeMode: 1
; LDSByteSize: 0 bytes/workgroup (compile time only)
; SGPRBlocks: 5
; VGPRBlocks: 2
; NumSGPRsForWavesPerEU: 45
; NumVGPRsForWavesPerEU: 20
; Occupancy: 16
; WaveLimiterHint : 1
; COMPUTE_PGM_RSRC2:SCRATCH_EN: 0
; COMPUTE_PGM_RSRC2:USER_SGPR: 15
; COMPUTE_PGM_RSRC2:TRAP_HANDLER: 0
; COMPUTE_PGM_RSRC2:TGID_X_EN: 1
; COMPUTE_PGM_RSRC2:TGID_Y_EN: 0
; COMPUTE_PGM_RSRC2:TGID_Z_EN: 0
; COMPUTE_PGM_RSRC2:TIDIG_COMP_CNT: 0
	.text
	.p2alignl 7, 3214868480
	.fill 96, 4, 3214868480
	.type	__hip_cuid_5502b3ea49645d5e,@object ; @__hip_cuid_5502b3ea49645d5e
	.section	.bss,"aw",@nobits
	.globl	__hip_cuid_5502b3ea49645d5e
__hip_cuid_5502b3ea49645d5e:
	.byte	0                               ; 0x0
	.size	__hip_cuid_5502b3ea49645d5e, 1

	.ident	"AMD clang version 19.0.0git (https://github.com/RadeonOpenCompute/llvm-project roc-6.4.0 25133 c7fe45cf4b819c5991fe208aaa96edf142730f1d)"
	.section	".note.GNU-stack","",@progbits
	.addrsig
	.addrsig_sym __hip_cuid_5502b3ea49645d5e
	.amdgpu_metadata
---
amdhsa.kernels:
  - .args:
      - .actual_access:  read_only
        .address_space:  global
        .offset:         0
        .size:           8
        .value_kind:     global_buffer
      - .address_space:  global
        .offset:         8
        .size:           8
        .value_kind:     global_buffer
      - .address_space:  global
        .offset:         16
        .size:           8
        .value_kind:     global_buffer
      - .actual_access:  read_only
        .address_space:  global
        .offset:         24
        .size:           8
        .value_kind:     global_buffer
      - .actual_access:  read_only
        .address_space:  global
        .offset:         32
        .size:           8
        .value_kind:     global_buffer
      - .offset:         40
        .size:           4
        .value_kind:     by_value
      - .offset:         48
        .size:           8
        .value_kind:     by_value
      - .offset:         56
        .size:           8
        .value_kind:     by_value
      - .offset:         64
        .size:           8
        .value_kind:     by_value
      - .offset:         72
        .size:           8
        .value_kind:     by_value
      - .offset:         80
        .size:           4
        .value_kind:     by_value
      - .actual_access:  write_only
        .address_space:  global
        .offset:         88
        .size:           8
        .value_kind:     global_buffer
      - .actual_access:  read_only
        .address_space:  global
        .offset:         96
        .size:           8
        .value_kind:     global_buffer
      - .offset:         104
        .size:           4
        .value_kind:     by_value
      - .offset:         108
        .size:           4
        .value_kind:     by_value
      - .offset:         112
        .size:           4
        .value_kind:     by_value
      - .offset:         116
        .size:           4
        .value_kind:     by_value
      - .address_space:  global
        .offset:         120
        .size:           8
        .value_kind:     global_buffer
      - .offset:         128
        .size:           4
        .value_kind:     hidden_block_count_x
      - .offset:         132
        .size:           4
        .value_kind:     hidden_block_count_y
      - .offset:         136
        .size:           4
        .value_kind:     hidden_block_count_z
      - .offset:         140
        .size:           2
        .value_kind:     hidden_group_size_x
      - .offset:         142
        .size:           2
        .value_kind:     hidden_group_size_y
      - .offset:         144
        .size:           2
        .value_kind:     hidden_group_size_z
      - .offset:         146
        .size:           2
        .value_kind:     hidden_remainder_x
      - .offset:         148
        .size:           2
        .value_kind:     hidden_remainder_y
      - .offset:         150
        .size:           2
        .value_kind:     hidden_remainder_z
      - .offset:         168
        .size:           8
        .value_kind:     hidden_global_offset_x
      - .offset:         176
        .size:           8
        .value_kind:     hidden_global_offset_y
      - .offset:         184
        .size:           8
        .value_kind:     hidden_global_offset_z
      - .offset:         192
        .size:           2
        .value_kind:     hidden_grid_dims
    .group_segment_fixed_size: 0
    .kernarg_segment_align: 8
    .kernarg_segment_size: 384
    .language:       OpenCL C
    .language_version:
      - 2
      - 0
    .max_flat_workgroup_size: 1024
    .name:           _ZN4vllm38concat_and_cache_mla_rope_fused_kernelIffLb1EffLNS_18Fp8KVCacheDataTypeE0EEEvPKlPT_S5_PKS4_PKT0_illlliPT3_S3_iiiiPKf
    .private_segment_fixed_size: 0
    .sgpr_count:     48
    .sgpr_spill_count: 0
    .symbol:         _ZN4vllm38concat_and_cache_mla_rope_fused_kernelIffLb1EffLNS_18Fp8KVCacheDataTypeE0EEEvPKlPT_S5_PKS4_PKT0_illlliPT3_S3_iiiiPKf.kd
    .uniform_work_group_size: 1
    .uses_dynamic_stack: false
    .vgpr_count:     16
    .vgpr_spill_count: 0
    .wavefront_size: 32
    .workgroup_processor_mode: 1
  - .args:
      - .actual_access:  read_only
        .address_space:  global
        .offset:         0
        .size:           8
        .value_kind:     global_buffer
      - .address_space:  global
        .offset:         8
        .size:           8
        .value_kind:     global_buffer
      - .address_space:  global
        .offset:         16
        .size:           8
        .value_kind:     global_buffer
      - .actual_access:  read_only
        .address_space:  global
        .offset:         24
        .size:           8
        .value_kind:     global_buffer
      - .actual_access:  read_only
        .address_space:  global
        .offset:         32
        .size:           8
        .value_kind:     global_buffer
      - .offset:         40
        .size:           4
        .value_kind:     by_value
      - .offset:         48
        .size:           8
        .value_kind:     by_value
      - .offset:         56
        .size:           8
        .value_kind:     by_value
      - .offset:         64
        .size:           8
        .value_kind:     by_value
      - .offset:         72
        .size:           8
        .value_kind:     by_value
      - .offset:         80
        .size:           4
        .value_kind:     by_value
      - .actual_access:  write_only
        .address_space:  global
        .offset:         88
        .size:           8
        .value_kind:     global_buffer
      - .actual_access:  read_only
        .address_space:  global
        .offset:         96
        .size:           8
        .value_kind:     global_buffer
      - .offset:         104
        .size:           4
        .value_kind:     by_value
      - .offset:         108
        .size:           4
        .value_kind:     by_value
      - .offset:         112
        .size:           4
        .value_kind:     by_value
      - .offset:         116
        .size:           4
        .value_kind:     by_value
      - .address_space:  global
        .offset:         120
        .size:           8
        .value_kind:     global_buffer
      - .offset:         128
        .size:           4
        .value_kind:     hidden_block_count_x
      - .offset:         132
        .size:           4
        .value_kind:     hidden_block_count_y
      - .offset:         136
        .size:           4
        .value_kind:     hidden_block_count_z
      - .offset:         140
        .size:           2
        .value_kind:     hidden_group_size_x
      - .offset:         142
        .size:           2
        .value_kind:     hidden_group_size_y
      - .offset:         144
        .size:           2
        .value_kind:     hidden_group_size_z
      - .offset:         146
        .size:           2
        .value_kind:     hidden_remainder_x
      - .offset:         148
        .size:           2
        .value_kind:     hidden_remainder_y
      - .offset:         150
        .size:           2
        .value_kind:     hidden_remainder_z
      - .offset:         168
        .size:           8
        .value_kind:     hidden_global_offset_x
      - .offset:         176
        .size:           8
        .value_kind:     hidden_global_offset_y
      - .offset:         184
        .size:           8
        .value_kind:     hidden_global_offset_z
      - .offset:         192
        .size:           2
        .value_kind:     hidden_grid_dims
    .group_segment_fixed_size: 0
    .kernarg_segment_align: 8
    .kernarg_segment_size: 384
    .language:       OpenCL C
    .language_version:
      - 2
      - 0
    .max_flat_workgroup_size: 1024
    .name:           _ZN4vllm38concat_and_cache_mla_rope_fused_kernelIffLb0EffLNS_18Fp8KVCacheDataTypeE0EEEvPKlPT_S5_PKS4_PKT0_illlliPT3_S3_iiiiPKf
    .private_segment_fixed_size: 0
    .sgpr_count:     45
    .sgpr_spill_count: 0
    .symbol:         _ZN4vllm38concat_and_cache_mla_rope_fused_kernelIffLb0EffLNS_18Fp8KVCacheDataTypeE0EEEvPKlPT_S5_PKS4_PKT0_illlliPT3_S3_iiiiPKf.kd
    .uniform_work_group_size: 1
    .uses_dynamic_stack: false
    .vgpr_count:     18
    .vgpr_spill_count: 0
    .wavefront_size: 32
    .workgroup_processor_mode: 1
  - .args:
      - .actual_access:  read_only
        .address_space:  global
        .offset:         0
        .size:           8
        .value_kind:     global_buffer
      - .address_space:  global
        .offset:         8
        .size:           8
        .value_kind:     global_buffer
      - .address_space:  global
        .offset:         16
        .size:           8
        .value_kind:     global_buffer
      - .actual_access:  read_only
        .address_space:  global
        .offset:         24
        .size:           8
        .value_kind:     global_buffer
      - .actual_access:  read_only
        .address_space:  global
        .offset:         32
        .size:           8
        .value_kind:     global_buffer
      - .offset:         40
        .size:           4
        .value_kind:     by_value
      - .offset:         48
        .size:           8
        .value_kind:     by_value
      - .offset:         56
        .size:           8
        .value_kind:     by_value
      - .offset:         64
        .size:           8
        .value_kind:     by_value
      - .offset:         72
        .size:           8
        .value_kind:     by_value
      - .offset:         80
        .size:           4
        .value_kind:     by_value
      - .actual_access:  write_only
        .address_space:  global
        .offset:         88
        .size:           8
        .value_kind:     global_buffer
      - .actual_access:  read_only
        .address_space:  global
        .offset:         96
        .size:           8
        .value_kind:     global_buffer
      - .offset:         104
        .size:           4
        .value_kind:     by_value
      - .offset:         108
        .size:           4
        .value_kind:     by_value
      - .offset:         112
        .size:           4
        .value_kind:     by_value
      - .offset:         116
        .size:           4
        .value_kind:     by_value
      - .address_space:  global
        .offset:         120
        .size:           8
        .value_kind:     global_buffer
      - .offset:         128
        .size:           4
        .value_kind:     hidden_block_count_x
      - .offset:         132
        .size:           4
        .value_kind:     hidden_block_count_y
      - .offset:         136
        .size:           4
        .value_kind:     hidden_block_count_z
      - .offset:         140
        .size:           2
        .value_kind:     hidden_group_size_x
      - .offset:         142
        .size:           2
        .value_kind:     hidden_group_size_y
      - .offset:         144
        .size:           2
        .value_kind:     hidden_group_size_z
      - .offset:         146
        .size:           2
        .value_kind:     hidden_remainder_x
      - .offset:         148
        .size:           2
        .value_kind:     hidden_remainder_y
      - .offset:         150
        .size:           2
        .value_kind:     hidden_remainder_z
      - .offset:         168
        .size:           8
        .value_kind:     hidden_global_offset_x
      - .offset:         176
        .size:           8
        .value_kind:     hidden_global_offset_y
      - .offset:         184
        .size:           8
        .value_kind:     hidden_global_offset_z
      - .offset:         192
        .size:           2
        .value_kind:     hidden_grid_dims
    .group_segment_fixed_size: 0
    .kernarg_segment_align: 8
    .kernarg_segment_size: 384
    .language:       OpenCL C
    .language_version:
      - 2
      - 0
    .max_flat_workgroup_size: 1024
    .name:           _ZN4vllm38concat_and_cache_mla_rope_fused_kernelIfN3c104HalfELb1EffLNS_18Fp8KVCacheDataTypeE0EEEvPKlPT_S7_PKS6_PKT0_illlliPT3_S5_iiiiPKf
    .private_segment_fixed_size: 0
    .sgpr_count:     48
    .sgpr_spill_count: 0
    .symbol:         _ZN4vllm38concat_and_cache_mla_rope_fused_kernelIfN3c104HalfELb1EffLNS_18Fp8KVCacheDataTypeE0EEEvPKlPT_S7_PKS6_PKT0_illlliPT3_S5_iiiiPKf.kd
    .uniform_work_group_size: 1
    .uses_dynamic_stack: false
    .vgpr_count:     19
    .vgpr_spill_count: 0
    .wavefront_size: 32
    .workgroup_processor_mode: 1
  - .args:
      - .actual_access:  read_only
        .address_space:  global
        .offset:         0
        .size:           8
        .value_kind:     global_buffer
      - .address_space:  global
        .offset:         8
        .size:           8
        .value_kind:     global_buffer
      - .address_space:  global
        .offset:         16
        .size:           8
        .value_kind:     global_buffer
      - .actual_access:  read_only
        .address_space:  global
        .offset:         24
        .size:           8
        .value_kind:     global_buffer
      - .actual_access:  read_only
        .address_space:  global
        .offset:         32
        .size:           8
        .value_kind:     global_buffer
      - .offset:         40
        .size:           4
        .value_kind:     by_value
      - .offset:         48
        .size:           8
        .value_kind:     by_value
      - .offset:         56
        .size:           8
        .value_kind:     by_value
      - .offset:         64
        .size:           8
        .value_kind:     by_value
      - .offset:         72
        .size:           8
        .value_kind:     by_value
      - .offset:         80
        .size:           4
        .value_kind:     by_value
      - .actual_access:  write_only
        .address_space:  global
        .offset:         88
        .size:           8
        .value_kind:     global_buffer
      - .actual_access:  read_only
        .address_space:  global
        .offset:         96
        .size:           8
        .value_kind:     global_buffer
      - .offset:         104
        .size:           4
        .value_kind:     by_value
      - .offset:         108
        .size:           4
        .value_kind:     by_value
      - .offset:         112
        .size:           4
        .value_kind:     by_value
      - .offset:         116
        .size:           4
        .value_kind:     by_value
      - .address_space:  global
        .offset:         120
        .size:           8
        .value_kind:     global_buffer
      - .offset:         128
        .size:           4
        .value_kind:     hidden_block_count_x
      - .offset:         132
        .size:           4
        .value_kind:     hidden_block_count_y
      - .offset:         136
        .size:           4
        .value_kind:     hidden_block_count_z
      - .offset:         140
        .size:           2
        .value_kind:     hidden_group_size_x
      - .offset:         142
        .size:           2
        .value_kind:     hidden_group_size_y
      - .offset:         144
        .size:           2
        .value_kind:     hidden_group_size_z
      - .offset:         146
        .size:           2
        .value_kind:     hidden_remainder_x
      - .offset:         148
        .size:           2
        .value_kind:     hidden_remainder_y
      - .offset:         150
        .size:           2
        .value_kind:     hidden_remainder_z
      - .offset:         168
        .size:           8
        .value_kind:     hidden_global_offset_x
      - .offset:         176
        .size:           8
        .value_kind:     hidden_global_offset_y
      - .offset:         184
        .size:           8
        .value_kind:     hidden_global_offset_z
      - .offset:         192
        .size:           2
        .value_kind:     hidden_grid_dims
    .group_segment_fixed_size: 0
    .kernarg_segment_align: 8
    .kernarg_segment_size: 384
    .language:       OpenCL C
    .language_version:
      - 2
      - 0
    .max_flat_workgroup_size: 1024
    .name:           _ZN4vllm38concat_and_cache_mla_rope_fused_kernelIfN3c104HalfELb0EffLNS_18Fp8KVCacheDataTypeE0EEEvPKlPT_S7_PKS6_PKT0_illlliPT3_S5_iiiiPKf
    .private_segment_fixed_size: 0
    .sgpr_count:     45
    .sgpr_spill_count: 0
    .symbol:         _ZN4vllm38concat_and_cache_mla_rope_fused_kernelIfN3c104HalfELb0EffLNS_18Fp8KVCacheDataTypeE0EEEvPKlPT_S7_PKS6_PKT0_illlliPT3_S5_iiiiPKf.kd
    .uniform_work_group_size: 1
    .uses_dynamic_stack: false
    .vgpr_count:     18
    .vgpr_spill_count: 0
    .wavefront_size: 32
    .workgroup_processor_mode: 1
  - .args:
      - .actual_access:  read_only
        .address_space:  global
        .offset:         0
        .size:           8
        .value_kind:     global_buffer
      - .address_space:  global
        .offset:         8
        .size:           8
        .value_kind:     global_buffer
      - .address_space:  global
        .offset:         16
        .size:           8
        .value_kind:     global_buffer
      - .actual_access:  read_only
        .address_space:  global
        .offset:         24
        .size:           8
        .value_kind:     global_buffer
      - .actual_access:  read_only
        .address_space:  global
        .offset:         32
        .size:           8
        .value_kind:     global_buffer
      - .offset:         40
        .size:           4
        .value_kind:     by_value
      - .offset:         48
        .size:           8
        .value_kind:     by_value
      - .offset:         56
        .size:           8
        .value_kind:     by_value
      - .offset:         64
        .size:           8
        .value_kind:     by_value
      - .offset:         72
        .size:           8
        .value_kind:     by_value
      - .offset:         80
        .size:           4
        .value_kind:     by_value
      - .actual_access:  write_only
        .address_space:  global
        .offset:         88
        .size:           8
        .value_kind:     global_buffer
      - .actual_access:  read_only
        .address_space:  global
        .offset:         96
        .size:           8
        .value_kind:     global_buffer
      - .offset:         104
        .size:           4
        .value_kind:     by_value
      - .offset:         108
        .size:           4
        .value_kind:     by_value
      - .offset:         112
        .size:           4
        .value_kind:     by_value
      - .offset:         116
        .size:           4
        .value_kind:     by_value
      - .address_space:  global
        .offset:         120
        .size:           8
        .value_kind:     global_buffer
      - .offset:         128
        .size:           4
        .value_kind:     hidden_block_count_x
      - .offset:         132
        .size:           4
        .value_kind:     hidden_block_count_y
      - .offset:         136
        .size:           4
        .value_kind:     hidden_block_count_z
      - .offset:         140
        .size:           2
        .value_kind:     hidden_group_size_x
      - .offset:         142
        .size:           2
        .value_kind:     hidden_group_size_y
      - .offset:         144
        .size:           2
        .value_kind:     hidden_group_size_z
      - .offset:         146
        .size:           2
        .value_kind:     hidden_remainder_x
      - .offset:         148
        .size:           2
        .value_kind:     hidden_remainder_y
      - .offset:         150
        .size:           2
        .value_kind:     hidden_remainder_z
      - .offset:         168
        .size:           8
        .value_kind:     hidden_global_offset_x
      - .offset:         176
        .size:           8
        .value_kind:     hidden_global_offset_y
      - .offset:         184
        .size:           8
        .value_kind:     hidden_global_offset_z
      - .offset:         192
        .size:           2
        .value_kind:     hidden_grid_dims
    .group_segment_fixed_size: 0
    .kernarg_segment_align: 8
    .kernarg_segment_size: 384
    .language:       OpenCL C
    .language_version:
      - 2
      - 0
    .max_flat_workgroup_size: 1024
    .name:           _ZN4vllm38concat_and_cache_mla_rope_fused_kernelIfN3c108BFloat16ELb1EffLNS_18Fp8KVCacheDataTypeE0EEEvPKlPT_S7_PKS6_PKT0_illlliPT3_S5_iiiiPKf
    .private_segment_fixed_size: 0
    .sgpr_count:     48
    .sgpr_spill_count: 0
    .symbol:         _ZN4vllm38concat_and_cache_mla_rope_fused_kernelIfN3c108BFloat16ELb1EffLNS_18Fp8KVCacheDataTypeE0EEEvPKlPT_S7_PKS6_PKT0_illlliPT3_S5_iiiiPKf.kd
    .uniform_work_group_size: 1
    .uses_dynamic_stack: false
    .vgpr_count:     18
    .vgpr_spill_count: 0
    .wavefront_size: 32
    .workgroup_processor_mode: 1
  - .args:
      - .actual_access:  read_only
        .address_space:  global
        .offset:         0
        .size:           8
        .value_kind:     global_buffer
      - .address_space:  global
        .offset:         8
        .size:           8
        .value_kind:     global_buffer
      - .address_space:  global
        .offset:         16
        .size:           8
        .value_kind:     global_buffer
      - .actual_access:  read_only
        .address_space:  global
        .offset:         24
        .size:           8
        .value_kind:     global_buffer
      - .actual_access:  read_only
        .address_space:  global
        .offset:         32
        .size:           8
        .value_kind:     global_buffer
      - .offset:         40
        .size:           4
        .value_kind:     by_value
      - .offset:         48
        .size:           8
        .value_kind:     by_value
      - .offset:         56
        .size:           8
        .value_kind:     by_value
      - .offset:         64
        .size:           8
        .value_kind:     by_value
      - .offset:         72
        .size:           8
        .value_kind:     by_value
      - .offset:         80
        .size:           4
        .value_kind:     by_value
      - .actual_access:  write_only
        .address_space:  global
        .offset:         88
        .size:           8
        .value_kind:     global_buffer
      - .actual_access:  read_only
        .address_space:  global
        .offset:         96
        .size:           8
        .value_kind:     global_buffer
      - .offset:         104
        .size:           4
        .value_kind:     by_value
      - .offset:         108
        .size:           4
        .value_kind:     by_value
      - .offset:         112
        .size:           4
        .value_kind:     by_value
      - .offset:         116
        .size:           4
        .value_kind:     by_value
      - .address_space:  global
        .offset:         120
        .size:           8
        .value_kind:     global_buffer
      - .offset:         128
        .size:           4
        .value_kind:     hidden_block_count_x
      - .offset:         132
        .size:           4
        .value_kind:     hidden_block_count_y
      - .offset:         136
        .size:           4
        .value_kind:     hidden_block_count_z
      - .offset:         140
        .size:           2
        .value_kind:     hidden_group_size_x
      - .offset:         142
        .size:           2
        .value_kind:     hidden_group_size_y
      - .offset:         144
        .size:           2
        .value_kind:     hidden_group_size_z
      - .offset:         146
        .size:           2
        .value_kind:     hidden_remainder_x
      - .offset:         148
        .size:           2
        .value_kind:     hidden_remainder_y
      - .offset:         150
        .size:           2
        .value_kind:     hidden_remainder_z
      - .offset:         168
        .size:           8
        .value_kind:     hidden_global_offset_x
      - .offset:         176
        .size:           8
        .value_kind:     hidden_global_offset_y
      - .offset:         184
        .size:           8
        .value_kind:     hidden_global_offset_z
      - .offset:         192
        .size:           2
        .value_kind:     hidden_grid_dims
    .group_segment_fixed_size: 0
    .kernarg_segment_align: 8
    .kernarg_segment_size: 384
    .language:       OpenCL C
    .language_version:
      - 2
      - 0
    .max_flat_workgroup_size: 1024
    .name:           _ZN4vllm38concat_and_cache_mla_rope_fused_kernelIfN3c108BFloat16ELb0EffLNS_18Fp8KVCacheDataTypeE0EEEvPKlPT_S7_PKS6_PKT0_illlliPT3_S5_iiiiPKf
    .private_segment_fixed_size: 0
    .sgpr_count:     45
    .sgpr_spill_count: 0
    .symbol:         _ZN4vllm38concat_and_cache_mla_rope_fused_kernelIfN3c108BFloat16ELb0EffLNS_18Fp8KVCacheDataTypeE0EEEvPKlPT_S7_PKS6_PKT0_illlliPT3_S5_iiiiPKf.kd
    .uniform_work_group_size: 1
    .uses_dynamic_stack: false
    .vgpr_count:     18
    .vgpr_spill_count: 0
    .wavefront_size: 32
    .workgroup_processor_mode: 1
  - .args:
      - .actual_access:  read_only
        .address_space:  global
        .offset:         0
        .size:           8
        .value_kind:     global_buffer
      - .address_space:  global
        .offset:         8
        .size:           8
        .value_kind:     global_buffer
      - .address_space:  global
        .offset:         16
        .size:           8
        .value_kind:     global_buffer
      - .actual_access:  read_only
        .address_space:  global
        .offset:         24
        .size:           8
        .value_kind:     global_buffer
      - .actual_access:  read_only
        .address_space:  global
        .offset:         32
        .size:           8
        .value_kind:     global_buffer
      - .offset:         40
        .size:           4
        .value_kind:     by_value
      - .offset:         48
        .size:           8
        .value_kind:     by_value
      - .offset:         56
        .size:           8
        .value_kind:     by_value
      - .offset:         64
        .size:           8
        .value_kind:     by_value
      - .offset:         72
        .size:           8
        .value_kind:     by_value
      - .offset:         80
        .size:           4
        .value_kind:     by_value
      - .actual_access:  write_only
        .address_space:  global
        .offset:         88
        .size:           8
        .value_kind:     global_buffer
      - .actual_access:  read_only
        .address_space:  global
        .offset:         96
        .size:           8
        .value_kind:     global_buffer
      - .offset:         104
        .size:           4
        .value_kind:     by_value
      - .offset:         108
        .size:           4
        .value_kind:     by_value
      - .offset:         112
        .size:           4
        .value_kind:     by_value
      - .offset:         116
        .size:           4
        .value_kind:     by_value
      - .address_space:  global
        .offset:         120
        .size:           8
        .value_kind:     global_buffer
      - .offset:         128
        .size:           4
        .value_kind:     hidden_block_count_x
      - .offset:         132
        .size:           4
        .value_kind:     hidden_block_count_y
      - .offset:         136
        .size:           4
        .value_kind:     hidden_block_count_z
      - .offset:         140
        .size:           2
        .value_kind:     hidden_group_size_x
      - .offset:         142
        .size:           2
        .value_kind:     hidden_group_size_y
      - .offset:         144
        .size:           2
        .value_kind:     hidden_group_size_z
      - .offset:         146
        .size:           2
        .value_kind:     hidden_remainder_x
      - .offset:         148
        .size:           2
        .value_kind:     hidden_remainder_y
      - .offset:         150
        .size:           2
        .value_kind:     hidden_remainder_z
      - .offset:         168
        .size:           8
        .value_kind:     hidden_global_offset_x
      - .offset:         176
        .size:           8
        .value_kind:     hidden_global_offset_y
      - .offset:         184
        .size:           8
        .value_kind:     hidden_global_offset_z
      - .offset:         192
        .size:           2
        .value_kind:     hidden_grid_dims
    .group_segment_fixed_size: 4096
    .kernarg_segment_align: 8
    .kernarg_segment_size: 384
    .language:       OpenCL C
    .language_version:
      - 2
      - 0
    .max_flat_workgroup_size: 1024
    .name:           _ZN4vllm38concat_and_cache_mla_rope_fused_kernelIN3c104HalfEfLb1EffLNS_18Fp8KVCacheDataTypeE0EEEvPKlPT_S7_PKS6_PKT0_illlliPT3_S5_iiiiPKf
    .private_segment_fixed_size: 0
    .sgpr_count:     49
    .sgpr_spill_count: 0
    .symbol:         _ZN4vllm38concat_and_cache_mla_rope_fused_kernelIN3c104HalfEfLb1EffLNS_18Fp8KVCacheDataTypeE0EEEvPKlPT_S7_PKS6_PKT0_illlliPT3_S5_iiiiPKf.kd
    .uniform_work_group_size: 1
    .uses_dynamic_stack: false
    .vgpr_count:     17
    .vgpr_spill_count: 0
    .wavefront_size: 32
    .workgroup_processor_mode: 1
  - .args:
      - .actual_access:  read_only
        .address_space:  global
        .offset:         0
        .size:           8
        .value_kind:     global_buffer
      - .address_space:  global
        .offset:         8
        .size:           8
        .value_kind:     global_buffer
      - .address_space:  global
        .offset:         16
        .size:           8
        .value_kind:     global_buffer
      - .actual_access:  read_only
        .address_space:  global
        .offset:         24
        .size:           8
        .value_kind:     global_buffer
      - .actual_access:  read_only
        .address_space:  global
        .offset:         32
        .size:           8
        .value_kind:     global_buffer
      - .offset:         40
        .size:           4
        .value_kind:     by_value
      - .offset:         48
        .size:           8
        .value_kind:     by_value
      - .offset:         56
        .size:           8
        .value_kind:     by_value
      - .offset:         64
        .size:           8
        .value_kind:     by_value
      - .offset:         72
        .size:           8
        .value_kind:     by_value
      - .offset:         80
        .size:           4
        .value_kind:     by_value
      - .actual_access:  write_only
        .address_space:  global
        .offset:         88
        .size:           8
        .value_kind:     global_buffer
      - .actual_access:  read_only
        .address_space:  global
        .offset:         96
        .size:           8
        .value_kind:     global_buffer
      - .offset:         104
        .size:           4
        .value_kind:     by_value
      - .offset:         108
        .size:           4
        .value_kind:     by_value
      - .offset:         112
        .size:           4
        .value_kind:     by_value
      - .offset:         116
        .size:           4
        .value_kind:     by_value
      - .address_space:  global
        .offset:         120
        .size:           8
        .value_kind:     global_buffer
      - .offset:         128
        .size:           4
        .value_kind:     hidden_block_count_x
      - .offset:         132
        .size:           4
        .value_kind:     hidden_block_count_y
      - .offset:         136
        .size:           4
        .value_kind:     hidden_block_count_z
      - .offset:         140
        .size:           2
        .value_kind:     hidden_group_size_x
      - .offset:         142
        .size:           2
        .value_kind:     hidden_group_size_y
      - .offset:         144
        .size:           2
        .value_kind:     hidden_group_size_z
      - .offset:         146
        .size:           2
        .value_kind:     hidden_remainder_x
      - .offset:         148
        .size:           2
        .value_kind:     hidden_remainder_y
      - .offset:         150
        .size:           2
        .value_kind:     hidden_remainder_z
      - .offset:         168
        .size:           8
        .value_kind:     hidden_global_offset_x
      - .offset:         176
        .size:           8
        .value_kind:     hidden_global_offset_y
      - .offset:         184
        .size:           8
        .value_kind:     hidden_global_offset_z
      - .offset:         192
        .size:           2
        .value_kind:     hidden_grid_dims
    .group_segment_fixed_size: 4096
    .kernarg_segment_align: 8
    .kernarg_segment_size: 384
    .language:       OpenCL C
    .language_version:
      - 2
      - 0
    .max_flat_workgroup_size: 1024
    .name:           _ZN4vllm38concat_and_cache_mla_rope_fused_kernelIN3c104HalfEfLb0EffLNS_18Fp8KVCacheDataTypeE0EEEvPKlPT_S7_PKS6_PKT0_illlliPT3_S5_iiiiPKf
    .private_segment_fixed_size: 0
    .sgpr_count:     47
    .sgpr_spill_count: 0
    .symbol:         _ZN4vllm38concat_and_cache_mla_rope_fused_kernelIN3c104HalfEfLb0EffLNS_18Fp8KVCacheDataTypeE0EEEvPKlPT_S7_PKS6_PKT0_illlliPT3_S5_iiiiPKf.kd
    .uniform_work_group_size: 1
    .uses_dynamic_stack: false
    .vgpr_count:     19
    .vgpr_spill_count: 0
    .wavefront_size: 32
    .workgroup_processor_mode: 1
  - .args:
      - .actual_access:  read_only
        .address_space:  global
        .offset:         0
        .size:           8
        .value_kind:     global_buffer
      - .address_space:  global
        .offset:         8
        .size:           8
        .value_kind:     global_buffer
      - .address_space:  global
        .offset:         16
        .size:           8
        .value_kind:     global_buffer
      - .actual_access:  read_only
        .address_space:  global
        .offset:         24
        .size:           8
        .value_kind:     global_buffer
      - .actual_access:  read_only
        .address_space:  global
        .offset:         32
        .size:           8
        .value_kind:     global_buffer
      - .offset:         40
        .size:           4
        .value_kind:     by_value
      - .offset:         48
        .size:           8
        .value_kind:     by_value
      - .offset:         56
        .size:           8
        .value_kind:     by_value
      - .offset:         64
        .size:           8
        .value_kind:     by_value
      - .offset:         72
        .size:           8
        .value_kind:     by_value
      - .offset:         80
        .size:           4
        .value_kind:     by_value
      - .actual_access:  write_only
        .address_space:  global
        .offset:         88
        .size:           8
        .value_kind:     global_buffer
      - .actual_access:  read_only
        .address_space:  global
        .offset:         96
        .size:           8
        .value_kind:     global_buffer
      - .offset:         104
        .size:           4
        .value_kind:     by_value
      - .offset:         108
        .size:           4
        .value_kind:     by_value
      - .offset:         112
        .size:           4
        .value_kind:     by_value
      - .offset:         116
        .size:           4
        .value_kind:     by_value
      - .address_space:  global
        .offset:         120
        .size:           8
        .value_kind:     global_buffer
      - .offset:         128
        .size:           4
        .value_kind:     hidden_block_count_x
      - .offset:         132
        .size:           4
        .value_kind:     hidden_block_count_y
      - .offset:         136
        .size:           4
        .value_kind:     hidden_block_count_z
      - .offset:         140
        .size:           2
        .value_kind:     hidden_group_size_x
      - .offset:         142
        .size:           2
        .value_kind:     hidden_group_size_y
      - .offset:         144
        .size:           2
        .value_kind:     hidden_group_size_z
      - .offset:         146
        .size:           2
        .value_kind:     hidden_remainder_x
      - .offset:         148
        .size:           2
        .value_kind:     hidden_remainder_y
      - .offset:         150
        .size:           2
        .value_kind:     hidden_remainder_z
      - .offset:         168
        .size:           8
        .value_kind:     hidden_global_offset_x
      - .offset:         176
        .size:           8
        .value_kind:     hidden_global_offset_y
      - .offset:         184
        .size:           8
        .value_kind:     hidden_global_offset_z
      - .offset:         192
        .size:           2
        .value_kind:     hidden_grid_dims
    .group_segment_fixed_size: 4096
    .kernarg_segment_align: 8
    .kernarg_segment_size: 384
    .language:       OpenCL C
    .language_version:
      - 2
      - 0
    .max_flat_workgroup_size: 1024
    .name:           _ZN4vllm38concat_and_cache_mla_rope_fused_kernelIN3c104HalfES2_Lb1EffLNS_18Fp8KVCacheDataTypeE0EEEvPKlPT_S7_PKS6_PKT0_illlliPT3_S5_iiiiPKf
    .private_segment_fixed_size: 0
    .sgpr_count:     49
    .sgpr_spill_count: 0
    .symbol:         _ZN4vllm38concat_and_cache_mla_rope_fused_kernelIN3c104HalfES2_Lb1EffLNS_18Fp8KVCacheDataTypeE0EEEvPKlPT_S7_PKS6_PKT0_illlliPT3_S5_iiiiPKf.kd
    .uniform_work_group_size: 1
    .uses_dynamic_stack: false
    .vgpr_count:     17
    .vgpr_spill_count: 0
    .wavefront_size: 32
    .workgroup_processor_mode: 1
  - .args:
      - .actual_access:  read_only
        .address_space:  global
        .offset:         0
        .size:           8
        .value_kind:     global_buffer
      - .address_space:  global
        .offset:         8
        .size:           8
        .value_kind:     global_buffer
      - .address_space:  global
        .offset:         16
        .size:           8
        .value_kind:     global_buffer
      - .actual_access:  read_only
        .address_space:  global
        .offset:         24
        .size:           8
        .value_kind:     global_buffer
      - .actual_access:  read_only
        .address_space:  global
        .offset:         32
        .size:           8
        .value_kind:     global_buffer
      - .offset:         40
        .size:           4
        .value_kind:     by_value
      - .offset:         48
        .size:           8
        .value_kind:     by_value
      - .offset:         56
        .size:           8
        .value_kind:     by_value
      - .offset:         64
        .size:           8
        .value_kind:     by_value
      - .offset:         72
        .size:           8
        .value_kind:     by_value
      - .offset:         80
        .size:           4
        .value_kind:     by_value
      - .actual_access:  write_only
        .address_space:  global
        .offset:         88
        .size:           8
        .value_kind:     global_buffer
      - .actual_access:  read_only
        .address_space:  global
        .offset:         96
        .size:           8
        .value_kind:     global_buffer
      - .offset:         104
        .size:           4
        .value_kind:     by_value
      - .offset:         108
        .size:           4
        .value_kind:     by_value
      - .offset:         112
        .size:           4
        .value_kind:     by_value
      - .offset:         116
        .size:           4
        .value_kind:     by_value
      - .address_space:  global
        .offset:         120
        .size:           8
        .value_kind:     global_buffer
      - .offset:         128
        .size:           4
        .value_kind:     hidden_block_count_x
      - .offset:         132
        .size:           4
        .value_kind:     hidden_block_count_y
      - .offset:         136
        .size:           4
        .value_kind:     hidden_block_count_z
      - .offset:         140
        .size:           2
        .value_kind:     hidden_group_size_x
      - .offset:         142
        .size:           2
        .value_kind:     hidden_group_size_y
      - .offset:         144
        .size:           2
        .value_kind:     hidden_group_size_z
      - .offset:         146
        .size:           2
        .value_kind:     hidden_remainder_x
      - .offset:         148
        .size:           2
        .value_kind:     hidden_remainder_y
      - .offset:         150
        .size:           2
        .value_kind:     hidden_remainder_z
      - .offset:         168
        .size:           8
        .value_kind:     hidden_global_offset_x
      - .offset:         176
        .size:           8
        .value_kind:     hidden_global_offset_y
      - .offset:         184
        .size:           8
        .value_kind:     hidden_global_offset_z
      - .offset:         192
        .size:           2
        .value_kind:     hidden_grid_dims
    .group_segment_fixed_size: 4096
    .kernarg_segment_align: 8
    .kernarg_segment_size: 384
    .language:       OpenCL C
    .language_version:
      - 2
      - 0
    .max_flat_workgroup_size: 1024
    .name:           _ZN4vllm38concat_and_cache_mla_rope_fused_kernelIN3c104HalfES2_Lb0EffLNS_18Fp8KVCacheDataTypeE0EEEvPKlPT_S7_PKS6_PKT0_illlliPT3_S5_iiiiPKf
    .private_segment_fixed_size: 0
    .sgpr_count:     47
    .sgpr_spill_count: 0
    .symbol:         _ZN4vllm38concat_and_cache_mla_rope_fused_kernelIN3c104HalfES2_Lb0EffLNS_18Fp8KVCacheDataTypeE0EEEvPKlPT_S7_PKS6_PKT0_illlliPT3_S5_iiiiPKf.kd
    .uniform_work_group_size: 1
    .uses_dynamic_stack: false
    .vgpr_count:     16
    .vgpr_spill_count: 0
    .wavefront_size: 32
    .workgroup_processor_mode: 1
  - .args:
      - .actual_access:  read_only
        .address_space:  global
        .offset:         0
        .size:           8
        .value_kind:     global_buffer
      - .address_space:  global
        .offset:         8
        .size:           8
        .value_kind:     global_buffer
      - .address_space:  global
        .offset:         16
        .size:           8
        .value_kind:     global_buffer
      - .actual_access:  read_only
        .address_space:  global
        .offset:         24
        .size:           8
        .value_kind:     global_buffer
      - .actual_access:  read_only
        .address_space:  global
        .offset:         32
        .size:           8
        .value_kind:     global_buffer
      - .offset:         40
        .size:           4
        .value_kind:     by_value
      - .offset:         48
        .size:           8
        .value_kind:     by_value
      - .offset:         56
        .size:           8
        .value_kind:     by_value
      - .offset:         64
        .size:           8
        .value_kind:     by_value
      - .offset:         72
        .size:           8
        .value_kind:     by_value
      - .offset:         80
        .size:           4
        .value_kind:     by_value
      - .actual_access:  write_only
        .address_space:  global
        .offset:         88
        .size:           8
        .value_kind:     global_buffer
      - .actual_access:  read_only
        .address_space:  global
        .offset:         96
        .size:           8
        .value_kind:     global_buffer
      - .offset:         104
        .size:           4
        .value_kind:     by_value
      - .offset:         108
        .size:           4
        .value_kind:     by_value
      - .offset:         112
        .size:           4
        .value_kind:     by_value
      - .offset:         116
        .size:           4
        .value_kind:     by_value
      - .address_space:  global
        .offset:         120
        .size:           8
        .value_kind:     global_buffer
      - .offset:         128
        .size:           4
        .value_kind:     hidden_block_count_x
      - .offset:         132
        .size:           4
        .value_kind:     hidden_block_count_y
      - .offset:         136
        .size:           4
        .value_kind:     hidden_block_count_z
      - .offset:         140
        .size:           2
        .value_kind:     hidden_group_size_x
      - .offset:         142
        .size:           2
        .value_kind:     hidden_group_size_y
      - .offset:         144
        .size:           2
        .value_kind:     hidden_group_size_z
      - .offset:         146
        .size:           2
        .value_kind:     hidden_remainder_x
      - .offset:         148
        .size:           2
        .value_kind:     hidden_remainder_y
      - .offset:         150
        .size:           2
        .value_kind:     hidden_remainder_z
      - .offset:         168
        .size:           8
        .value_kind:     hidden_global_offset_x
      - .offset:         176
        .size:           8
        .value_kind:     hidden_global_offset_y
      - .offset:         184
        .size:           8
        .value_kind:     hidden_global_offset_z
      - .offset:         192
        .size:           2
        .value_kind:     hidden_grid_dims
    .group_segment_fixed_size: 4096
    .kernarg_segment_align: 8
    .kernarg_segment_size: 384
    .language:       OpenCL C
    .language_version:
      - 2
      - 0
    .max_flat_workgroup_size: 1024
    .name:           _ZN4vllm38concat_and_cache_mla_rope_fused_kernelIN3c104HalfENS1_8BFloat16ELb1EffLNS_18Fp8KVCacheDataTypeE0EEEvPKlPT_S8_PKS7_PKT0_illlliPT3_S6_iiiiPKf
    .private_segment_fixed_size: 0
    .sgpr_count:     49
    .sgpr_spill_count: 0
    .symbol:         _ZN4vllm38concat_and_cache_mla_rope_fused_kernelIN3c104HalfENS1_8BFloat16ELb1EffLNS_18Fp8KVCacheDataTypeE0EEEvPKlPT_S8_PKS7_PKT0_illlliPT3_S6_iiiiPKf.kd
    .uniform_work_group_size: 1
    .uses_dynamic_stack: false
    .vgpr_count:     17
    .vgpr_spill_count: 0
    .wavefront_size: 32
    .workgroup_processor_mode: 1
  - .args:
      - .actual_access:  read_only
        .address_space:  global
        .offset:         0
        .size:           8
        .value_kind:     global_buffer
      - .address_space:  global
        .offset:         8
        .size:           8
        .value_kind:     global_buffer
      - .address_space:  global
        .offset:         16
        .size:           8
        .value_kind:     global_buffer
      - .actual_access:  read_only
        .address_space:  global
        .offset:         24
        .size:           8
        .value_kind:     global_buffer
      - .actual_access:  read_only
        .address_space:  global
        .offset:         32
        .size:           8
        .value_kind:     global_buffer
      - .offset:         40
        .size:           4
        .value_kind:     by_value
      - .offset:         48
        .size:           8
        .value_kind:     by_value
      - .offset:         56
        .size:           8
        .value_kind:     by_value
      - .offset:         64
        .size:           8
        .value_kind:     by_value
      - .offset:         72
        .size:           8
        .value_kind:     by_value
      - .offset:         80
        .size:           4
        .value_kind:     by_value
      - .actual_access:  write_only
        .address_space:  global
        .offset:         88
        .size:           8
        .value_kind:     global_buffer
      - .actual_access:  read_only
        .address_space:  global
        .offset:         96
        .size:           8
        .value_kind:     global_buffer
      - .offset:         104
        .size:           4
        .value_kind:     by_value
      - .offset:         108
        .size:           4
        .value_kind:     by_value
      - .offset:         112
        .size:           4
        .value_kind:     by_value
      - .offset:         116
        .size:           4
        .value_kind:     by_value
      - .address_space:  global
        .offset:         120
        .size:           8
        .value_kind:     global_buffer
      - .offset:         128
        .size:           4
        .value_kind:     hidden_block_count_x
      - .offset:         132
        .size:           4
        .value_kind:     hidden_block_count_y
      - .offset:         136
        .size:           4
        .value_kind:     hidden_block_count_z
      - .offset:         140
        .size:           2
        .value_kind:     hidden_group_size_x
      - .offset:         142
        .size:           2
        .value_kind:     hidden_group_size_y
      - .offset:         144
        .size:           2
        .value_kind:     hidden_group_size_z
      - .offset:         146
        .size:           2
        .value_kind:     hidden_remainder_x
      - .offset:         148
        .size:           2
        .value_kind:     hidden_remainder_y
      - .offset:         150
        .size:           2
        .value_kind:     hidden_remainder_z
      - .offset:         168
        .size:           8
        .value_kind:     hidden_global_offset_x
      - .offset:         176
        .size:           8
        .value_kind:     hidden_global_offset_y
      - .offset:         184
        .size:           8
        .value_kind:     hidden_global_offset_z
      - .offset:         192
        .size:           2
        .value_kind:     hidden_grid_dims
    .group_segment_fixed_size: 4096
    .kernarg_segment_align: 8
    .kernarg_segment_size: 384
    .language:       OpenCL C
    .language_version:
      - 2
      - 0
    .max_flat_workgroup_size: 1024
    .name:           _ZN4vllm38concat_and_cache_mla_rope_fused_kernelIN3c104HalfENS1_8BFloat16ELb0EffLNS_18Fp8KVCacheDataTypeE0EEEvPKlPT_S8_PKS7_PKT0_illlliPT3_S6_iiiiPKf
    .private_segment_fixed_size: 0
    .sgpr_count:     47
    .sgpr_spill_count: 0
    .symbol:         _ZN4vllm38concat_and_cache_mla_rope_fused_kernelIN3c104HalfENS1_8BFloat16ELb0EffLNS_18Fp8KVCacheDataTypeE0EEEvPKlPT_S8_PKS7_PKT0_illlliPT3_S6_iiiiPKf.kd
    .uniform_work_group_size: 1
    .uses_dynamic_stack: false
    .vgpr_count:     16
    .vgpr_spill_count: 0
    .wavefront_size: 32
    .workgroup_processor_mode: 1
  - .args:
      - .actual_access:  read_only
        .address_space:  global
        .offset:         0
        .size:           8
        .value_kind:     global_buffer
      - .address_space:  global
        .offset:         8
        .size:           8
        .value_kind:     global_buffer
      - .address_space:  global
        .offset:         16
        .size:           8
        .value_kind:     global_buffer
      - .actual_access:  read_only
        .address_space:  global
        .offset:         24
        .size:           8
        .value_kind:     global_buffer
      - .actual_access:  read_only
        .address_space:  global
        .offset:         32
        .size:           8
        .value_kind:     global_buffer
      - .offset:         40
        .size:           4
        .value_kind:     by_value
      - .offset:         48
        .size:           8
        .value_kind:     by_value
      - .offset:         56
        .size:           8
        .value_kind:     by_value
      - .offset:         64
        .size:           8
        .value_kind:     by_value
      - .offset:         72
        .size:           8
        .value_kind:     by_value
      - .offset:         80
        .size:           4
        .value_kind:     by_value
      - .actual_access:  write_only
        .address_space:  global
        .offset:         88
        .size:           8
        .value_kind:     global_buffer
      - .actual_access:  read_only
        .address_space:  global
        .offset:         96
        .size:           8
        .value_kind:     global_buffer
      - .offset:         104
        .size:           4
        .value_kind:     by_value
      - .offset:         108
        .size:           4
        .value_kind:     by_value
      - .offset:         112
        .size:           4
        .value_kind:     by_value
      - .offset:         116
        .size:           4
        .value_kind:     by_value
      - .address_space:  global
        .offset:         120
        .size:           8
        .value_kind:     global_buffer
      - .offset:         128
        .size:           4
        .value_kind:     hidden_block_count_x
      - .offset:         132
        .size:           4
        .value_kind:     hidden_block_count_y
      - .offset:         136
        .size:           4
        .value_kind:     hidden_block_count_z
      - .offset:         140
        .size:           2
        .value_kind:     hidden_group_size_x
      - .offset:         142
        .size:           2
        .value_kind:     hidden_group_size_y
      - .offset:         144
        .size:           2
        .value_kind:     hidden_group_size_z
      - .offset:         146
        .size:           2
        .value_kind:     hidden_remainder_x
      - .offset:         148
        .size:           2
        .value_kind:     hidden_remainder_y
      - .offset:         150
        .size:           2
        .value_kind:     hidden_remainder_z
      - .offset:         168
        .size:           8
        .value_kind:     hidden_global_offset_x
      - .offset:         176
        .size:           8
        .value_kind:     hidden_global_offset_y
      - .offset:         184
        .size:           8
        .value_kind:     hidden_global_offset_z
      - .offset:         192
        .size:           2
        .value_kind:     hidden_grid_dims
    .group_segment_fixed_size: 4096
    .kernarg_segment_align: 8
    .kernarg_segment_size: 384
    .language:       OpenCL C
    .language_version:
      - 2
      - 0
    .max_flat_workgroup_size: 1024
    .name:           _ZN4vllm38concat_and_cache_mla_rope_fused_kernelIN3c108BFloat16EfLb1EffLNS_18Fp8KVCacheDataTypeE0EEEvPKlPT_S7_PKS6_PKT0_illlliPT3_S5_iiiiPKf
    .private_segment_fixed_size: 0
    .sgpr_count:     49
    .sgpr_spill_count: 0
    .symbol:         _ZN4vllm38concat_and_cache_mla_rope_fused_kernelIN3c108BFloat16EfLb1EffLNS_18Fp8KVCacheDataTypeE0EEEvPKlPT_S7_PKS6_PKT0_illlliPT3_S5_iiiiPKf.kd
    .uniform_work_group_size: 1
    .uses_dynamic_stack: false
    .vgpr_count:     17
    .vgpr_spill_count: 0
    .wavefront_size: 32
    .workgroup_processor_mode: 1
  - .args:
      - .actual_access:  read_only
        .address_space:  global
        .offset:         0
        .size:           8
        .value_kind:     global_buffer
      - .address_space:  global
        .offset:         8
        .size:           8
        .value_kind:     global_buffer
      - .address_space:  global
        .offset:         16
        .size:           8
        .value_kind:     global_buffer
      - .actual_access:  read_only
        .address_space:  global
        .offset:         24
        .size:           8
        .value_kind:     global_buffer
      - .actual_access:  read_only
        .address_space:  global
        .offset:         32
        .size:           8
        .value_kind:     global_buffer
      - .offset:         40
        .size:           4
        .value_kind:     by_value
      - .offset:         48
        .size:           8
        .value_kind:     by_value
      - .offset:         56
        .size:           8
        .value_kind:     by_value
      - .offset:         64
        .size:           8
        .value_kind:     by_value
      - .offset:         72
        .size:           8
        .value_kind:     by_value
      - .offset:         80
        .size:           4
        .value_kind:     by_value
      - .actual_access:  write_only
        .address_space:  global
        .offset:         88
        .size:           8
        .value_kind:     global_buffer
      - .actual_access:  read_only
        .address_space:  global
        .offset:         96
        .size:           8
        .value_kind:     global_buffer
      - .offset:         104
        .size:           4
        .value_kind:     by_value
      - .offset:         108
        .size:           4
        .value_kind:     by_value
      - .offset:         112
        .size:           4
        .value_kind:     by_value
      - .offset:         116
        .size:           4
        .value_kind:     by_value
      - .address_space:  global
        .offset:         120
        .size:           8
        .value_kind:     global_buffer
      - .offset:         128
        .size:           4
        .value_kind:     hidden_block_count_x
      - .offset:         132
        .size:           4
        .value_kind:     hidden_block_count_y
      - .offset:         136
        .size:           4
        .value_kind:     hidden_block_count_z
      - .offset:         140
        .size:           2
        .value_kind:     hidden_group_size_x
      - .offset:         142
        .size:           2
        .value_kind:     hidden_group_size_y
      - .offset:         144
        .size:           2
        .value_kind:     hidden_group_size_z
      - .offset:         146
        .size:           2
        .value_kind:     hidden_remainder_x
      - .offset:         148
        .size:           2
        .value_kind:     hidden_remainder_y
      - .offset:         150
        .size:           2
        .value_kind:     hidden_remainder_z
      - .offset:         168
        .size:           8
        .value_kind:     hidden_global_offset_x
      - .offset:         176
        .size:           8
        .value_kind:     hidden_global_offset_y
      - .offset:         184
        .size:           8
        .value_kind:     hidden_global_offset_z
      - .offset:         192
        .size:           2
        .value_kind:     hidden_grid_dims
    .group_segment_fixed_size: 4096
    .kernarg_segment_align: 8
    .kernarg_segment_size: 384
    .language:       OpenCL C
    .language_version:
      - 2
      - 0
    .max_flat_workgroup_size: 1024
    .name:           _ZN4vllm38concat_and_cache_mla_rope_fused_kernelIN3c108BFloat16EfLb0EffLNS_18Fp8KVCacheDataTypeE0EEEvPKlPT_S7_PKS6_PKT0_illlliPT3_S5_iiiiPKf
    .private_segment_fixed_size: 0
    .sgpr_count:     47
    .sgpr_spill_count: 0
    .symbol:         _ZN4vllm38concat_and_cache_mla_rope_fused_kernelIN3c108BFloat16EfLb0EffLNS_18Fp8KVCacheDataTypeE0EEEvPKlPT_S7_PKS6_PKT0_illlliPT3_S5_iiiiPKf.kd
    .uniform_work_group_size: 1
    .uses_dynamic_stack: false
    .vgpr_count:     22
    .vgpr_spill_count: 0
    .wavefront_size: 32
    .workgroup_processor_mode: 1
  - .args:
      - .actual_access:  read_only
        .address_space:  global
        .offset:         0
        .size:           8
        .value_kind:     global_buffer
      - .address_space:  global
        .offset:         8
        .size:           8
        .value_kind:     global_buffer
      - .address_space:  global
        .offset:         16
        .size:           8
        .value_kind:     global_buffer
      - .actual_access:  read_only
        .address_space:  global
        .offset:         24
        .size:           8
        .value_kind:     global_buffer
      - .actual_access:  read_only
        .address_space:  global
        .offset:         32
        .size:           8
        .value_kind:     global_buffer
      - .offset:         40
        .size:           4
        .value_kind:     by_value
      - .offset:         48
        .size:           8
        .value_kind:     by_value
      - .offset:         56
        .size:           8
        .value_kind:     by_value
      - .offset:         64
        .size:           8
        .value_kind:     by_value
      - .offset:         72
        .size:           8
        .value_kind:     by_value
      - .offset:         80
        .size:           4
        .value_kind:     by_value
      - .actual_access:  write_only
        .address_space:  global
        .offset:         88
        .size:           8
        .value_kind:     global_buffer
      - .actual_access:  read_only
        .address_space:  global
        .offset:         96
        .size:           8
        .value_kind:     global_buffer
      - .offset:         104
        .size:           4
        .value_kind:     by_value
      - .offset:         108
        .size:           4
        .value_kind:     by_value
      - .offset:         112
        .size:           4
        .value_kind:     by_value
      - .offset:         116
        .size:           4
        .value_kind:     by_value
      - .address_space:  global
        .offset:         120
        .size:           8
        .value_kind:     global_buffer
      - .offset:         128
        .size:           4
        .value_kind:     hidden_block_count_x
      - .offset:         132
        .size:           4
        .value_kind:     hidden_block_count_y
      - .offset:         136
        .size:           4
        .value_kind:     hidden_block_count_z
      - .offset:         140
        .size:           2
        .value_kind:     hidden_group_size_x
      - .offset:         142
        .size:           2
        .value_kind:     hidden_group_size_y
      - .offset:         144
        .size:           2
        .value_kind:     hidden_group_size_z
      - .offset:         146
        .size:           2
        .value_kind:     hidden_remainder_x
      - .offset:         148
        .size:           2
        .value_kind:     hidden_remainder_y
      - .offset:         150
        .size:           2
        .value_kind:     hidden_remainder_z
      - .offset:         168
        .size:           8
        .value_kind:     hidden_global_offset_x
      - .offset:         176
        .size:           8
        .value_kind:     hidden_global_offset_y
      - .offset:         184
        .size:           8
        .value_kind:     hidden_global_offset_z
      - .offset:         192
        .size:           2
        .value_kind:     hidden_grid_dims
    .group_segment_fixed_size: 4096
    .kernarg_segment_align: 8
    .kernarg_segment_size: 384
    .language:       OpenCL C
    .language_version:
      - 2
      - 0
    .max_flat_workgroup_size: 1024
    .name:           _ZN4vllm38concat_and_cache_mla_rope_fused_kernelIN3c108BFloat16ENS1_4HalfELb1EffLNS_18Fp8KVCacheDataTypeE0EEEvPKlPT_S8_PKS7_PKT0_illlliPT3_S6_iiiiPKf
    .private_segment_fixed_size: 0
    .sgpr_count:     49
    .sgpr_spill_count: 0
    .symbol:         _ZN4vllm38concat_and_cache_mla_rope_fused_kernelIN3c108BFloat16ENS1_4HalfELb1EffLNS_18Fp8KVCacheDataTypeE0EEEvPKlPT_S8_PKS7_PKT0_illlliPT3_S6_iiiiPKf.kd
    .uniform_work_group_size: 1
    .uses_dynamic_stack: false
    .vgpr_count:     19
    .vgpr_spill_count: 0
    .wavefront_size: 32
    .workgroup_processor_mode: 1
  - .args:
      - .actual_access:  read_only
        .address_space:  global
        .offset:         0
        .size:           8
        .value_kind:     global_buffer
      - .address_space:  global
        .offset:         8
        .size:           8
        .value_kind:     global_buffer
      - .address_space:  global
        .offset:         16
        .size:           8
        .value_kind:     global_buffer
      - .actual_access:  read_only
        .address_space:  global
        .offset:         24
        .size:           8
        .value_kind:     global_buffer
      - .actual_access:  read_only
        .address_space:  global
        .offset:         32
        .size:           8
        .value_kind:     global_buffer
      - .offset:         40
        .size:           4
        .value_kind:     by_value
      - .offset:         48
        .size:           8
        .value_kind:     by_value
      - .offset:         56
        .size:           8
        .value_kind:     by_value
      - .offset:         64
        .size:           8
        .value_kind:     by_value
      - .offset:         72
        .size:           8
        .value_kind:     by_value
      - .offset:         80
        .size:           4
        .value_kind:     by_value
      - .actual_access:  write_only
        .address_space:  global
        .offset:         88
        .size:           8
        .value_kind:     global_buffer
      - .actual_access:  read_only
        .address_space:  global
        .offset:         96
        .size:           8
        .value_kind:     global_buffer
      - .offset:         104
        .size:           4
        .value_kind:     by_value
      - .offset:         108
        .size:           4
        .value_kind:     by_value
      - .offset:         112
        .size:           4
        .value_kind:     by_value
      - .offset:         116
        .size:           4
        .value_kind:     by_value
      - .address_space:  global
        .offset:         120
        .size:           8
        .value_kind:     global_buffer
      - .offset:         128
        .size:           4
        .value_kind:     hidden_block_count_x
      - .offset:         132
        .size:           4
        .value_kind:     hidden_block_count_y
      - .offset:         136
        .size:           4
        .value_kind:     hidden_block_count_z
      - .offset:         140
        .size:           2
        .value_kind:     hidden_group_size_x
      - .offset:         142
        .size:           2
        .value_kind:     hidden_group_size_y
      - .offset:         144
        .size:           2
        .value_kind:     hidden_group_size_z
      - .offset:         146
        .size:           2
        .value_kind:     hidden_remainder_x
      - .offset:         148
        .size:           2
        .value_kind:     hidden_remainder_y
      - .offset:         150
        .size:           2
        .value_kind:     hidden_remainder_z
      - .offset:         168
        .size:           8
        .value_kind:     hidden_global_offset_x
      - .offset:         176
        .size:           8
        .value_kind:     hidden_global_offset_y
      - .offset:         184
        .size:           8
        .value_kind:     hidden_global_offset_z
      - .offset:         192
        .size:           2
        .value_kind:     hidden_grid_dims
    .group_segment_fixed_size: 4096
    .kernarg_segment_align: 8
    .kernarg_segment_size: 384
    .language:       OpenCL C
    .language_version:
      - 2
      - 0
    .max_flat_workgroup_size: 1024
    .name:           _ZN4vllm38concat_and_cache_mla_rope_fused_kernelIN3c108BFloat16ENS1_4HalfELb0EffLNS_18Fp8KVCacheDataTypeE0EEEvPKlPT_S8_PKS7_PKT0_illlliPT3_S6_iiiiPKf
    .private_segment_fixed_size: 0
    .sgpr_count:     47
    .sgpr_spill_count: 0
    .symbol:         _ZN4vllm38concat_and_cache_mla_rope_fused_kernelIN3c108BFloat16ENS1_4HalfELb0EffLNS_18Fp8KVCacheDataTypeE0EEEvPKlPT_S8_PKS7_PKT0_illlliPT3_S6_iiiiPKf.kd
    .uniform_work_group_size: 1
    .uses_dynamic_stack: false
    .vgpr_count:     18
    .vgpr_spill_count: 0
    .wavefront_size: 32
    .workgroup_processor_mode: 1
  - .args:
      - .actual_access:  read_only
        .address_space:  global
        .offset:         0
        .size:           8
        .value_kind:     global_buffer
      - .address_space:  global
        .offset:         8
        .size:           8
        .value_kind:     global_buffer
      - .address_space:  global
        .offset:         16
        .size:           8
        .value_kind:     global_buffer
      - .actual_access:  read_only
        .address_space:  global
        .offset:         24
        .size:           8
        .value_kind:     global_buffer
      - .actual_access:  read_only
        .address_space:  global
        .offset:         32
        .size:           8
        .value_kind:     global_buffer
      - .offset:         40
        .size:           4
        .value_kind:     by_value
      - .offset:         48
        .size:           8
        .value_kind:     by_value
      - .offset:         56
        .size:           8
        .value_kind:     by_value
      - .offset:         64
        .size:           8
        .value_kind:     by_value
      - .offset:         72
        .size:           8
        .value_kind:     by_value
      - .offset:         80
        .size:           4
        .value_kind:     by_value
      - .actual_access:  write_only
        .address_space:  global
        .offset:         88
        .size:           8
        .value_kind:     global_buffer
      - .actual_access:  read_only
        .address_space:  global
        .offset:         96
        .size:           8
        .value_kind:     global_buffer
      - .offset:         104
        .size:           4
        .value_kind:     by_value
      - .offset:         108
        .size:           4
        .value_kind:     by_value
      - .offset:         112
        .size:           4
        .value_kind:     by_value
      - .offset:         116
        .size:           4
        .value_kind:     by_value
      - .address_space:  global
        .offset:         120
        .size:           8
        .value_kind:     global_buffer
      - .offset:         128
        .size:           4
        .value_kind:     hidden_block_count_x
      - .offset:         132
        .size:           4
        .value_kind:     hidden_block_count_y
      - .offset:         136
        .size:           4
        .value_kind:     hidden_block_count_z
      - .offset:         140
        .size:           2
        .value_kind:     hidden_group_size_x
      - .offset:         142
        .size:           2
        .value_kind:     hidden_group_size_y
      - .offset:         144
        .size:           2
        .value_kind:     hidden_group_size_z
      - .offset:         146
        .size:           2
        .value_kind:     hidden_remainder_x
      - .offset:         148
        .size:           2
        .value_kind:     hidden_remainder_y
      - .offset:         150
        .size:           2
        .value_kind:     hidden_remainder_z
      - .offset:         168
        .size:           8
        .value_kind:     hidden_global_offset_x
      - .offset:         176
        .size:           8
        .value_kind:     hidden_global_offset_y
      - .offset:         184
        .size:           8
        .value_kind:     hidden_global_offset_z
      - .offset:         192
        .size:           2
        .value_kind:     hidden_grid_dims
    .group_segment_fixed_size: 4096
    .kernarg_segment_align: 8
    .kernarg_segment_size: 384
    .language:       OpenCL C
    .language_version:
      - 2
      - 0
    .max_flat_workgroup_size: 1024
    .name:           _ZN4vllm38concat_and_cache_mla_rope_fused_kernelIN3c108BFloat16ES2_Lb1EffLNS_18Fp8KVCacheDataTypeE0EEEvPKlPT_S7_PKS6_PKT0_illlliPT3_S5_iiiiPKf
    .private_segment_fixed_size: 0
    .sgpr_count:     49
    .sgpr_spill_count: 0
    .symbol:         _ZN4vllm38concat_and_cache_mla_rope_fused_kernelIN3c108BFloat16ES2_Lb1EffLNS_18Fp8KVCacheDataTypeE0EEEvPKlPT_S7_PKS6_PKT0_illlliPT3_S5_iiiiPKf.kd
    .uniform_work_group_size: 1
    .uses_dynamic_stack: false
    .vgpr_count:     19
    .vgpr_spill_count: 0
    .wavefront_size: 32
    .workgroup_processor_mode: 1
  - .args:
      - .actual_access:  read_only
        .address_space:  global
        .offset:         0
        .size:           8
        .value_kind:     global_buffer
      - .address_space:  global
        .offset:         8
        .size:           8
        .value_kind:     global_buffer
      - .address_space:  global
        .offset:         16
        .size:           8
        .value_kind:     global_buffer
      - .actual_access:  read_only
        .address_space:  global
        .offset:         24
        .size:           8
        .value_kind:     global_buffer
      - .actual_access:  read_only
        .address_space:  global
        .offset:         32
        .size:           8
        .value_kind:     global_buffer
      - .offset:         40
        .size:           4
        .value_kind:     by_value
      - .offset:         48
        .size:           8
        .value_kind:     by_value
      - .offset:         56
        .size:           8
        .value_kind:     by_value
      - .offset:         64
        .size:           8
        .value_kind:     by_value
      - .offset:         72
        .size:           8
        .value_kind:     by_value
      - .offset:         80
        .size:           4
        .value_kind:     by_value
      - .actual_access:  write_only
        .address_space:  global
        .offset:         88
        .size:           8
        .value_kind:     global_buffer
      - .actual_access:  read_only
        .address_space:  global
        .offset:         96
        .size:           8
        .value_kind:     global_buffer
      - .offset:         104
        .size:           4
        .value_kind:     by_value
      - .offset:         108
        .size:           4
        .value_kind:     by_value
      - .offset:         112
        .size:           4
        .value_kind:     by_value
      - .offset:         116
        .size:           4
        .value_kind:     by_value
      - .address_space:  global
        .offset:         120
        .size:           8
        .value_kind:     global_buffer
      - .offset:         128
        .size:           4
        .value_kind:     hidden_block_count_x
      - .offset:         132
        .size:           4
        .value_kind:     hidden_block_count_y
      - .offset:         136
        .size:           4
        .value_kind:     hidden_block_count_z
      - .offset:         140
        .size:           2
        .value_kind:     hidden_group_size_x
      - .offset:         142
        .size:           2
        .value_kind:     hidden_group_size_y
      - .offset:         144
        .size:           2
        .value_kind:     hidden_group_size_z
      - .offset:         146
        .size:           2
        .value_kind:     hidden_remainder_x
      - .offset:         148
        .size:           2
        .value_kind:     hidden_remainder_y
      - .offset:         150
        .size:           2
        .value_kind:     hidden_remainder_z
      - .offset:         168
        .size:           8
        .value_kind:     hidden_global_offset_x
      - .offset:         176
        .size:           8
        .value_kind:     hidden_global_offset_y
      - .offset:         184
        .size:           8
        .value_kind:     hidden_global_offset_z
      - .offset:         192
        .size:           2
        .value_kind:     hidden_grid_dims
    .group_segment_fixed_size: 4096
    .kernarg_segment_align: 8
    .kernarg_segment_size: 384
    .language:       OpenCL C
    .language_version:
      - 2
      - 0
    .max_flat_workgroup_size: 1024
    .name:           _ZN4vllm38concat_and_cache_mla_rope_fused_kernelIN3c108BFloat16ES2_Lb0EffLNS_18Fp8KVCacheDataTypeE0EEEvPKlPT_S7_PKS6_PKT0_illlliPT3_S5_iiiiPKf
    .private_segment_fixed_size: 0
    .sgpr_count:     47
    .sgpr_spill_count: 0
    .symbol:         _ZN4vllm38concat_and_cache_mla_rope_fused_kernelIN3c108BFloat16ES2_Lb0EffLNS_18Fp8KVCacheDataTypeE0EEEvPKlPT_S7_PKS6_PKT0_illlliPT3_S5_iiiiPKf.kd
    .uniform_work_group_size: 1
    .uses_dynamic_stack: false
    .vgpr_count:     18
    .vgpr_spill_count: 0
    .wavefront_size: 32
    .workgroup_processor_mode: 1
  - .args:
      - .actual_access:  read_only
        .address_space:  global
        .offset:         0
        .size:           8
        .value_kind:     global_buffer
      - .address_space:  global
        .offset:         8
        .size:           8
        .value_kind:     global_buffer
      - .address_space:  global
        .offset:         16
        .size:           8
        .value_kind:     global_buffer
      - .actual_access:  read_only
        .address_space:  global
        .offset:         24
        .size:           8
        .value_kind:     global_buffer
      - .actual_access:  read_only
        .address_space:  global
        .offset:         32
        .size:           8
        .value_kind:     global_buffer
      - .offset:         40
        .size:           4
        .value_kind:     by_value
      - .offset:         48
        .size:           8
        .value_kind:     by_value
      - .offset:         56
        .size:           8
        .value_kind:     by_value
      - .offset:         64
        .size:           8
        .value_kind:     by_value
      - .offset:         72
        .size:           8
        .value_kind:     by_value
      - .offset:         80
        .size:           4
        .value_kind:     by_value
      - .actual_access:  write_only
        .address_space:  global
        .offset:         88
        .size:           8
        .value_kind:     global_buffer
      - .actual_access:  read_only
        .address_space:  global
        .offset:         96
        .size:           8
        .value_kind:     global_buffer
      - .offset:         104
        .size:           4
        .value_kind:     by_value
      - .offset:         108
        .size:           4
        .value_kind:     by_value
      - .offset:         112
        .size:           4
        .value_kind:     by_value
      - .offset:         116
        .size:           4
        .value_kind:     by_value
      - .address_space:  global
        .offset:         120
        .size:           8
        .value_kind:     global_buffer
      - .offset:         128
        .size:           4
        .value_kind:     hidden_block_count_x
      - .offset:         132
        .size:           4
        .value_kind:     hidden_block_count_y
      - .offset:         136
        .size:           4
        .value_kind:     hidden_block_count_z
      - .offset:         140
        .size:           2
        .value_kind:     hidden_group_size_x
      - .offset:         142
        .size:           2
        .value_kind:     hidden_group_size_y
      - .offset:         144
        .size:           2
        .value_kind:     hidden_group_size_z
      - .offset:         146
        .size:           2
        .value_kind:     hidden_remainder_x
      - .offset:         148
        .size:           2
        .value_kind:     hidden_remainder_y
      - .offset:         150
        .size:           2
        .value_kind:     hidden_remainder_z
      - .offset:         168
        .size:           8
        .value_kind:     hidden_global_offset_x
      - .offset:         176
        .size:           8
        .value_kind:     hidden_global_offset_y
      - .offset:         184
        .size:           8
        .value_kind:     hidden_global_offset_z
      - .offset:         192
        .size:           2
        .value_kind:     hidden_grid_dims
    .group_segment_fixed_size: 0
    .kernarg_segment_align: 8
    .kernarg_segment_size: 384
    .language:       OpenCL C
    .language_version:
      - 2
      - 0
    .max_flat_workgroup_size: 1024
    .name:           _ZN4vllm38concat_and_cache_mla_rope_fused_kernelIffLb1EttLNS_18Fp8KVCacheDataTypeE0EEEvPKlPT_S5_PKS4_PKT0_illlliPT3_S3_iiiiPKf
    .private_segment_fixed_size: 0
    .sgpr_count:     48
    .sgpr_spill_count: 0
    .symbol:         _ZN4vllm38concat_and_cache_mla_rope_fused_kernelIffLb1EttLNS_18Fp8KVCacheDataTypeE0EEEvPKlPT_S5_PKS4_PKT0_illlliPT3_S3_iiiiPKf.kd
    .uniform_work_group_size: 1
    .uses_dynamic_stack: false
    .vgpr_count:     16
    .vgpr_spill_count: 0
    .wavefront_size: 32
    .workgroup_processor_mode: 1
  - .args:
      - .actual_access:  read_only
        .address_space:  global
        .offset:         0
        .size:           8
        .value_kind:     global_buffer
      - .address_space:  global
        .offset:         8
        .size:           8
        .value_kind:     global_buffer
      - .address_space:  global
        .offset:         16
        .size:           8
        .value_kind:     global_buffer
      - .actual_access:  read_only
        .address_space:  global
        .offset:         24
        .size:           8
        .value_kind:     global_buffer
      - .actual_access:  read_only
        .address_space:  global
        .offset:         32
        .size:           8
        .value_kind:     global_buffer
      - .offset:         40
        .size:           4
        .value_kind:     by_value
      - .offset:         48
        .size:           8
        .value_kind:     by_value
      - .offset:         56
        .size:           8
        .value_kind:     by_value
      - .offset:         64
        .size:           8
        .value_kind:     by_value
      - .offset:         72
        .size:           8
        .value_kind:     by_value
      - .offset:         80
        .size:           4
        .value_kind:     by_value
      - .actual_access:  write_only
        .address_space:  global
        .offset:         88
        .size:           8
        .value_kind:     global_buffer
      - .actual_access:  read_only
        .address_space:  global
        .offset:         96
        .size:           8
        .value_kind:     global_buffer
      - .offset:         104
        .size:           4
        .value_kind:     by_value
      - .offset:         108
        .size:           4
        .value_kind:     by_value
      - .offset:         112
        .size:           4
        .value_kind:     by_value
      - .offset:         116
        .size:           4
        .value_kind:     by_value
      - .address_space:  global
        .offset:         120
        .size:           8
        .value_kind:     global_buffer
      - .offset:         128
        .size:           4
        .value_kind:     hidden_block_count_x
      - .offset:         132
        .size:           4
        .value_kind:     hidden_block_count_y
      - .offset:         136
        .size:           4
        .value_kind:     hidden_block_count_z
      - .offset:         140
        .size:           2
        .value_kind:     hidden_group_size_x
      - .offset:         142
        .size:           2
        .value_kind:     hidden_group_size_y
      - .offset:         144
        .size:           2
        .value_kind:     hidden_group_size_z
      - .offset:         146
        .size:           2
        .value_kind:     hidden_remainder_x
      - .offset:         148
        .size:           2
        .value_kind:     hidden_remainder_y
      - .offset:         150
        .size:           2
        .value_kind:     hidden_remainder_z
      - .offset:         168
        .size:           8
        .value_kind:     hidden_global_offset_x
      - .offset:         176
        .size:           8
        .value_kind:     hidden_global_offset_y
      - .offset:         184
        .size:           8
        .value_kind:     hidden_global_offset_z
      - .offset:         192
        .size:           2
        .value_kind:     hidden_grid_dims
    .group_segment_fixed_size: 0
    .kernarg_segment_align: 8
    .kernarg_segment_size: 384
    .language:       OpenCL C
    .language_version:
      - 2
      - 0
    .max_flat_workgroup_size: 1024
    .name:           _ZN4vllm38concat_and_cache_mla_rope_fused_kernelIffLb0EttLNS_18Fp8KVCacheDataTypeE0EEEvPKlPT_S5_PKS4_PKT0_illlliPT3_S3_iiiiPKf
    .private_segment_fixed_size: 0
    .sgpr_count:     45
    .sgpr_spill_count: 0
    .symbol:         _ZN4vllm38concat_and_cache_mla_rope_fused_kernelIffLb0EttLNS_18Fp8KVCacheDataTypeE0EEEvPKlPT_S5_PKS4_PKT0_illlliPT3_S3_iiiiPKf.kd
    .uniform_work_group_size: 1
    .uses_dynamic_stack: false
    .vgpr_count:     13
    .vgpr_spill_count: 0
    .wavefront_size: 32
    .workgroup_processor_mode: 1
  - .args:
      - .actual_access:  read_only
        .address_space:  global
        .offset:         0
        .size:           8
        .value_kind:     global_buffer
      - .address_space:  global
        .offset:         8
        .size:           8
        .value_kind:     global_buffer
      - .address_space:  global
        .offset:         16
        .size:           8
        .value_kind:     global_buffer
      - .actual_access:  read_only
        .address_space:  global
        .offset:         24
        .size:           8
        .value_kind:     global_buffer
      - .actual_access:  read_only
        .address_space:  global
        .offset:         32
        .size:           8
        .value_kind:     global_buffer
      - .offset:         40
        .size:           4
        .value_kind:     by_value
      - .offset:         48
        .size:           8
        .value_kind:     by_value
      - .offset:         56
        .size:           8
        .value_kind:     by_value
      - .offset:         64
        .size:           8
        .value_kind:     by_value
      - .offset:         72
        .size:           8
        .value_kind:     by_value
      - .offset:         80
        .size:           4
        .value_kind:     by_value
      - .actual_access:  write_only
        .address_space:  global
        .offset:         88
        .size:           8
        .value_kind:     global_buffer
      - .actual_access:  read_only
        .address_space:  global
        .offset:         96
        .size:           8
        .value_kind:     global_buffer
      - .offset:         104
        .size:           4
        .value_kind:     by_value
      - .offset:         108
        .size:           4
        .value_kind:     by_value
      - .offset:         112
        .size:           4
        .value_kind:     by_value
      - .offset:         116
        .size:           4
        .value_kind:     by_value
      - .address_space:  global
        .offset:         120
        .size:           8
        .value_kind:     global_buffer
      - .offset:         128
        .size:           4
        .value_kind:     hidden_block_count_x
      - .offset:         132
        .size:           4
        .value_kind:     hidden_block_count_y
      - .offset:         136
        .size:           4
        .value_kind:     hidden_block_count_z
      - .offset:         140
        .size:           2
        .value_kind:     hidden_group_size_x
      - .offset:         142
        .size:           2
        .value_kind:     hidden_group_size_y
      - .offset:         144
        .size:           2
        .value_kind:     hidden_group_size_z
      - .offset:         146
        .size:           2
        .value_kind:     hidden_remainder_x
      - .offset:         148
        .size:           2
        .value_kind:     hidden_remainder_y
      - .offset:         150
        .size:           2
        .value_kind:     hidden_remainder_z
      - .offset:         168
        .size:           8
        .value_kind:     hidden_global_offset_x
      - .offset:         176
        .size:           8
        .value_kind:     hidden_global_offset_y
      - .offset:         184
        .size:           8
        .value_kind:     hidden_global_offset_z
      - .offset:         192
        .size:           2
        .value_kind:     hidden_grid_dims
    .group_segment_fixed_size: 0
    .kernarg_segment_align: 8
    .kernarg_segment_size: 384
    .language:       OpenCL C
    .language_version:
      - 2
      - 0
    .max_flat_workgroup_size: 1024
    .name:           _ZN4vllm38concat_and_cache_mla_rope_fused_kernelIfN3c104HalfELb1EttLNS_18Fp8KVCacheDataTypeE0EEEvPKlPT_S7_PKS6_PKT0_illlliPT3_S5_iiiiPKf
    .private_segment_fixed_size: 0
    .sgpr_count:     48
    .sgpr_spill_count: 0
    .symbol:         _ZN4vllm38concat_and_cache_mla_rope_fused_kernelIfN3c104HalfELb1EttLNS_18Fp8KVCacheDataTypeE0EEEvPKlPT_S7_PKS6_PKT0_illlliPT3_S5_iiiiPKf.kd
    .uniform_work_group_size: 1
    .uses_dynamic_stack: false
    .vgpr_count:     17
    .vgpr_spill_count: 0
    .wavefront_size: 32
    .workgroup_processor_mode: 1
  - .args:
      - .actual_access:  read_only
        .address_space:  global
        .offset:         0
        .size:           8
        .value_kind:     global_buffer
      - .address_space:  global
        .offset:         8
        .size:           8
        .value_kind:     global_buffer
      - .address_space:  global
        .offset:         16
        .size:           8
        .value_kind:     global_buffer
      - .actual_access:  read_only
        .address_space:  global
        .offset:         24
        .size:           8
        .value_kind:     global_buffer
      - .actual_access:  read_only
        .address_space:  global
        .offset:         32
        .size:           8
        .value_kind:     global_buffer
      - .offset:         40
        .size:           4
        .value_kind:     by_value
      - .offset:         48
        .size:           8
        .value_kind:     by_value
      - .offset:         56
        .size:           8
        .value_kind:     by_value
      - .offset:         64
        .size:           8
        .value_kind:     by_value
      - .offset:         72
        .size:           8
        .value_kind:     by_value
      - .offset:         80
        .size:           4
        .value_kind:     by_value
      - .actual_access:  write_only
        .address_space:  global
        .offset:         88
        .size:           8
        .value_kind:     global_buffer
      - .actual_access:  read_only
        .address_space:  global
        .offset:         96
        .size:           8
        .value_kind:     global_buffer
      - .offset:         104
        .size:           4
        .value_kind:     by_value
      - .offset:         108
        .size:           4
        .value_kind:     by_value
      - .offset:         112
        .size:           4
        .value_kind:     by_value
      - .offset:         116
        .size:           4
        .value_kind:     by_value
      - .address_space:  global
        .offset:         120
        .size:           8
        .value_kind:     global_buffer
      - .offset:         128
        .size:           4
        .value_kind:     hidden_block_count_x
      - .offset:         132
        .size:           4
        .value_kind:     hidden_block_count_y
      - .offset:         136
        .size:           4
        .value_kind:     hidden_block_count_z
      - .offset:         140
        .size:           2
        .value_kind:     hidden_group_size_x
      - .offset:         142
        .size:           2
        .value_kind:     hidden_group_size_y
      - .offset:         144
        .size:           2
        .value_kind:     hidden_group_size_z
      - .offset:         146
        .size:           2
        .value_kind:     hidden_remainder_x
      - .offset:         148
        .size:           2
        .value_kind:     hidden_remainder_y
      - .offset:         150
        .size:           2
        .value_kind:     hidden_remainder_z
      - .offset:         168
        .size:           8
        .value_kind:     hidden_global_offset_x
      - .offset:         176
        .size:           8
        .value_kind:     hidden_global_offset_y
      - .offset:         184
        .size:           8
        .value_kind:     hidden_global_offset_z
      - .offset:         192
        .size:           2
        .value_kind:     hidden_grid_dims
    .group_segment_fixed_size: 0
    .kernarg_segment_align: 8
    .kernarg_segment_size: 384
    .language:       OpenCL C
    .language_version:
      - 2
      - 0
    .max_flat_workgroup_size: 1024
    .name:           _ZN4vllm38concat_and_cache_mla_rope_fused_kernelIfN3c104HalfELb0EttLNS_18Fp8KVCacheDataTypeE0EEEvPKlPT_S7_PKS6_PKT0_illlliPT3_S5_iiiiPKf
    .private_segment_fixed_size: 0
    .sgpr_count:     45
    .sgpr_spill_count: 0
    .symbol:         _ZN4vllm38concat_and_cache_mla_rope_fused_kernelIfN3c104HalfELb0EttLNS_18Fp8KVCacheDataTypeE0EEEvPKlPT_S7_PKS6_PKT0_illlliPT3_S5_iiiiPKf.kd
    .uniform_work_group_size: 1
    .uses_dynamic_stack: false
    .vgpr_count:     14
    .vgpr_spill_count: 0
    .wavefront_size: 32
    .workgroup_processor_mode: 1
  - .args:
      - .actual_access:  read_only
        .address_space:  global
        .offset:         0
        .size:           8
        .value_kind:     global_buffer
      - .address_space:  global
        .offset:         8
        .size:           8
        .value_kind:     global_buffer
      - .address_space:  global
        .offset:         16
        .size:           8
        .value_kind:     global_buffer
      - .actual_access:  read_only
        .address_space:  global
        .offset:         24
        .size:           8
        .value_kind:     global_buffer
      - .actual_access:  read_only
        .address_space:  global
        .offset:         32
        .size:           8
        .value_kind:     global_buffer
      - .offset:         40
        .size:           4
        .value_kind:     by_value
      - .offset:         48
        .size:           8
        .value_kind:     by_value
      - .offset:         56
        .size:           8
        .value_kind:     by_value
      - .offset:         64
        .size:           8
        .value_kind:     by_value
      - .offset:         72
        .size:           8
        .value_kind:     by_value
      - .offset:         80
        .size:           4
        .value_kind:     by_value
      - .actual_access:  write_only
        .address_space:  global
        .offset:         88
        .size:           8
        .value_kind:     global_buffer
      - .actual_access:  read_only
        .address_space:  global
        .offset:         96
        .size:           8
        .value_kind:     global_buffer
      - .offset:         104
        .size:           4
        .value_kind:     by_value
      - .offset:         108
        .size:           4
        .value_kind:     by_value
      - .offset:         112
        .size:           4
        .value_kind:     by_value
      - .offset:         116
        .size:           4
        .value_kind:     by_value
      - .address_space:  global
        .offset:         120
        .size:           8
        .value_kind:     global_buffer
      - .offset:         128
        .size:           4
        .value_kind:     hidden_block_count_x
      - .offset:         132
        .size:           4
        .value_kind:     hidden_block_count_y
      - .offset:         136
        .size:           4
        .value_kind:     hidden_block_count_z
      - .offset:         140
        .size:           2
        .value_kind:     hidden_group_size_x
      - .offset:         142
        .size:           2
        .value_kind:     hidden_group_size_y
      - .offset:         144
        .size:           2
        .value_kind:     hidden_group_size_z
      - .offset:         146
        .size:           2
        .value_kind:     hidden_remainder_x
      - .offset:         148
        .size:           2
        .value_kind:     hidden_remainder_y
      - .offset:         150
        .size:           2
        .value_kind:     hidden_remainder_z
      - .offset:         168
        .size:           8
        .value_kind:     hidden_global_offset_x
      - .offset:         176
        .size:           8
        .value_kind:     hidden_global_offset_y
      - .offset:         184
        .size:           8
        .value_kind:     hidden_global_offset_z
      - .offset:         192
        .size:           2
        .value_kind:     hidden_grid_dims
    .group_segment_fixed_size: 0
    .kernarg_segment_align: 8
    .kernarg_segment_size: 384
    .language:       OpenCL C
    .language_version:
      - 2
      - 0
    .max_flat_workgroup_size: 1024
    .name:           _ZN4vllm38concat_and_cache_mla_rope_fused_kernelIfN3c108BFloat16ELb1EttLNS_18Fp8KVCacheDataTypeE0EEEvPKlPT_S7_PKS6_PKT0_illlliPT3_S5_iiiiPKf
    .private_segment_fixed_size: 0
    .sgpr_count:     48
    .sgpr_spill_count: 0
    .symbol:         _ZN4vllm38concat_and_cache_mla_rope_fused_kernelIfN3c108BFloat16ELb1EttLNS_18Fp8KVCacheDataTypeE0EEEvPKlPT_S7_PKS6_PKT0_illlliPT3_S5_iiiiPKf.kd
    .uniform_work_group_size: 1
    .uses_dynamic_stack: false
    .vgpr_count:     16
    .vgpr_spill_count: 0
    .wavefront_size: 32
    .workgroup_processor_mode: 1
  - .args:
      - .actual_access:  read_only
        .address_space:  global
        .offset:         0
        .size:           8
        .value_kind:     global_buffer
      - .address_space:  global
        .offset:         8
        .size:           8
        .value_kind:     global_buffer
      - .address_space:  global
        .offset:         16
        .size:           8
        .value_kind:     global_buffer
      - .actual_access:  read_only
        .address_space:  global
        .offset:         24
        .size:           8
        .value_kind:     global_buffer
      - .actual_access:  read_only
        .address_space:  global
        .offset:         32
        .size:           8
        .value_kind:     global_buffer
      - .offset:         40
        .size:           4
        .value_kind:     by_value
      - .offset:         48
        .size:           8
        .value_kind:     by_value
      - .offset:         56
        .size:           8
        .value_kind:     by_value
      - .offset:         64
        .size:           8
        .value_kind:     by_value
      - .offset:         72
        .size:           8
        .value_kind:     by_value
      - .offset:         80
        .size:           4
        .value_kind:     by_value
      - .actual_access:  write_only
        .address_space:  global
        .offset:         88
        .size:           8
        .value_kind:     global_buffer
      - .actual_access:  read_only
        .address_space:  global
        .offset:         96
        .size:           8
        .value_kind:     global_buffer
      - .offset:         104
        .size:           4
        .value_kind:     by_value
      - .offset:         108
        .size:           4
        .value_kind:     by_value
      - .offset:         112
        .size:           4
        .value_kind:     by_value
      - .offset:         116
        .size:           4
        .value_kind:     by_value
      - .address_space:  global
        .offset:         120
        .size:           8
        .value_kind:     global_buffer
      - .offset:         128
        .size:           4
        .value_kind:     hidden_block_count_x
      - .offset:         132
        .size:           4
        .value_kind:     hidden_block_count_y
      - .offset:         136
        .size:           4
        .value_kind:     hidden_block_count_z
      - .offset:         140
        .size:           2
        .value_kind:     hidden_group_size_x
      - .offset:         142
        .size:           2
        .value_kind:     hidden_group_size_y
      - .offset:         144
        .size:           2
        .value_kind:     hidden_group_size_z
      - .offset:         146
        .size:           2
        .value_kind:     hidden_remainder_x
      - .offset:         148
        .size:           2
        .value_kind:     hidden_remainder_y
      - .offset:         150
        .size:           2
        .value_kind:     hidden_remainder_z
      - .offset:         168
        .size:           8
        .value_kind:     hidden_global_offset_x
      - .offset:         176
        .size:           8
        .value_kind:     hidden_global_offset_y
      - .offset:         184
        .size:           8
        .value_kind:     hidden_global_offset_z
      - .offset:         192
        .size:           2
        .value_kind:     hidden_grid_dims
    .group_segment_fixed_size: 0
    .kernarg_segment_align: 8
    .kernarg_segment_size: 384
    .language:       OpenCL C
    .language_version:
      - 2
      - 0
    .max_flat_workgroup_size: 1024
    .name:           _ZN4vllm38concat_and_cache_mla_rope_fused_kernelIfN3c108BFloat16ELb0EttLNS_18Fp8KVCacheDataTypeE0EEEvPKlPT_S7_PKS6_PKT0_illlliPT3_S5_iiiiPKf
    .private_segment_fixed_size: 0
    .sgpr_count:     45
    .sgpr_spill_count: 0
    .symbol:         _ZN4vllm38concat_and_cache_mla_rope_fused_kernelIfN3c108BFloat16ELb0EttLNS_18Fp8KVCacheDataTypeE0EEEvPKlPT_S7_PKS6_PKT0_illlliPT3_S5_iiiiPKf.kd
    .uniform_work_group_size: 1
    .uses_dynamic_stack: false
    .vgpr_count:     14
    .vgpr_spill_count: 0
    .wavefront_size: 32
    .workgroup_processor_mode: 1
  - .args:
      - .actual_access:  read_only
        .address_space:  global
        .offset:         0
        .size:           8
        .value_kind:     global_buffer
      - .address_space:  global
        .offset:         8
        .size:           8
        .value_kind:     global_buffer
      - .address_space:  global
        .offset:         16
        .size:           8
        .value_kind:     global_buffer
      - .actual_access:  read_only
        .address_space:  global
        .offset:         24
        .size:           8
        .value_kind:     global_buffer
      - .actual_access:  read_only
        .address_space:  global
        .offset:         32
        .size:           8
        .value_kind:     global_buffer
      - .offset:         40
        .size:           4
        .value_kind:     by_value
      - .offset:         48
        .size:           8
        .value_kind:     by_value
      - .offset:         56
        .size:           8
        .value_kind:     by_value
      - .offset:         64
        .size:           8
        .value_kind:     by_value
      - .offset:         72
        .size:           8
        .value_kind:     by_value
      - .offset:         80
        .size:           4
        .value_kind:     by_value
      - .actual_access:  write_only
        .address_space:  global
        .offset:         88
        .size:           8
        .value_kind:     global_buffer
      - .actual_access:  read_only
        .address_space:  global
        .offset:         96
        .size:           8
        .value_kind:     global_buffer
      - .offset:         104
        .size:           4
        .value_kind:     by_value
      - .offset:         108
        .size:           4
        .value_kind:     by_value
      - .offset:         112
        .size:           4
        .value_kind:     by_value
      - .offset:         116
        .size:           4
        .value_kind:     by_value
      - .address_space:  global
        .offset:         120
        .size:           8
        .value_kind:     global_buffer
      - .offset:         128
        .size:           4
        .value_kind:     hidden_block_count_x
      - .offset:         132
        .size:           4
        .value_kind:     hidden_block_count_y
      - .offset:         136
        .size:           4
        .value_kind:     hidden_block_count_z
      - .offset:         140
        .size:           2
        .value_kind:     hidden_group_size_x
      - .offset:         142
        .size:           2
        .value_kind:     hidden_group_size_y
      - .offset:         144
        .size:           2
        .value_kind:     hidden_group_size_z
      - .offset:         146
        .size:           2
        .value_kind:     hidden_remainder_x
      - .offset:         148
        .size:           2
        .value_kind:     hidden_remainder_y
      - .offset:         150
        .size:           2
        .value_kind:     hidden_remainder_z
      - .offset:         168
        .size:           8
        .value_kind:     hidden_global_offset_x
      - .offset:         176
        .size:           8
        .value_kind:     hidden_global_offset_y
      - .offset:         184
        .size:           8
        .value_kind:     hidden_global_offset_z
      - .offset:         192
        .size:           2
        .value_kind:     hidden_grid_dims
    .group_segment_fixed_size: 0
    .kernarg_segment_align: 8
    .kernarg_segment_size: 384
    .language:       OpenCL C
    .language_version:
      - 2
      - 0
    .max_flat_workgroup_size: 1024
    .name:           _ZN4vllm38concat_and_cache_mla_rope_fused_kernelIN3c104HalfEfLb1EttLNS_18Fp8KVCacheDataTypeE0EEEvPKlPT_S7_PKS6_PKT0_illlliPT3_S5_iiiiPKf
    .private_segment_fixed_size: 0
    .sgpr_count:     48
    .sgpr_spill_count: 0
    .symbol:         _ZN4vllm38concat_and_cache_mla_rope_fused_kernelIN3c104HalfEfLb1EttLNS_18Fp8KVCacheDataTypeE0EEEvPKlPT_S7_PKS6_PKT0_illlliPT3_S5_iiiiPKf.kd
    .uniform_work_group_size: 1
    .uses_dynamic_stack: false
    .vgpr_count:     18
    .vgpr_spill_count: 0
    .wavefront_size: 32
    .workgroup_processor_mode: 1
  - .args:
      - .actual_access:  read_only
        .address_space:  global
        .offset:         0
        .size:           8
        .value_kind:     global_buffer
      - .address_space:  global
        .offset:         8
        .size:           8
        .value_kind:     global_buffer
      - .address_space:  global
        .offset:         16
        .size:           8
        .value_kind:     global_buffer
      - .actual_access:  read_only
        .address_space:  global
        .offset:         24
        .size:           8
        .value_kind:     global_buffer
      - .actual_access:  read_only
        .address_space:  global
        .offset:         32
        .size:           8
        .value_kind:     global_buffer
      - .offset:         40
        .size:           4
        .value_kind:     by_value
      - .offset:         48
        .size:           8
        .value_kind:     by_value
      - .offset:         56
        .size:           8
        .value_kind:     by_value
      - .offset:         64
        .size:           8
        .value_kind:     by_value
      - .offset:         72
        .size:           8
        .value_kind:     by_value
      - .offset:         80
        .size:           4
        .value_kind:     by_value
      - .actual_access:  write_only
        .address_space:  global
        .offset:         88
        .size:           8
        .value_kind:     global_buffer
      - .actual_access:  read_only
        .address_space:  global
        .offset:         96
        .size:           8
        .value_kind:     global_buffer
      - .offset:         104
        .size:           4
        .value_kind:     by_value
      - .offset:         108
        .size:           4
        .value_kind:     by_value
      - .offset:         112
        .size:           4
        .value_kind:     by_value
      - .offset:         116
        .size:           4
        .value_kind:     by_value
      - .address_space:  global
        .offset:         120
        .size:           8
        .value_kind:     global_buffer
      - .offset:         128
        .size:           4
        .value_kind:     hidden_block_count_x
      - .offset:         132
        .size:           4
        .value_kind:     hidden_block_count_y
      - .offset:         136
        .size:           4
        .value_kind:     hidden_block_count_z
      - .offset:         140
        .size:           2
        .value_kind:     hidden_group_size_x
      - .offset:         142
        .size:           2
        .value_kind:     hidden_group_size_y
      - .offset:         144
        .size:           2
        .value_kind:     hidden_group_size_z
      - .offset:         146
        .size:           2
        .value_kind:     hidden_remainder_x
      - .offset:         148
        .size:           2
        .value_kind:     hidden_remainder_y
      - .offset:         150
        .size:           2
        .value_kind:     hidden_remainder_z
      - .offset:         168
        .size:           8
        .value_kind:     hidden_global_offset_x
      - .offset:         176
        .size:           8
        .value_kind:     hidden_global_offset_y
      - .offset:         184
        .size:           8
        .value_kind:     hidden_global_offset_z
      - .offset:         192
        .size:           2
        .value_kind:     hidden_grid_dims
    .group_segment_fixed_size: 0
    .kernarg_segment_align: 8
    .kernarg_segment_size: 384
    .language:       OpenCL C
    .language_version:
      - 2
      - 0
    .max_flat_workgroup_size: 1024
    .name:           _ZN4vllm38concat_and_cache_mla_rope_fused_kernelIN3c104HalfEfLb0EttLNS_18Fp8KVCacheDataTypeE0EEEvPKlPT_S7_PKS6_PKT0_illlliPT3_S5_iiiiPKf
    .private_segment_fixed_size: 0
    .sgpr_count:     45
    .sgpr_spill_count: 0
    .symbol:         _ZN4vllm38concat_and_cache_mla_rope_fused_kernelIN3c104HalfEfLb0EttLNS_18Fp8KVCacheDataTypeE0EEEvPKlPT_S7_PKS6_PKT0_illlliPT3_S5_iiiiPKf.kd
    .uniform_work_group_size: 1
    .uses_dynamic_stack: false
    .vgpr_count:     18
    .vgpr_spill_count: 0
    .wavefront_size: 32
    .workgroup_processor_mode: 1
  - .args:
      - .actual_access:  read_only
        .address_space:  global
        .offset:         0
        .size:           8
        .value_kind:     global_buffer
      - .address_space:  global
        .offset:         8
        .size:           8
        .value_kind:     global_buffer
      - .address_space:  global
        .offset:         16
        .size:           8
        .value_kind:     global_buffer
      - .actual_access:  read_only
        .address_space:  global
        .offset:         24
        .size:           8
        .value_kind:     global_buffer
      - .actual_access:  read_only
        .address_space:  global
        .offset:         32
        .size:           8
        .value_kind:     global_buffer
      - .offset:         40
        .size:           4
        .value_kind:     by_value
      - .offset:         48
        .size:           8
        .value_kind:     by_value
      - .offset:         56
        .size:           8
        .value_kind:     by_value
      - .offset:         64
        .size:           8
        .value_kind:     by_value
      - .offset:         72
        .size:           8
        .value_kind:     by_value
      - .offset:         80
        .size:           4
        .value_kind:     by_value
      - .actual_access:  write_only
        .address_space:  global
        .offset:         88
        .size:           8
        .value_kind:     global_buffer
      - .actual_access:  read_only
        .address_space:  global
        .offset:         96
        .size:           8
        .value_kind:     global_buffer
      - .offset:         104
        .size:           4
        .value_kind:     by_value
      - .offset:         108
        .size:           4
        .value_kind:     by_value
      - .offset:         112
        .size:           4
        .value_kind:     by_value
      - .offset:         116
        .size:           4
        .value_kind:     by_value
      - .address_space:  global
        .offset:         120
        .size:           8
        .value_kind:     global_buffer
      - .offset:         128
        .size:           4
        .value_kind:     hidden_block_count_x
      - .offset:         132
        .size:           4
        .value_kind:     hidden_block_count_y
      - .offset:         136
        .size:           4
        .value_kind:     hidden_block_count_z
      - .offset:         140
        .size:           2
        .value_kind:     hidden_group_size_x
      - .offset:         142
        .size:           2
        .value_kind:     hidden_group_size_y
      - .offset:         144
        .size:           2
        .value_kind:     hidden_group_size_z
      - .offset:         146
        .size:           2
        .value_kind:     hidden_remainder_x
      - .offset:         148
        .size:           2
        .value_kind:     hidden_remainder_y
      - .offset:         150
        .size:           2
        .value_kind:     hidden_remainder_z
      - .offset:         168
        .size:           8
        .value_kind:     hidden_global_offset_x
      - .offset:         176
        .size:           8
        .value_kind:     hidden_global_offset_y
      - .offset:         184
        .size:           8
        .value_kind:     hidden_global_offset_z
      - .offset:         192
        .size:           2
        .value_kind:     hidden_grid_dims
    .group_segment_fixed_size: 0
    .kernarg_segment_align: 8
    .kernarg_segment_size: 384
    .language:       OpenCL C
    .language_version:
      - 2
      - 0
    .max_flat_workgroup_size: 1024
    .name:           _ZN4vllm38concat_and_cache_mla_rope_fused_kernelIN3c104HalfES2_Lb1EttLNS_18Fp8KVCacheDataTypeE0EEEvPKlPT_S7_PKS6_PKT0_illlliPT3_S5_iiiiPKf
    .private_segment_fixed_size: 0
    .sgpr_count:     48
    .sgpr_spill_count: 0
    .symbol:         _ZN4vllm38concat_and_cache_mla_rope_fused_kernelIN3c104HalfES2_Lb1EttLNS_18Fp8KVCacheDataTypeE0EEEvPKlPT_S7_PKS6_PKT0_illlliPT3_S5_iiiiPKf.kd
    .uniform_work_group_size: 1
    .uses_dynamic_stack: false
    .vgpr_count:     16
    .vgpr_spill_count: 0
    .wavefront_size: 32
    .workgroup_processor_mode: 1
  - .args:
      - .actual_access:  read_only
        .address_space:  global
        .offset:         0
        .size:           8
        .value_kind:     global_buffer
      - .address_space:  global
        .offset:         8
        .size:           8
        .value_kind:     global_buffer
      - .address_space:  global
        .offset:         16
        .size:           8
        .value_kind:     global_buffer
      - .actual_access:  read_only
        .address_space:  global
        .offset:         24
        .size:           8
        .value_kind:     global_buffer
      - .actual_access:  read_only
        .address_space:  global
        .offset:         32
        .size:           8
        .value_kind:     global_buffer
      - .offset:         40
        .size:           4
        .value_kind:     by_value
      - .offset:         48
        .size:           8
        .value_kind:     by_value
      - .offset:         56
        .size:           8
        .value_kind:     by_value
      - .offset:         64
        .size:           8
        .value_kind:     by_value
      - .offset:         72
        .size:           8
        .value_kind:     by_value
      - .offset:         80
        .size:           4
        .value_kind:     by_value
      - .actual_access:  write_only
        .address_space:  global
        .offset:         88
        .size:           8
        .value_kind:     global_buffer
      - .actual_access:  read_only
        .address_space:  global
        .offset:         96
        .size:           8
        .value_kind:     global_buffer
      - .offset:         104
        .size:           4
        .value_kind:     by_value
      - .offset:         108
        .size:           4
        .value_kind:     by_value
      - .offset:         112
        .size:           4
        .value_kind:     by_value
      - .offset:         116
        .size:           4
        .value_kind:     by_value
      - .address_space:  global
        .offset:         120
        .size:           8
        .value_kind:     global_buffer
      - .offset:         128
        .size:           4
        .value_kind:     hidden_block_count_x
      - .offset:         132
        .size:           4
        .value_kind:     hidden_block_count_y
      - .offset:         136
        .size:           4
        .value_kind:     hidden_block_count_z
      - .offset:         140
        .size:           2
        .value_kind:     hidden_group_size_x
      - .offset:         142
        .size:           2
        .value_kind:     hidden_group_size_y
      - .offset:         144
        .size:           2
        .value_kind:     hidden_group_size_z
      - .offset:         146
        .size:           2
        .value_kind:     hidden_remainder_x
      - .offset:         148
        .size:           2
        .value_kind:     hidden_remainder_y
      - .offset:         150
        .size:           2
        .value_kind:     hidden_remainder_z
      - .offset:         168
        .size:           8
        .value_kind:     hidden_global_offset_x
      - .offset:         176
        .size:           8
        .value_kind:     hidden_global_offset_y
      - .offset:         184
        .size:           8
        .value_kind:     hidden_global_offset_z
      - .offset:         192
        .size:           2
        .value_kind:     hidden_grid_dims
    .group_segment_fixed_size: 0
    .kernarg_segment_align: 8
    .kernarg_segment_size: 384
    .language:       OpenCL C
    .language_version:
      - 2
      - 0
    .max_flat_workgroup_size: 1024
    .name:           _ZN4vllm38concat_and_cache_mla_rope_fused_kernelIN3c104HalfES2_Lb0EttLNS_18Fp8KVCacheDataTypeE0EEEvPKlPT_S7_PKS6_PKT0_illlliPT3_S5_iiiiPKf
    .private_segment_fixed_size: 0
    .sgpr_count:     45
    .sgpr_spill_count: 0
    .symbol:         _ZN4vllm38concat_and_cache_mla_rope_fused_kernelIN3c104HalfES2_Lb0EttLNS_18Fp8KVCacheDataTypeE0EEEvPKlPT_S7_PKS6_PKT0_illlliPT3_S5_iiiiPKf.kd
    .uniform_work_group_size: 1
    .uses_dynamic_stack: false
    .vgpr_count:     17
    .vgpr_spill_count: 0
    .wavefront_size: 32
    .workgroup_processor_mode: 1
  - .args:
      - .actual_access:  read_only
        .address_space:  global
        .offset:         0
        .size:           8
        .value_kind:     global_buffer
      - .address_space:  global
        .offset:         8
        .size:           8
        .value_kind:     global_buffer
      - .address_space:  global
        .offset:         16
        .size:           8
        .value_kind:     global_buffer
      - .actual_access:  read_only
        .address_space:  global
        .offset:         24
        .size:           8
        .value_kind:     global_buffer
      - .actual_access:  read_only
        .address_space:  global
        .offset:         32
        .size:           8
        .value_kind:     global_buffer
      - .offset:         40
        .size:           4
        .value_kind:     by_value
      - .offset:         48
        .size:           8
        .value_kind:     by_value
      - .offset:         56
        .size:           8
        .value_kind:     by_value
      - .offset:         64
        .size:           8
        .value_kind:     by_value
      - .offset:         72
        .size:           8
        .value_kind:     by_value
      - .offset:         80
        .size:           4
        .value_kind:     by_value
      - .actual_access:  write_only
        .address_space:  global
        .offset:         88
        .size:           8
        .value_kind:     global_buffer
      - .actual_access:  read_only
        .address_space:  global
        .offset:         96
        .size:           8
        .value_kind:     global_buffer
      - .offset:         104
        .size:           4
        .value_kind:     by_value
      - .offset:         108
        .size:           4
        .value_kind:     by_value
      - .offset:         112
        .size:           4
        .value_kind:     by_value
      - .offset:         116
        .size:           4
        .value_kind:     by_value
      - .address_space:  global
        .offset:         120
        .size:           8
        .value_kind:     global_buffer
      - .offset:         128
        .size:           4
        .value_kind:     hidden_block_count_x
      - .offset:         132
        .size:           4
        .value_kind:     hidden_block_count_y
      - .offset:         136
        .size:           4
        .value_kind:     hidden_block_count_z
      - .offset:         140
        .size:           2
        .value_kind:     hidden_group_size_x
      - .offset:         142
        .size:           2
        .value_kind:     hidden_group_size_y
      - .offset:         144
        .size:           2
        .value_kind:     hidden_group_size_z
      - .offset:         146
        .size:           2
        .value_kind:     hidden_remainder_x
      - .offset:         148
        .size:           2
        .value_kind:     hidden_remainder_y
      - .offset:         150
        .size:           2
        .value_kind:     hidden_remainder_z
      - .offset:         168
        .size:           8
        .value_kind:     hidden_global_offset_x
      - .offset:         176
        .size:           8
        .value_kind:     hidden_global_offset_y
      - .offset:         184
        .size:           8
        .value_kind:     hidden_global_offset_z
      - .offset:         192
        .size:           2
        .value_kind:     hidden_grid_dims
    .group_segment_fixed_size: 0
    .kernarg_segment_align: 8
    .kernarg_segment_size: 384
    .language:       OpenCL C
    .language_version:
      - 2
      - 0
    .max_flat_workgroup_size: 1024
    .name:           _ZN4vllm38concat_and_cache_mla_rope_fused_kernelIN3c104HalfENS1_8BFloat16ELb1EttLNS_18Fp8KVCacheDataTypeE0EEEvPKlPT_S8_PKS7_PKT0_illlliPT3_S6_iiiiPKf
    .private_segment_fixed_size: 0
    .sgpr_count:     48
    .sgpr_spill_count: 0
    .symbol:         _ZN4vllm38concat_and_cache_mla_rope_fused_kernelIN3c104HalfENS1_8BFloat16ELb1EttLNS_18Fp8KVCacheDataTypeE0EEEvPKlPT_S8_PKS7_PKT0_illlliPT3_S6_iiiiPKf.kd
    .uniform_work_group_size: 1
    .uses_dynamic_stack: false
    .vgpr_count:     16
    .vgpr_spill_count: 0
    .wavefront_size: 32
    .workgroup_processor_mode: 1
  - .args:
      - .actual_access:  read_only
        .address_space:  global
        .offset:         0
        .size:           8
        .value_kind:     global_buffer
      - .address_space:  global
        .offset:         8
        .size:           8
        .value_kind:     global_buffer
      - .address_space:  global
        .offset:         16
        .size:           8
        .value_kind:     global_buffer
      - .actual_access:  read_only
        .address_space:  global
        .offset:         24
        .size:           8
        .value_kind:     global_buffer
      - .actual_access:  read_only
        .address_space:  global
        .offset:         32
        .size:           8
        .value_kind:     global_buffer
      - .offset:         40
        .size:           4
        .value_kind:     by_value
      - .offset:         48
        .size:           8
        .value_kind:     by_value
      - .offset:         56
        .size:           8
        .value_kind:     by_value
      - .offset:         64
        .size:           8
        .value_kind:     by_value
      - .offset:         72
        .size:           8
        .value_kind:     by_value
      - .offset:         80
        .size:           4
        .value_kind:     by_value
      - .actual_access:  write_only
        .address_space:  global
        .offset:         88
        .size:           8
        .value_kind:     global_buffer
      - .actual_access:  read_only
        .address_space:  global
        .offset:         96
        .size:           8
        .value_kind:     global_buffer
      - .offset:         104
        .size:           4
        .value_kind:     by_value
      - .offset:         108
        .size:           4
        .value_kind:     by_value
      - .offset:         112
        .size:           4
        .value_kind:     by_value
      - .offset:         116
        .size:           4
        .value_kind:     by_value
      - .address_space:  global
        .offset:         120
        .size:           8
        .value_kind:     global_buffer
      - .offset:         128
        .size:           4
        .value_kind:     hidden_block_count_x
      - .offset:         132
        .size:           4
        .value_kind:     hidden_block_count_y
      - .offset:         136
        .size:           4
        .value_kind:     hidden_block_count_z
      - .offset:         140
        .size:           2
        .value_kind:     hidden_group_size_x
      - .offset:         142
        .size:           2
        .value_kind:     hidden_group_size_y
      - .offset:         144
        .size:           2
        .value_kind:     hidden_group_size_z
      - .offset:         146
        .size:           2
        .value_kind:     hidden_remainder_x
      - .offset:         148
        .size:           2
        .value_kind:     hidden_remainder_y
      - .offset:         150
        .size:           2
        .value_kind:     hidden_remainder_z
      - .offset:         168
        .size:           8
        .value_kind:     hidden_global_offset_x
      - .offset:         176
        .size:           8
        .value_kind:     hidden_global_offset_y
      - .offset:         184
        .size:           8
        .value_kind:     hidden_global_offset_z
      - .offset:         192
        .size:           2
        .value_kind:     hidden_grid_dims
    .group_segment_fixed_size: 0
    .kernarg_segment_align: 8
    .kernarg_segment_size: 384
    .language:       OpenCL C
    .language_version:
      - 2
      - 0
    .max_flat_workgroup_size: 1024
    .name:           _ZN4vllm38concat_and_cache_mla_rope_fused_kernelIN3c104HalfENS1_8BFloat16ELb0EttLNS_18Fp8KVCacheDataTypeE0EEEvPKlPT_S8_PKS7_PKT0_illlliPT3_S6_iiiiPKf
    .private_segment_fixed_size: 0
    .sgpr_count:     45
    .sgpr_spill_count: 0
    .symbol:         _ZN4vllm38concat_and_cache_mla_rope_fused_kernelIN3c104HalfENS1_8BFloat16ELb0EttLNS_18Fp8KVCacheDataTypeE0EEEvPKlPT_S8_PKS7_PKT0_illlliPT3_S6_iiiiPKf.kd
    .uniform_work_group_size: 1
    .uses_dynamic_stack: false
    .vgpr_count:     17
    .vgpr_spill_count: 0
    .wavefront_size: 32
    .workgroup_processor_mode: 1
  - .args:
      - .actual_access:  read_only
        .address_space:  global
        .offset:         0
        .size:           8
        .value_kind:     global_buffer
      - .address_space:  global
        .offset:         8
        .size:           8
        .value_kind:     global_buffer
      - .address_space:  global
        .offset:         16
        .size:           8
        .value_kind:     global_buffer
      - .actual_access:  read_only
        .address_space:  global
        .offset:         24
        .size:           8
        .value_kind:     global_buffer
      - .actual_access:  read_only
        .address_space:  global
        .offset:         32
        .size:           8
        .value_kind:     global_buffer
      - .offset:         40
        .size:           4
        .value_kind:     by_value
      - .offset:         48
        .size:           8
        .value_kind:     by_value
      - .offset:         56
        .size:           8
        .value_kind:     by_value
      - .offset:         64
        .size:           8
        .value_kind:     by_value
      - .offset:         72
        .size:           8
        .value_kind:     by_value
      - .offset:         80
        .size:           4
        .value_kind:     by_value
      - .actual_access:  write_only
        .address_space:  global
        .offset:         88
        .size:           8
        .value_kind:     global_buffer
      - .actual_access:  read_only
        .address_space:  global
        .offset:         96
        .size:           8
        .value_kind:     global_buffer
      - .offset:         104
        .size:           4
        .value_kind:     by_value
      - .offset:         108
        .size:           4
        .value_kind:     by_value
      - .offset:         112
        .size:           4
        .value_kind:     by_value
      - .offset:         116
        .size:           4
        .value_kind:     by_value
      - .address_space:  global
        .offset:         120
        .size:           8
        .value_kind:     global_buffer
      - .offset:         128
        .size:           4
        .value_kind:     hidden_block_count_x
      - .offset:         132
        .size:           4
        .value_kind:     hidden_block_count_y
      - .offset:         136
        .size:           4
        .value_kind:     hidden_block_count_z
      - .offset:         140
        .size:           2
        .value_kind:     hidden_group_size_x
      - .offset:         142
        .size:           2
        .value_kind:     hidden_group_size_y
      - .offset:         144
        .size:           2
        .value_kind:     hidden_group_size_z
      - .offset:         146
        .size:           2
        .value_kind:     hidden_remainder_x
      - .offset:         148
        .size:           2
        .value_kind:     hidden_remainder_y
      - .offset:         150
        .size:           2
        .value_kind:     hidden_remainder_z
      - .offset:         168
        .size:           8
        .value_kind:     hidden_global_offset_x
      - .offset:         176
        .size:           8
        .value_kind:     hidden_global_offset_y
      - .offset:         184
        .size:           8
        .value_kind:     hidden_global_offset_z
      - .offset:         192
        .size:           2
        .value_kind:     hidden_grid_dims
    .group_segment_fixed_size: 0
    .kernarg_segment_align: 8
    .kernarg_segment_size: 384
    .language:       OpenCL C
    .language_version:
      - 2
      - 0
    .max_flat_workgroup_size: 1024
    .name:           _ZN4vllm38concat_and_cache_mla_rope_fused_kernelIN3c108BFloat16EfLb1EttLNS_18Fp8KVCacheDataTypeE0EEEvPKlPT_S7_PKS6_PKT0_illlliPT3_S5_iiiiPKf
    .private_segment_fixed_size: 0
    .sgpr_count:     48
    .sgpr_spill_count: 0
    .symbol:         _ZN4vllm38concat_and_cache_mla_rope_fused_kernelIN3c108BFloat16EfLb1EttLNS_18Fp8KVCacheDataTypeE0EEEvPKlPT_S7_PKS6_PKT0_illlliPT3_S5_iiiiPKf.kd
    .uniform_work_group_size: 1
    .uses_dynamic_stack: false
    .vgpr_count:     21
    .vgpr_spill_count: 0
    .wavefront_size: 32
    .workgroup_processor_mode: 1
  - .args:
      - .actual_access:  read_only
        .address_space:  global
        .offset:         0
        .size:           8
        .value_kind:     global_buffer
      - .address_space:  global
        .offset:         8
        .size:           8
        .value_kind:     global_buffer
      - .address_space:  global
        .offset:         16
        .size:           8
        .value_kind:     global_buffer
      - .actual_access:  read_only
        .address_space:  global
        .offset:         24
        .size:           8
        .value_kind:     global_buffer
      - .actual_access:  read_only
        .address_space:  global
        .offset:         32
        .size:           8
        .value_kind:     global_buffer
      - .offset:         40
        .size:           4
        .value_kind:     by_value
      - .offset:         48
        .size:           8
        .value_kind:     by_value
      - .offset:         56
        .size:           8
        .value_kind:     by_value
      - .offset:         64
        .size:           8
        .value_kind:     by_value
      - .offset:         72
        .size:           8
        .value_kind:     by_value
      - .offset:         80
        .size:           4
        .value_kind:     by_value
      - .actual_access:  write_only
        .address_space:  global
        .offset:         88
        .size:           8
        .value_kind:     global_buffer
      - .actual_access:  read_only
        .address_space:  global
        .offset:         96
        .size:           8
        .value_kind:     global_buffer
      - .offset:         104
        .size:           4
        .value_kind:     by_value
      - .offset:         108
        .size:           4
        .value_kind:     by_value
      - .offset:         112
        .size:           4
        .value_kind:     by_value
      - .offset:         116
        .size:           4
        .value_kind:     by_value
      - .address_space:  global
        .offset:         120
        .size:           8
        .value_kind:     global_buffer
      - .offset:         128
        .size:           4
        .value_kind:     hidden_block_count_x
      - .offset:         132
        .size:           4
        .value_kind:     hidden_block_count_y
      - .offset:         136
        .size:           4
        .value_kind:     hidden_block_count_z
      - .offset:         140
        .size:           2
        .value_kind:     hidden_group_size_x
      - .offset:         142
        .size:           2
        .value_kind:     hidden_group_size_y
      - .offset:         144
        .size:           2
        .value_kind:     hidden_group_size_z
      - .offset:         146
        .size:           2
        .value_kind:     hidden_remainder_x
      - .offset:         148
        .size:           2
        .value_kind:     hidden_remainder_y
      - .offset:         150
        .size:           2
        .value_kind:     hidden_remainder_z
      - .offset:         168
        .size:           8
        .value_kind:     hidden_global_offset_x
      - .offset:         176
        .size:           8
        .value_kind:     hidden_global_offset_y
      - .offset:         184
        .size:           8
        .value_kind:     hidden_global_offset_z
      - .offset:         192
        .size:           2
        .value_kind:     hidden_grid_dims
    .group_segment_fixed_size: 0
    .kernarg_segment_align: 8
    .kernarg_segment_size: 384
    .language:       OpenCL C
    .language_version:
      - 2
      - 0
    .max_flat_workgroup_size: 1024
    .name:           _ZN4vllm38concat_and_cache_mla_rope_fused_kernelIN3c108BFloat16EfLb0EttLNS_18Fp8KVCacheDataTypeE0EEEvPKlPT_S7_PKS6_PKT0_illlliPT3_S5_iiiiPKf
    .private_segment_fixed_size: 0
    .sgpr_count:     45
    .sgpr_spill_count: 0
    .symbol:         _ZN4vllm38concat_and_cache_mla_rope_fused_kernelIN3c108BFloat16EfLb0EttLNS_18Fp8KVCacheDataTypeE0EEEvPKlPT_S7_PKS6_PKT0_illlliPT3_S5_iiiiPKf.kd
    .uniform_work_group_size: 1
    .uses_dynamic_stack: false
    .vgpr_count:     20
    .vgpr_spill_count: 0
    .wavefront_size: 32
    .workgroup_processor_mode: 1
  - .args:
      - .actual_access:  read_only
        .address_space:  global
        .offset:         0
        .size:           8
        .value_kind:     global_buffer
      - .address_space:  global
        .offset:         8
        .size:           8
        .value_kind:     global_buffer
      - .address_space:  global
        .offset:         16
        .size:           8
        .value_kind:     global_buffer
      - .actual_access:  read_only
        .address_space:  global
        .offset:         24
        .size:           8
        .value_kind:     global_buffer
      - .actual_access:  read_only
        .address_space:  global
        .offset:         32
        .size:           8
        .value_kind:     global_buffer
      - .offset:         40
        .size:           4
        .value_kind:     by_value
      - .offset:         48
        .size:           8
        .value_kind:     by_value
      - .offset:         56
        .size:           8
        .value_kind:     by_value
      - .offset:         64
        .size:           8
        .value_kind:     by_value
      - .offset:         72
        .size:           8
        .value_kind:     by_value
      - .offset:         80
        .size:           4
        .value_kind:     by_value
      - .actual_access:  write_only
        .address_space:  global
        .offset:         88
        .size:           8
        .value_kind:     global_buffer
      - .actual_access:  read_only
        .address_space:  global
        .offset:         96
        .size:           8
        .value_kind:     global_buffer
      - .offset:         104
        .size:           4
        .value_kind:     by_value
      - .offset:         108
        .size:           4
        .value_kind:     by_value
      - .offset:         112
        .size:           4
        .value_kind:     by_value
      - .offset:         116
        .size:           4
        .value_kind:     by_value
      - .address_space:  global
        .offset:         120
        .size:           8
        .value_kind:     global_buffer
      - .offset:         128
        .size:           4
        .value_kind:     hidden_block_count_x
      - .offset:         132
        .size:           4
        .value_kind:     hidden_block_count_y
      - .offset:         136
        .size:           4
        .value_kind:     hidden_block_count_z
      - .offset:         140
        .size:           2
        .value_kind:     hidden_group_size_x
      - .offset:         142
        .size:           2
        .value_kind:     hidden_group_size_y
      - .offset:         144
        .size:           2
        .value_kind:     hidden_group_size_z
      - .offset:         146
        .size:           2
        .value_kind:     hidden_remainder_x
      - .offset:         148
        .size:           2
        .value_kind:     hidden_remainder_y
      - .offset:         150
        .size:           2
        .value_kind:     hidden_remainder_z
      - .offset:         168
        .size:           8
        .value_kind:     hidden_global_offset_x
      - .offset:         176
        .size:           8
        .value_kind:     hidden_global_offset_y
      - .offset:         184
        .size:           8
        .value_kind:     hidden_global_offset_z
      - .offset:         192
        .size:           2
        .value_kind:     hidden_grid_dims
    .group_segment_fixed_size: 0
    .kernarg_segment_align: 8
    .kernarg_segment_size: 384
    .language:       OpenCL C
    .language_version:
      - 2
      - 0
    .max_flat_workgroup_size: 1024
    .name:           _ZN4vllm38concat_and_cache_mla_rope_fused_kernelIN3c108BFloat16ENS1_4HalfELb1EttLNS_18Fp8KVCacheDataTypeE0EEEvPKlPT_S8_PKS7_PKT0_illlliPT3_S6_iiiiPKf
    .private_segment_fixed_size: 0
    .sgpr_count:     48
    .sgpr_spill_count: 0
    .symbol:         _ZN4vllm38concat_and_cache_mla_rope_fused_kernelIN3c108BFloat16ENS1_4HalfELb1EttLNS_18Fp8KVCacheDataTypeE0EEEvPKlPT_S8_PKS7_PKT0_illlliPT3_S6_iiiiPKf.kd
    .uniform_work_group_size: 1
    .uses_dynamic_stack: false
    .vgpr_count:     19
    .vgpr_spill_count: 0
    .wavefront_size: 32
    .workgroup_processor_mode: 1
  - .args:
      - .actual_access:  read_only
        .address_space:  global
        .offset:         0
        .size:           8
        .value_kind:     global_buffer
      - .address_space:  global
        .offset:         8
        .size:           8
        .value_kind:     global_buffer
      - .address_space:  global
        .offset:         16
        .size:           8
        .value_kind:     global_buffer
      - .actual_access:  read_only
        .address_space:  global
        .offset:         24
        .size:           8
        .value_kind:     global_buffer
      - .actual_access:  read_only
        .address_space:  global
        .offset:         32
        .size:           8
        .value_kind:     global_buffer
      - .offset:         40
        .size:           4
        .value_kind:     by_value
      - .offset:         48
        .size:           8
        .value_kind:     by_value
      - .offset:         56
        .size:           8
        .value_kind:     by_value
      - .offset:         64
        .size:           8
        .value_kind:     by_value
      - .offset:         72
        .size:           8
        .value_kind:     by_value
      - .offset:         80
        .size:           4
        .value_kind:     by_value
      - .actual_access:  write_only
        .address_space:  global
        .offset:         88
        .size:           8
        .value_kind:     global_buffer
      - .actual_access:  read_only
        .address_space:  global
        .offset:         96
        .size:           8
        .value_kind:     global_buffer
      - .offset:         104
        .size:           4
        .value_kind:     by_value
      - .offset:         108
        .size:           4
        .value_kind:     by_value
      - .offset:         112
        .size:           4
        .value_kind:     by_value
      - .offset:         116
        .size:           4
        .value_kind:     by_value
      - .address_space:  global
        .offset:         120
        .size:           8
        .value_kind:     global_buffer
      - .offset:         128
        .size:           4
        .value_kind:     hidden_block_count_x
      - .offset:         132
        .size:           4
        .value_kind:     hidden_block_count_y
      - .offset:         136
        .size:           4
        .value_kind:     hidden_block_count_z
      - .offset:         140
        .size:           2
        .value_kind:     hidden_group_size_x
      - .offset:         142
        .size:           2
        .value_kind:     hidden_group_size_y
      - .offset:         144
        .size:           2
        .value_kind:     hidden_group_size_z
      - .offset:         146
        .size:           2
        .value_kind:     hidden_remainder_x
      - .offset:         148
        .size:           2
        .value_kind:     hidden_remainder_y
      - .offset:         150
        .size:           2
        .value_kind:     hidden_remainder_z
      - .offset:         168
        .size:           8
        .value_kind:     hidden_global_offset_x
      - .offset:         176
        .size:           8
        .value_kind:     hidden_global_offset_y
      - .offset:         184
        .size:           8
        .value_kind:     hidden_global_offset_z
      - .offset:         192
        .size:           2
        .value_kind:     hidden_grid_dims
    .group_segment_fixed_size: 0
    .kernarg_segment_align: 8
    .kernarg_segment_size: 384
    .language:       OpenCL C
    .language_version:
      - 2
      - 0
    .max_flat_workgroup_size: 1024
    .name:           _ZN4vllm38concat_and_cache_mla_rope_fused_kernelIN3c108BFloat16ENS1_4HalfELb0EttLNS_18Fp8KVCacheDataTypeE0EEEvPKlPT_S8_PKS7_PKT0_illlliPT3_S6_iiiiPKf
    .private_segment_fixed_size: 0
    .sgpr_count:     45
    .sgpr_spill_count: 0
    .symbol:         _ZN4vllm38concat_and_cache_mla_rope_fused_kernelIN3c108BFloat16ENS1_4HalfELb0EttLNS_18Fp8KVCacheDataTypeE0EEEvPKlPT_S8_PKS7_PKT0_illlliPT3_S6_iiiiPKf.kd
    .uniform_work_group_size: 1
    .uses_dynamic_stack: false
    .vgpr_count:     18
    .vgpr_spill_count: 0
    .wavefront_size: 32
    .workgroup_processor_mode: 1
  - .args:
      - .actual_access:  read_only
        .address_space:  global
        .offset:         0
        .size:           8
        .value_kind:     global_buffer
      - .address_space:  global
        .offset:         8
        .size:           8
        .value_kind:     global_buffer
      - .address_space:  global
        .offset:         16
        .size:           8
        .value_kind:     global_buffer
      - .actual_access:  read_only
        .address_space:  global
        .offset:         24
        .size:           8
        .value_kind:     global_buffer
      - .actual_access:  read_only
        .address_space:  global
        .offset:         32
        .size:           8
        .value_kind:     global_buffer
      - .offset:         40
        .size:           4
        .value_kind:     by_value
      - .offset:         48
        .size:           8
        .value_kind:     by_value
      - .offset:         56
        .size:           8
        .value_kind:     by_value
      - .offset:         64
        .size:           8
        .value_kind:     by_value
      - .offset:         72
        .size:           8
        .value_kind:     by_value
      - .offset:         80
        .size:           4
        .value_kind:     by_value
      - .actual_access:  write_only
        .address_space:  global
        .offset:         88
        .size:           8
        .value_kind:     global_buffer
      - .actual_access:  read_only
        .address_space:  global
        .offset:         96
        .size:           8
        .value_kind:     global_buffer
      - .offset:         104
        .size:           4
        .value_kind:     by_value
      - .offset:         108
        .size:           4
        .value_kind:     by_value
      - .offset:         112
        .size:           4
        .value_kind:     by_value
      - .offset:         116
        .size:           4
        .value_kind:     by_value
      - .address_space:  global
        .offset:         120
        .size:           8
        .value_kind:     global_buffer
      - .offset:         128
        .size:           4
        .value_kind:     hidden_block_count_x
      - .offset:         132
        .size:           4
        .value_kind:     hidden_block_count_y
      - .offset:         136
        .size:           4
        .value_kind:     hidden_block_count_z
      - .offset:         140
        .size:           2
        .value_kind:     hidden_group_size_x
      - .offset:         142
        .size:           2
        .value_kind:     hidden_group_size_y
      - .offset:         144
        .size:           2
        .value_kind:     hidden_group_size_z
      - .offset:         146
        .size:           2
        .value_kind:     hidden_remainder_x
      - .offset:         148
        .size:           2
        .value_kind:     hidden_remainder_y
      - .offset:         150
        .size:           2
        .value_kind:     hidden_remainder_z
      - .offset:         168
        .size:           8
        .value_kind:     hidden_global_offset_x
      - .offset:         176
        .size:           8
        .value_kind:     hidden_global_offset_y
      - .offset:         184
        .size:           8
        .value_kind:     hidden_global_offset_z
      - .offset:         192
        .size:           2
        .value_kind:     hidden_grid_dims
    .group_segment_fixed_size: 0
    .kernarg_segment_align: 8
    .kernarg_segment_size: 384
    .language:       OpenCL C
    .language_version:
      - 2
      - 0
    .max_flat_workgroup_size: 1024
    .name:           _ZN4vllm38concat_and_cache_mla_rope_fused_kernelIN3c108BFloat16ES2_Lb1EttLNS_18Fp8KVCacheDataTypeE0EEEvPKlPT_S7_PKS6_PKT0_illlliPT3_S5_iiiiPKf
    .private_segment_fixed_size: 0
    .sgpr_count:     48
    .sgpr_spill_count: 0
    .symbol:         _ZN4vllm38concat_and_cache_mla_rope_fused_kernelIN3c108BFloat16ES2_Lb1EttLNS_18Fp8KVCacheDataTypeE0EEEvPKlPT_S7_PKS6_PKT0_illlliPT3_S5_iiiiPKf.kd
    .uniform_work_group_size: 1
    .uses_dynamic_stack: false
    .vgpr_count:     19
    .vgpr_spill_count: 0
    .wavefront_size: 32
    .workgroup_processor_mode: 1
  - .args:
      - .actual_access:  read_only
        .address_space:  global
        .offset:         0
        .size:           8
        .value_kind:     global_buffer
      - .address_space:  global
        .offset:         8
        .size:           8
        .value_kind:     global_buffer
      - .address_space:  global
        .offset:         16
        .size:           8
        .value_kind:     global_buffer
      - .actual_access:  read_only
        .address_space:  global
        .offset:         24
        .size:           8
        .value_kind:     global_buffer
      - .actual_access:  read_only
        .address_space:  global
        .offset:         32
        .size:           8
        .value_kind:     global_buffer
      - .offset:         40
        .size:           4
        .value_kind:     by_value
      - .offset:         48
        .size:           8
        .value_kind:     by_value
      - .offset:         56
        .size:           8
        .value_kind:     by_value
      - .offset:         64
        .size:           8
        .value_kind:     by_value
      - .offset:         72
        .size:           8
        .value_kind:     by_value
      - .offset:         80
        .size:           4
        .value_kind:     by_value
      - .actual_access:  write_only
        .address_space:  global
        .offset:         88
        .size:           8
        .value_kind:     global_buffer
      - .actual_access:  read_only
        .address_space:  global
        .offset:         96
        .size:           8
        .value_kind:     global_buffer
      - .offset:         104
        .size:           4
        .value_kind:     by_value
      - .offset:         108
        .size:           4
        .value_kind:     by_value
      - .offset:         112
        .size:           4
        .value_kind:     by_value
      - .offset:         116
        .size:           4
        .value_kind:     by_value
      - .address_space:  global
        .offset:         120
        .size:           8
        .value_kind:     global_buffer
      - .offset:         128
        .size:           4
        .value_kind:     hidden_block_count_x
      - .offset:         132
        .size:           4
        .value_kind:     hidden_block_count_y
      - .offset:         136
        .size:           4
        .value_kind:     hidden_block_count_z
      - .offset:         140
        .size:           2
        .value_kind:     hidden_group_size_x
      - .offset:         142
        .size:           2
        .value_kind:     hidden_group_size_y
      - .offset:         144
        .size:           2
        .value_kind:     hidden_group_size_z
      - .offset:         146
        .size:           2
        .value_kind:     hidden_remainder_x
      - .offset:         148
        .size:           2
        .value_kind:     hidden_remainder_y
      - .offset:         150
        .size:           2
        .value_kind:     hidden_remainder_z
      - .offset:         168
        .size:           8
        .value_kind:     hidden_global_offset_x
      - .offset:         176
        .size:           8
        .value_kind:     hidden_global_offset_y
      - .offset:         184
        .size:           8
        .value_kind:     hidden_global_offset_z
      - .offset:         192
        .size:           2
        .value_kind:     hidden_grid_dims
    .group_segment_fixed_size: 0
    .kernarg_segment_align: 8
    .kernarg_segment_size: 384
    .language:       OpenCL C
    .language_version:
      - 2
      - 0
    .max_flat_workgroup_size: 1024
    .name:           _ZN4vllm38concat_and_cache_mla_rope_fused_kernelIN3c108BFloat16ES2_Lb0EttLNS_18Fp8KVCacheDataTypeE0EEEvPKlPT_S7_PKS6_PKT0_illlliPT3_S5_iiiiPKf
    .private_segment_fixed_size: 0
    .sgpr_count:     45
    .sgpr_spill_count: 0
    .symbol:         _ZN4vllm38concat_and_cache_mla_rope_fused_kernelIN3c108BFloat16ES2_Lb0EttLNS_18Fp8KVCacheDataTypeE0EEEvPKlPT_S7_PKS6_PKT0_illlliPT3_S5_iiiiPKf.kd
    .uniform_work_group_size: 1
    .uses_dynamic_stack: false
    .vgpr_count:     18
    .vgpr_spill_count: 0
    .wavefront_size: 32
    .workgroup_processor_mode: 1
  - .args:
      - .actual_access:  read_only
        .address_space:  global
        .offset:         0
        .size:           8
        .value_kind:     global_buffer
      - .address_space:  global
        .offset:         8
        .size:           8
        .value_kind:     global_buffer
      - .address_space:  global
        .offset:         16
        .size:           8
        .value_kind:     global_buffer
      - .actual_access:  read_only
        .address_space:  global
        .offset:         24
        .size:           8
        .value_kind:     global_buffer
      - .actual_access:  read_only
        .address_space:  global
        .offset:         32
        .size:           8
        .value_kind:     global_buffer
      - .offset:         40
        .size:           4
        .value_kind:     by_value
      - .offset:         48
        .size:           8
        .value_kind:     by_value
      - .offset:         56
        .size:           8
        .value_kind:     by_value
      - .offset:         64
        .size:           8
        .value_kind:     by_value
      - .offset:         72
        .size:           8
        .value_kind:     by_value
      - .offset:         80
        .size:           4
        .value_kind:     by_value
      - .actual_access:  write_only
        .address_space:  global
        .offset:         88
        .size:           8
        .value_kind:     global_buffer
      - .actual_access:  read_only
        .address_space:  global
        .offset:         96
        .size:           8
        .value_kind:     global_buffer
      - .offset:         104
        .size:           4
        .value_kind:     by_value
      - .offset:         108
        .size:           4
        .value_kind:     by_value
      - .offset:         112
        .size:           4
        .value_kind:     by_value
      - .offset:         116
        .size:           4
        .value_kind:     by_value
      - .address_space:  global
        .offset:         120
        .size:           8
        .value_kind:     global_buffer
      - .offset:         128
        .size:           4
        .value_kind:     hidden_block_count_x
      - .offset:         132
        .size:           4
        .value_kind:     hidden_block_count_y
      - .offset:         136
        .size:           4
        .value_kind:     hidden_block_count_z
      - .offset:         140
        .size:           2
        .value_kind:     hidden_group_size_x
      - .offset:         142
        .size:           2
        .value_kind:     hidden_group_size_y
      - .offset:         144
        .size:           2
        .value_kind:     hidden_group_size_z
      - .offset:         146
        .size:           2
        .value_kind:     hidden_remainder_x
      - .offset:         148
        .size:           2
        .value_kind:     hidden_remainder_y
      - .offset:         150
        .size:           2
        .value_kind:     hidden_remainder_z
      - .offset:         168
        .size:           8
        .value_kind:     hidden_global_offset_x
      - .offset:         176
        .size:           8
        .value_kind:     hidden_global_offset_y
      - .offset:         184
        .size:           8
        .value_kind:     hidden_global_offset_z
      - .offset:         192
        .size:           2
        .value_kind:     hidden_grid_dims
    .group_segment_fixed_size: 0
    .kernarg_segment_align: 8
    .kernarg_segment_size: 384
    .language:       OpenCL C
    .language_version:
      - 2
      - 0
    .max_flat_workgroup_size: 1024
    .name:           _ZN4vllm38concat_and_cache_mla_rope_fused_kernelIffLb1E14__hip_bfloat16S1_LNS_18Fp8KVCacheDataTypeE0EEEvPKlPT_S6_PKS5_PKT0_illlliPT3_S4_iiiiPKf
    .private_segment_fixed_size: 0
    .sgpr_count:     48
    .sgpr_spill_count: 0
    .symbol:         _ZN4vllm38concat_and_cache_mla_rope_fused_kernelIffLb1E14__hip_bfloat16S1_LNS_18Fp8KVCacheDataTypeE0EEEvPKlPT_S6_PKS5_PKT0_illlliPT3_S4_iiiiPKf.kd
    .uniform_work_group_size: 1
    .uses_dynamic_stack: false
    .vgpr_count:     16
    .vgpr_spill_count: 0
    .wavefront_size: 32
    .workgroup_processor_mode: 1
  - .args:
      - .actual_access:  read_only
        .address_space:  global
        .offset:         0
        .size:           8
        .value_kind:     global_buffer
      - .address_space:  global
        .offset:         8
        .size:           8
        .value_kind:     global_buffer
      - .address_space:  global
        .offset:         16
        .size:           8
        .value_kind:     global_buffer
      - .actual_access:  read_only
        .address_space:  global
        .offset:         24
        .size:           8
        .value_kind:     global_buffer
      - .actual_access:  read_only
        .address_space:  global
        .offset:         32
        .size:           8
        .value_kind:     global_buffer
      - .offset:         40
        .size:           4
        .value_kind:     by_value
      - .offset:         48
        .size:           8
        .value_kind:     by_value
      - .offset:         56
        .size:           8
        .value_kind:     by_value
      - .offset:         64
        .size:           8
        .value_kind:     by_value
      - .offset:         72
        .size:           8
        .value_kind:     by_value
      - .offset:         80
        .size:           4
        .value_kind:     by_value
      - .actual_access:  write_only
        .address_space:  global
        .offset:         88
        .size:           8
        .value_kind:     global_buffer
      - .actual_access:  read_only
        .address_space:  global
        .offset:         96
        .size:           8
        .value_kind:     global_buffer
      - .offset:         104
        .size:           4
        .value_kind:     by_value
      - .offset:         108
        .size:           4
        .value_kind:     by_value
      - .offset:         112
        .size:           4
        .value_kind:     by_value
      - .offset:         116
        .size:           4
        .value_kind:     by_value
      - .address_space:  global
        .offset:         120
        .size:           8
        .value_kind:     global_buffer
      - .offset:         128
        .size:           4
        .value_kind:     hidden_block_count_x
      - .offset:         132
        .size:           4
        .value_kind:     hidden_block_count_y
      - .offset:         136
        .size:           4
        .value_kind:     hidden_block_count_z
      - .offset:         140
        .size:           2
        .value_kind:     hidden_group_size_x
      - .offset:         142
        .size:           2
        .value_kind:     hidden_group_size_y
      - .offset:         144
        .size:           2
        .value_kind:     hidden_group_size_z
      - .offset:         146
        .size:           2
        .value_kind:     hidden_remainder_x
      - .offset:         148
        .size:           2
        .value_kind:     hidden_remainder_y
      - .offset:         150
        .size:           2
        .value_kind:     hidden_remainder_z
      - .offset:         168
        .size:           8
        .value_kind:     hidden_global_offset_x
      - .offset:         176
        .size:           8
        .value_kind:     hidden_global_offset_y
      - .offset:         184
        .size:           8
        .value_kind:     hidden_global_offset_z
      - .offset:         192
        .size:           2
        .value_kind:     hidden_grid_dims
    .group_segment_fixed_size: 0
    .kernarg_segment_align: 8
    .kernarg_segment_size: 384
    .language:       OpenCL C
    .language_version:
      - 2
      - 0
    .max_flat_workgroup_size: 1024
    .name:           _ZN4vllm38concat_and_cache_mla_rope_fused_kernelIffLb0E14__hip_bfloat16S1_LNS_18Fp8KVCacheDataTypeE0EEEvPKlPT_S6_PKS5_PKT0_illlliPT3_S4_iiiiPKf
    .private_segment_fixed_size: 0
    .sgpr_count:     45
    .sgpr_spill_count: 0
    .symbol:         _ZN4vllm38concat_and_cache_mla_rope_fused_kernelIffLb0E14__hip_bfloat16S1_LNS_18Fp8KVCacheDataTypeE0EEEvPKlPT_S6_PKS5_PKT0_illlliPT3_S4_iiiiPKf.kd
    .uniform_work_group_size: 1
    .uses_dynamic_stack: false
    .vgpr_count:     13
    .vgpr_spill_count: 0
    .wavefront_size: 32
    .workgroup_processor_mode: 1
  - .args:
      - .actual_access:  read_only
        .address_space:  global
        .offset:         0
        .size:           8
        .value_kind:     global_buffer
      - .address_space:  global
        .offset:         8
        .size:           8
        .value_kind:     global_buffer
      - .address_space:  global
        .offset:         16
        .size:           8
        .value_kind:     global_buffer
      - .actual_access:  read_only
        .address_space:  global
        .offset:         24
        .size:           8
        .value_kind:     global_buffer
      - .actual_access:  read_only
        .address_space:  global
        .offset:         32
        .size:           8
        .value_kind:     global_buffer
      - .offset:         40
        .size:           4
        .value_kind:     by_value
      - .offset:         48
        .size:           8
        .value_kind:     by_value
      - .offset:         56
        .size:           8
        .value_kind:     by_value
      - .offset:         64
        .size:           8
        .value_kind:     by_value
      - .offset:         72
        .size:           8
        .value_kind:     by_value
      - .offset:         80
        .size:           4
        .value_kind:     by_value
      - .actual_access:  write_only
        .address_space:  global
        .offset:         88
        .size:           8
        .value_kind:     global_buffer
      - .actual_access:  read_only
        .address_space:  global
        .offset:         96
        .size:           8
        .value_kind:     global_buffer
      - .offset:         104
        .size:           4
        .value_kind:     by_value
      - .offset:         108
        .size:           4
        .value_kind:     by_value
      - .offset:         112
        .size:           4
        .value_kind:     by_value
      - .offset:         116
        .size:           4
        .value_kind:     by_value
      - .address_space:  global
        .offset:         120
        .size:           8
        .value_kind:     global_buffer
      - .offset:         128
        .size:           4
        .value_kind:     hidden_block_count_x
      - .offset:         132
        .size:           4
        .value_kind:     hidden_block_count_y
      - .offset:         136
        .size:           4
        .value_kind:     hidden_block_count_z
      - .offset:         140
        .size:           2
        .value_kind:     hidden_group_size_x
      - .offset:         142
        .size:           2
        .value_kind:     hidden_group_size_y
      - .offset:         144
        .size:           2
        .value_kind:     hidden_group_size_z
      - .offset:         146
        .size:           2
        .value_kind:     hidden_remainder_x
      - .offset:         148
        .size:           2
        .value_kind:     hidden_remainder_y
      - .offset:         150
        .size:           2
        .value_kind:     hidden_remainder_z
      - .offset:         168
        .size:           8
        .value_kind:     hidden_global_offset_x
      - .offset:         176
        .size:           8
        .value_kind:     hidden_global_offset_y
      - .offset:         184
        .size:           8
        .value_kind:     hidden_global_offset_z
      - .offset:         192
        .size:           2
        .value_kind:     hidden_grid_dims
    .group_segment_fixed_size: 0
    .kernarg_segment_align: 8
    .kernarg_segment_size: 384
    .language:       OpenCL C
    .language_version:
      - 2
      - 0
    .max_flat_workgroup_size: 1024
    .name:           _ZN4vllm38concat_and_cache_mla_rope_fused_kernelIfN3c104HalfELb1E14__hip_bfloat16S3_LNS_18Fp8KVCacheDataTypeE0EEEvPKlPT_S8_PKS7_PKT0_illlliPT3_S6_iiiiPKf
    .private_segment_fixed_size: 0
    .sgpr_count:     48
    .sgpr_spill_count: 0
    .symbol:         _ZN4vllm38concat_and_cache_mla_rope_fused_kernelIfN3c104HalfELb1E14__hip_bfloat16S3_LNS_18Fp8KVCacheDataTypeE0EEEvPKlPT_S8_PKS7_PKT0_illlliPT3_S6_iiiiPKf.kd
    .uniform_work_group_size: 1
    .uses_dynamic_stack: false
    .vgpr_count:     17
    .vgpr_spill_count: 0
    .wavefront_size: 32
    .workgroup_processor_mode: 1
  - .args:
      - .actual_access:  read_only
        .address_space:  global
        .offset:         0
        .size:           8
        .value_kind:     global_buffer
      - .address_space:  global
        .offset:         8
        .size:           8
        .value_kind:     global_buffer
      - .address_space:  global
        .offset:         16
        .size:           8
        .value_kind:     global_buffer
      - .actual_access:  read_only
        .address_space:  global
        .offset:         24
        .size:           8
        .value_kind:     global_buffer
      - .actual_access:  read_only
        .address_space:  global
        .offset:         32
        .size:           8
        .value_kind:     global_buffer
      - .offset:         40
        .size:           4
        .value_kind:     by_value
      - .offset:         48
        .size:           8
        .value_kind:     by_value
      - .offset:         56
        .size:           8
        .value_kind:     by_value
      - .offset:         64
        .size:           8
        .value_kind:     by_value
      - .offset:         72
        .size:           8
        .value_kind:     by_value
      - .offset:         80
        .size:           4
        .value_kind:     by_value
      - .actual_access:  write_only
        .address_space:  global
        .offset:         88
        .size:           8
        .value_kind:     global_buffer
      - .actual_access:  read_only
        .address_space:  global
        .offset:         96
        .size:           8
        .value_kind:     global_buffer
      - .offset:         104
        .size:           4
        .value_kind:     by_value
      - .offset:         108
        .size:           4
        .value_kind:     by_value
      - .offset:         112
        .size:           4
        .value_kind:     by_value
      - .offset:         116
        .size:           4
        .value_kind:     by_value
      - .address_space:  global
        .offset:         120
        .size:           8
        .value_kind:     global_buffer
      - .offset:         128
        .size:           4
        .value_kind:     hidden_block_count_x
      - .offset:         132
        .size:           4
        .value_kind:     hidden_block_count_y
      - .offset:         136
        .size:           4
        .value_kind:     hidden_block_count_z
      - .offset:         140
        .size:           2
        .value_kind:     hidden_group_size_x
      - .offset:         142
        .size:           2
        .value_kind:     hidden_group_size_y
      - .offset:         144
        .size:           2
        .value_kind:     hidden_group_size_z
      - .offset:         146
        .size:           2
        .value_kind:     hidden_remainder_x
      - .offset:         148
        .size:           2
        .value_kind:     hidden_remainder_y
      - .offset:         150
        .size:           2
        .value_kind:     hidden_remainder_z
      - .offset:         168
        .size:           8
        .value_kind:     hidden_global_offset_x
      - .offset:         176
        .size:           8
        .value_kind:     hidden_global_offset_y
      - .offset:         184
        .size:           8
        .value_kind:     hidden_global_offset_z
      - .offset:         192
        .size:           2
        .value_kind:     hidden_grid_dims
    .group_segment_fixed_size: 0
    .kernarg_segment_align: 8
    .kernarg_segment_size: 384
    .language:       OpenCL C
    .language_version:
      - 2
      - 0
    .max_flat_workgroup_size: 1024
    .name:           _ZN4vllm38concat_and_cache_mla_rope_fused_kernelIfN3c104HalfELb0E14__hip_bfloat16S3_LNS_18Fp8KVCacheDataTypeE0EEEvPKlPT_S8_PKS7_PKT0_illlliPT3_S6_iiiiPKf
    .private_segment_fixed_size: 0
    .sgpr_count:     45
    .sgpr_spill_count: 0
    .symbol:         _ZN4vllm38concat_and_cache_mla_rope_fused_kernelIfN3c104HalfELb0E14__hip_bfloat16S3_LNS_18Fp8KVCacheDataTypeE0EEEvPKlPT_S8_PKS7_PKT0_illlliPT3_S6_iiiiPKf.kd
    .uniform_work_group_size: 1
    .uses_dynamic_stack: false
    .vgpr_count:     14
    .vgpr_spill_count: 0
    .wavefront_size: 32
    .workgroup_processor_mode: 1
  - .args:
      - .actual_access:  read_only
        .address_space:  global
        .offset:         0
        .size:           8
        .value_kind:     global_buffer
      - .address_space:  global
        .offset:         8
        .size:           8
        .value_kind:     global_buffer
      - .address_space:  global
        .offset:         16
        .size:           8
        .value_kind:     global_buffer
      - .actual_access:  read_only
        .address_space:  global
        .offset:         24
        .size:           8
        .value_kind:     global_buffer
      - .actual_access:  read_only
        .address_space:  global
        .offset:         32
        .size:           8
        .value_kind:     global_buffer
      - .offset:         40
        .size:           4
        .value_kind:     by_value
      - .offset:         48
        .size:           8
        .value_kind:     by_value
      - .offset:         56
        .size:           8
        .value_kind:     by_value
      - .offset:         64
        .size:           8
        .value_kind:     by_value
      - .offset:         72
        .size:           8
        .value_kind:     by_value
      - .offset:         80
        .size:           4
        .value_kind:     by_value
      - .actual_access:  write_only
        .address_space:  global
        .offset:         88
        .size:           8
        .value_kind:     global_buffer
      - .actual_access:  read_only
        .address_space:  global
        .offset:         96
        .size:           8
        .value_kind:     global_buffer
      - .offset:         104
        .size:           4
        .value_kind:     by_value
      - .offset:         108
        .size:           4
        .value_kind:     by_value
      - .offset:         112
        .size:           4
        .value_kind:     by_value
      - .offset:         116
        .size:           4
        .value_kind:     by_value
      - .address_space:  global
        .offset:         120
        .size:           8
        .value_kind:     global_buffer
      - .offset:         128
        .size:           4
        .value_kind:     hidden_block_count_x
      - .offset:         132
        .size:           4
        .value_kind:     hidden_block_count_y
      - .offset:         136
        .size:           4
        .value_kind:     hidden_block_count_z
      - .offset:         140
        .size:           2
        .value_kind:     hidden_group_size_x
      - .offset:         142
        .size:           2
        .value_kind:     hidden_group_size_y
      - .offset:         144
        .size:           2
        .value_kind:     hidden_group_size_z
      - .offset:         146
        .size:           2
        .value_kind:     hidden_remainder_x
      - .offset:         148
        .size:           2
        .value_kind:     hidden_remainder_y
      - .offset:         150
        .size:           2
        .value_kind:     hidden_remainder_z
      - .offset:         168
        .size:           8
        .value_kind:     hidden_global_offset_x
      - .offset:         176
        .size:           8
        .value_kind:     hidden_global_offset_y
      - .offset:         184
        .size:           8
        .value_kind:     hidden_global_offset_z
      - .offset:         192
        .size:           2
        .value_kind:     hidden_grid_dims
    .group_segment_fixed_size: 0
    .kernarg_segment_align: 8
    .kernarg_segment_size: 384
    .language:       OpenCL C
    .language_version:
      - 2
      - 0
    .max_flat_workgroup_size: 1024
    .name:           _ZN4vllm38concat_and_cache_mla_rope_fused_kernelIfN3c108BFloat16ELb1E14__hip_bfloat16S3_LNS_18Fp8KVCacheDataTypeE0EEEvPKlPT_S8_PKS7_PKT0_illlliPT3_S6_iiiiPKf
    .private_segment_fixed_size: 0
    .sgpr_count:     48
    .sgpr_spill_count: 0
    .symbol:         _ZN4vllm38concat_and_cache_mla_rope_fused_kernelIfN3c108BFloat16ELb1E14__hip_bfloat16S3_LNS_18Fp8KVCacheDataTypeE0EEEvPKlPT_S8_PKS7_PKT0_illlliPT3_S6_iiiiPKf.kd
    .uniform_work_group_size: 1
    .uses_dynamic_stack: false
    .vgpr_count:     16
    .vgpr_spill_count: 0
    .wavefront_size: 32
    .workgroup_processor_mode: 1
  - .args:
      - .actual_access:  read_only
        .address_space:  global
        .offset:         0
        .size:           8
        .value_kind:     global_buffer
      - .address_space:  global
        .offset:         8
        .size:           8
        .value_kind:     global_buffer
      - .address_space:  global
        .offset:         16
        .size:           8
        .value_kind:     global_buffer
      - .actual_access:  read_only
        .address_space:  global
        .offset:         24
        .size:           8
        .value_kind:     global_buffer
      - .actual_access:  read_only
        .address_space:  global
        .offset:         32
        .size:           8
        .value_kind:     global_buffer
      - .offset:         40
        .size:           4
        .value_kind:     by_value
      - .offset:         48
        .size:           8
        .value_kind:     by_value
      - .offset:         56
        .size:           8
        .value_kind:     by_value
      - .offset:         64
        .size:           8
        .value_kind:     by_value
      - .offset:         72
        .size:           8
        .value_kind:     by_value
      - .offset:         80
        .size:           4
        .value_kind:     by_value
      - .actual_access:  write_only
        .address_space:  global
        .offset:         88
        .size:           8
        .value_kind:     global_buffer
      - .actual_access:  read_only
        .address_space:  global
        .offset:         96
        .size:           8
        .value_kind:     global_buffer
      - .offset:         104
        .size:           4
        .value_kind:     by_value
      - .offset:         108
        .size:           4
        .value_kind:     by_value
      - .offset:         112
        .size:           4
        .value_kind:     by_value
      - .offset:         116
        .size:           4
        .value_kind:     by_value
      - .address_space:  global
        .offset:         120
        .size:           8
        .value_kind:     global_buffer
      - .offset:         128
        .size:           4
        .value_kind:     hidden_block_count_x
      - .offset:         132
        .size:           4
        .value_kind:     hidden_block_count_y
      - .offset:         136
        .size:           4
        .value_kind:     hidden_block_count_z
      - .offset:         140
        .size:           2
        .value_kind:     hidden_group_size_x
      - .offset:         142
        .size:           2
        .value_kind:     hidden_group_size_y
      - .offset:         144
        .size:           2
        .value_kind:     hidden_group_size_z
      - .offset:         146
        .size:           2
        .value_kind:     hidden_remainder_x
      - .offset:         148
        .size:           2
        .value_kind:     hidden_remainder_y
      - .offset:         150
        .size:           2
        .value_kind:     hidden_remainder_z
      - .offset:         168
        .size:           8
        .value_kind:     hidden_global_offset_x
      - .offset:         176
        .size:           8
        .value_kind:     hidden_global_offset_y
      - .offset:         184
        .size:           8
        .value_kind:     hidden_global_offset_z
      - .offset:         192
        .size:           2
        .value_kind:     hidden_grid_dims
    .group_segment_fixed_size: 0
    .kernarg_segment_align: 8
    .kernarg_segment_size: 384
    .language:       OpenCL C
    .language_version:
      - 2
      - 0
    .max_flat_workgroup_size: 1024
    .name:           _ZN4vllm38concat_and_cache_mla_rope_fused_kernelIfN3c108BFloat16ELb0E14__hip_bfloat16S3_LNS_18Fp8KVCacheDataTypeE0EEEvPKlPT_S8_PKS7_PKT0_illlliPT3_S6_iiiiPKf
    .private_segment_fixed_size: 0
    .sgpr_count:     45
    .sgpr_spill_count: 0
    .symbol:         _ZN4vllm38concat_and_cache_mla_rope_fused_kernelIfN3c108BFloat16ELb0E14__hip_bfloat16S3_LNS_18Fp8KVCacheDataTypeE0EEEvPKlPT_S8_PKS7_PKT0_illlliPT3_S6_iiiiPKf.kd
    .uniform_work_group_size: 1
    .uses_dynamic_stack: false
    .vgpr_count:     14
    .vgpr_spill_count: 0
    .wavefront_size: 32
    .workgroup_processor_mode: 1
  - .args:
      - .actual_access:  read_only
        .address_space:  global
        .offset:         0
        .size:           8
        .value_kind:     global_buffer
      - .address_space:  global
        .offset:         8
        .size:           8
        .value_kind:     global_buffer
      - .address_space:  global
        .offset:         16
        .size:           8
        .value_kind:     global_buffer
      - .actual_access:  read_only
        .address_space:  global
        .offset:         24
        .size:           8
        .value_kind:     global_buffer
      - .actual_access:  read_only
        .address_space:  global
        .offset:         32
        .size:           8
        .value_kind:     global_buffer
      - .offset:         40
        .size:           4
        .value_kind:     by_value
      - .offset:         48
        .size:           8
        .value_kind:     by_value
      - .offset:         56
        .size:           8
        .value_kind:     by_value
      - .offset:         64
        .size:           8
        .value_kind:     by_value
      - .offset:         72
        .size:           8
        .value_kind:     by_value
      - .offset:         80
        .size:           4
        .value_kind:     by_value
      - .actual_access:  write_only
        .address_space:  global
        .offset:         88
        .size:           8
        .value_kind:     global_buffer
      - .actual_access:  read_only
        .address_space:  global
        .offset:         96
        .size:           8
        .value_kind:     global_buffer
      - .offset:         104
        .size:           4
        .value_kind:     by_value
      - .offset:         108
        .size:           4
        .value_kind:     by_value
      - .offset:         112
        .size:           4
        .value_kind:     by_value
      - .offset:         116
        .size:           4
        .value_kind:     by_value
      - .address_space:  global
        .offset:         120
        .size:           8
        .value_kind:     global_buffer
      - .offset:         128
        .size:           4
        .value_kind:     hidden_block_count_x
      - .offset:         132
        .size:           4
        .value_kind:     hidden_block_count_y
      - .offset:         136
        .size:           4
        .value_kind:     hidden_block_count_z
      - .offset:         140
        .size:           2
        .value_kind:     hidden_group_size_x
      - .offset:         142
        .size:           2
        .value_kind:     hidden_group_size_y
      - .offset:         144
        .size:           2
        .value_kind:     hidden_group_size_z
      - .offset:         146
        .size:           2
        .value_kind:     hidden_remainder_x
      - .offset:         148
        .size:           2
        .value_kind:     hidden_remainder_y
      - .offset:         150
        .size:           2
        .value_kind:     hidden_remainder_z
      - .offset:         168
        .size:           8
        .value_kind:     hidden_global_offset_x
      - .offset:         176
        .size:           8
        .value_kind:     hidden_global_offset_y
      - .offset:         184
        .size:           8
        .value_kind:     hidden_global_offset_z
      - .offset:         192
        .size:           2
        .value_kind:     hidden_grid_dims
    .group_segment_fixed_size: 0
    .kernarg_segment_align: 8
    .kernarg_segment_size: 384
    .language:       OpenCL C
    .language_version:
      - 2
      - 0
    .max_flat_workgroup_size: 1024
    .name:           _ZN4vllm38concat_and_cache_mla_rope_fused_kernelIN3c104HalfEfLb1E14__hip_bfloat16S3_LNS_18Fp8KVCacheDataTypeE0EEEvPKlPT_S8_PKS7_PKT0_illlliPT3_S6_iiiiPKf
    .private_segment_fixed_size: 0
    .sgpr_count:     48
    .sgpr_spill_count: 0
    .symbol:         _ZN4vllm38concat_and_cache_mla_rope_fused_kernelIN3c104HalfEfLb1E14__hip_bfloat16S3_LNS_18Fp8KVCacheDataTypeE0EEEvPKlPT_S8_PKS7_PKT0_illlliPT3_S6_iiiiPKf.kd
    .uniform_work_group_size: 1
    .uses_dynamic_stack: false
    .vgpr_count:     18
    .vgpr_spill_count: 0
    .wavefront_size: 32
    .workgroup_processor_mode: 1
  - .args:
      - .actual_access:  read_only
        .address_space:  global
        .offset:         0
        .size:           8
        .value_kind:     global_buffer
      - .address_space:  global
        .offset:         8
        .size:           8
        .value_kind:     global_buffer
      - .address_space:  global
        .offset:         16
        .size:           8
        .value_kind:     global_buffer
      - .actual_access:  read_only
        .address_space:  global
        .offset:         24
        .size:           8
        .value_kind:     global_buffer
      - .actual_access:  read_only
        .address_space:  global
        .offset:         32
        .size:           8
        .value_kind:     global_buffer
      - .offset:         40
        .size:           4
        .value_kind:     by_value
      - .offset:         48
        .size:           8
        .value_kind:     by_value
      - .offset:         56
        .size:           8
        .value_kind:     by_value
      - .offset:         64
        .size:           8
        .value_kind:     by_value
      - .offset:         72
        .size:           8
        .value_kind:     by_value
      - .offset:         80
        .size:           4
        .value_kind:     by_value
      - .actual_access:  write_only
        .address_space:  global
        .offset:         88
        .size:           8
        .value_kind:     global_buffer
      - .actual_access:  read_only
        .address_space:  global
        .offset:         96
        .size:           8
        .value_kind:     global_buffer
      - .offset:         104
        .size:           4
        .value_kind:     by_value
      - .offset:         108
        .size:           4
        .value_kind:     by_value
      - .offset:         112
        .size:           4
        .value_kind:     by_value
      - .offset:         116
        .size:           4
        .value_kind:     by_value
      - .address_space:  global
        .offset:         120
        .size:           8
        .value_kind:     global_buffer
      - .offset:         128
        .size:           4
        .value_kind:     hidden_block_count_x
      - .offset:         132
        .size:           4
        .value_kind:     hidden_block_count_y
      - .offset:         136
        .size:           4
        .value_kind:     hidden_block_count_z
      - .offset:         140
        .size:           2
        .value_kind:     hidden_group_size_x
      - .offset:         142
        .size:           2
        .value_kind:     hidden_group_size_y
      - .offset:         144
        .size:           2
        .value_kind:     hidden_group_size_z
      - .offset:         146
        .size:           2
        .value_kind:     hidden_remainder_x
      - .offset:         148
        .size:           2
        .value_kind:     hidden_remainder_y
      - .offset:         150
        .size:           2
        .value_kind:     hidden_remainder_z
      - .offset:         168
        .size:           8
        .value_kind:     hidden_global_offset_x
      - .offset:         176
        .size:           8
        .value_kind:     hidden_global_offset_y
      - .offset:         184
        .size:           8
        .value_kind:     hidden_global_offset_z
      - .offset:         192
        .size:           2
        .value_kind:     hidden_grid_dims
    .group_segment_fixed_size: 0
    .kernarg_segment_align: 8
    .kernarg_segment_size: 384
    .language:       OpenCL C
    .language_version:
      - 2
      - 0
    .max_flat_workgroup_size: 1024
    .name:           _ZN4vllm38concat_and_cache_mla_rope_fused_kernelIN3c104HalfEfLb0E14__hip_bfloat16S3_LNS_18Fp8KVCacheDataTypeE0EEEvPKlPT_S8_PKS7_PKT0_illlliPT3_S6_iiiiPKf
    .private_segment_fixed_size: 0
    .sgpr_count:     45
    .sgpr_spill_count: 0
    .symbol:         _ZN4vllm38concat_and_cache_mla_rope_fused_kernelIN3c104HalfEfLb0E14__hip_bfloat16S3_LNS_18Fp8KVCacheDataTypeE0EEEvPKlPT_S8_PKS7_PKT0_illlliPT3_S6_iiiiPKf.kd
    .uniform_work_group_size: 1
    .uses_dynamic_stack: false
    .vgpr_count:     18
    .vgpr_spill_count: 0
    .wavefront_size: 32
    .workgroup_processor_mode: 1
  - .args:
      - .actual_access:  read_only
        .address_space:  global
        .offset:         0
        .size:           8
        .value_kind:     global_buffer
      - .address_space:  global
        .offset:         8
        .size:           8
        .value_kind:     global_buffer
      - .address_space:  global
        .offset:         16
        .size:           8
        .value_kind:     global_buffer
      - .actual_access:  read_only
        .address_space:  global
        .offset:         24
        .size:           8
        .value_kind:     global_buffer
      - .actual_access:  read_only
        .address_space:  global
        .offset:         32
        .size:           8
        .value_kind:     global_buffer
      - .offset:         40
        .size:           4
        .value_kind:     by_value
      - .offset:         48
        .size:           8
        .value_kind:     by_value
      - .offset:         56
        .size:           8
        .value_kind:     by_value
      - .offset:         64
        .size:           8
        .value_kind:     by_value
      - .offset:         72
        .size:           8
        .value_kind:     by_value
      - .offset:         80
        .size:           4
        .value_kind:     by_value
      - .actual_access:  write_only
        .address_space:  global
        .offset:         88
        .size:           8
        .value_kind:     global_buffer
      - .actual_access:  read_only
        .address_space:  global
        .offset:         96
        .size:           8
        .value_kind:     global_buffer
      - .offset:         104
        .size:           4
        .value_kind:     by_value
      - .offset:         108
        .size:           4
        .value_kind:     by_value
      - .offset:         112
        .size:           4
        .value_kind:     by_value
      - .offset:         116
        .size:           4
        .value_kind:     by_value
      - .address_space:  global
        .offset:         120
        .size:           8
        .value_kind:     global_buffer
      - .offset:         128
        .size:           4
        .value_kind:     hidden_block_count_x
      - .offset:         132
        .size:           4
        .value_kind:     hidden_block_count_y
      - .offset:         136
        .size:           4
        .value_kind:     hidden_block_count_z
      - .offset:         140
        .size:           2
        .value_kind:     hidden_group_size_x
      - .offset:         142
        .size:           2
        .value_kind:     hidden_group_size_y
      - .offset:         144
        .size:           2
        .value_kind:     hidden_group_size_z
      - .offset:         146
        .size:           2
        .value_kind:     hidden_remainder_x
      - .offset:         148
        .size:           2
        .value_kind:     hidden_remainder_y
      - .offset:         150
        .size:           2
        .value_kind:     hidden_remainder_z
      - .offset:         168
        .size:           8
        .value_kind:     hidden_global_offset_x
      - .offset:         176
        .size:           8
        .value_kind:     hidden_global_offset_y
      - .offset:         184
        .size:           8
        .value_kind:     hidden_global_offset_z
      - .offset:         192
        .size:           2
        .value_kind:     hidden_grid_dims
    .group_segment_fixed_size: 0
    .kernarg_segment_align: 8
    .kernarg_segment_size: 384
    .language:       OpenCL C
    .language_version:
      - 2
      - 0
    .max_flat_workgroup_size: 1024
    .name:           _ZN4vllm38concat_and_cache_mla_rope_fused_kernelIN3c104HalfES2_Lb1E14__hip_bfloat16S3_LNS_18Fp8KVCacheDataTypeE0EEEvPKlPT_S8_PKS7_PKT0_illlliPT3_S6_iiiiPKf
    .private_segment_fixed_size: 0
    .sgpr_count:     48
    .sgpr_spill_count: 0
    .symbol:         _ZN4vllm38concat_and_cache_mla_rope_fused_kernelIN3c104HalfES2_Lb1E14__hip_bfloat16S3_LNS_18Fp8KVCacheDataTypeE0EEEvPKlPT_S8_PKS7_PKT0_illlliPT3_S6_iiiiPKf.kd
    .uniform_work_group_size: 1
    .uses_dynamic_stack: false
    .vgpr_count:     16
    .vgpr_spill_count: 0
    .wavefront_size: 32
    .workgroup_processor_mode: 1
  - .args:
      - .actual_access:  read_only
        .address_space:  global
        .offset:         0
        .size:           8
        .value_kind:     global_buffer
      - .address_space:  global
        .offset:         8
        .size:           8
        .value_kind:     global_buffer
      - .address_space:  global
        .offset:         16
        .size:           8
        .value_kind:     global_buffer
      - .actual_access:  read_only
        .address_space:  global
        .offset:         24
        .size:           8
        .value_kind:     global_buffer
      - .actual_access:  read_only
        .address_space:  global
        .offset:         32
        .size:           8
        .value_kind:     global_buffer
      - .offset:         40
        .size:           4
        .value_kind:     by_value
      - .offset:         48
        .size:           8
        .value_kind:     by_value
      - .offset:         56
        .size:           8
        .value_kind:     by_value
      - .offset:         64
        .size:           8
        .value_kind:     by_value
      - .offset:         72
        .size:           8
        .value_kind:     by_value
      - .offset:         80
        .size:           4
        .value_kind:     by_value
      - .actual_access:  write_only
        .address_space:  global
        .offset:         88
        .size:           8
        .value_kind:     global_buffer
      - .actual_access:  read_only
        .address_space:  global
        .offset:         96
        .size:           8
        .value_kind:     global_buffer
      - .offset:         104
        .size:           4
        .value_kind:     by_value
      - .offset:         108
        .size:           4
        .value_kind:     by_value
      - .offset:         112
        .size:           4
        .value_kind:     by_value
      - .offset:         116
        .size:           4
        .value_kind:     by_value
      - .address_space:  global
        .offset:         120
        .size:           8
        .value_kind:     global_buffer
      - .offset:         128
        .size:           4
        .value_kind:     hidden_block_count_x
      - .offset:         132
        .size:           4
        .value_kind:     hidden_block_count_y
      - .offset:         136
        .size:           4
        .value_kind:     hidden_block_count_z
      - .offset:         140
        .size:           2
        .value_kind:     hidden_group_size_x
      - .offset:         142
        .size:           2
        .value_kind:     hidden_group_size_y
      - .offset:         144
        .size:           2
        .value_kind:     hidden_group_size_z
      - .offset:         146
        .size:           2
        .value_kind:     hidden_remainder_x
      - .offset:         148
        .size:           2
        .value_kind:     hidden_remainder_y
      - .offset:         150
        .size:           2
        .value_kind:     hidden_remainder_z
      - .offset:         168
        .size:           8
        .value_kind:     hidden_global_offset_x
      - .offset:         176
        .size:           8
        .value_kind:     hidden_global_offset_y
      - .offset:         184
        .size:           8
        .value_kind:     hidden_global_offset_z
      - .offset:         192
        .size:           2
        .value_kind:     hidden_grid_dims
    .group_segment_fixed_size: 0
    .kernarg_segment_align: 8
    .kernarg_segment_size: 384
    .language:       OpenCL C
    .language_version:
      - 2
      - 0
    .max_flat_workgroup_size: 1024
    .name:           _ZN4vllm38concat_and_cache_mla_rope_fused_kernelIN3c104HalfES2_Lb0E14__hip_bfloat16S3_LNS_18Fp8KVCacheDataTypeE0EEEvPKlPT_S8_PKS7_PKT0_illlliPT3_S6_iiiiPKf
    .private_segment_fixed_size: 0
    .sgpr_count:     45
    .sgpr_spill_count: 0
    .symbol:         _ZN4vllm38concat_and_cache_mla_rope_fused_kernelIN3c104HalfES2_Lb0E14__hip_bfloat16S3_LNS_18Fp8KVCacheDataTypeE0EEEvPKlPT_S8_PKS7_PKT0_illlliPT3_S6_iiiiPKf.kd
    .uniform_work_group_size: 1
    .uses_dynamic_stack: false
    .vgpr_count:     17
    .vgpr_spill_count: 0
    .wavefront_size: 32
    .workgroup_processor_mode: 1
  - .args:
      - .actual_access:  read_only
        .address_space:  global
        .offset:         0
        .size:           8
        .value_kind:     global_buffer
      - .address_space:  global
        .offset:         8
        .size:           8
        .value_kind:     global_buffer
      - .address_space:  global
        .offset:         16
        .size:           8
        .value_kind:     global_buffer
      - .actual_access:  read_only
        .address_space:  global
        .offset:         24
        .size:           8
        .value_kind:     global_buffer
      - .actual_access:  read_only
        .address_space:  global
        .offset:         32
        .size:           8
        .value_kind:     global_buffer
      - .offset:         40
        .size:           4
        .value_kind:     by_value
      - .offset:         48
        .size:           8
        .value_kind:     by_value
      - .offset:         56
        .size:           8
        .value_kind:     by_value
      - .offset:         64
        .size:           8
        .value_kind:     by_value
      - .offset:         72
        .size:           8
        .value_kind:     by_value
      - .offset:         80
        .size:           4
        .value_kind:     by_value
      - .actual_access:  write_only
        .address_space:  global
        .offset:         88
        .size:           8
        .value_kind:     global_buffer
      - .actual_access:  read_only
        .address_space:  global
        .offset:         96
        .size:           8
        .value_kind:     global_buffer
      - .offset:         104
        .size:           4
        .value_kind:     by_value
      - .offset:         108
        .size:           4
        .value_kind:     by_value
      - .offset:         112
        .size:           4
        .value_kind:     by_value
      - .offset:         116
        .size:           4
        .value_kind:     by_value
      - .address_space:  global
        .offset:         120
        .size:           8
        .value_kind:     global_buffer
      - .offset:         128
        .size:           4
        .value_kind:     hidden_block_count_x
      - .offset:         132
        .size:           4
        .value_kind:     hidden_block_count_y
      - .offset:         136
        .size:           4
        .value_kind:     hidden_block_count_z
      - .offset:         140
        .size:           2
        .value_kind:     hidden_group_size_x
      - .offset:         142
        .size:           2
        .value_kind:     hidden_group_size_y
      - .offset:         144
        .size:           2
        .value_kind:     hidden_group_size_z
      - .offset:         146
        .size:           2
        .value_kind:     hidden_remainder_x
      - .offset:         148
        .size:           2
        .value_kind:     hidden_remainder_y
      - .offset:         150
        .size:           2
        .value_kind:     hidden_remainder_z
      - .offset:         168
        .size:           8
        .value_kind:     hidden_global_offset_x
      - .offset:         176
        .size:           8
        .value_kind:     hidden_global_offset_y
      - .offset:         184
        .size:           8
        .value_kind:     hidden_global_offset_z
      - .offset:         192
        .size:           2
        .value_kind:     hidden_grid_dims
    .group_segment_fixed_size: 0
    .kernarg_segment_align: 8
    .kernarg_segment_size: 384
    .language:       OpenCL C
    .language_version:
      - 2
      - 0
    .max_flat_workgroup_size: 1024
    .name:           _ZN4vllm38concat_and_cache_mla_rope_fused_kernelIN3c104HalfENS1_8BFloat16ELb1E14__hip_bfloat16S4_LNS_18Fp8KVCacheDataTypeE0EEEvPKlPT_S9_PKS8_PKT0_illlliPT3_S7_iiiiPKf
    .private_segment_fixed_size: 0
    .sgpr_count:     48
    .sgpr_spill_count: 0
    .symbol:         _ZN4vllm38concat_and_cache_mla_rope_fused_kernelIN3c104HalfENS1_8BFloat16ELb1E14__hip_bfloat16S4_LNS_18Fp8KVCacheDataTypeE0EEEvPKlPT_S9_PKS8_PKT0_illlliPT3_S7_iiiiPKf.kd
    .uniform_work_group_size: 1
    .uses_dynamic_stack: false
    .vgpr_count:     16
    .vgpr_spill_count: 0
    .wavefront_size: 32
    .workgroup_processor_mode: 1
  - .args:
      - .actual_access:  read_only
        .address_space:  global
        .offset:         0
        .size:           8
        .value_kind:     global_buffer
      - .address_space:  global
        .offset:         8
        .size:           8
        .value_kind:     global_buffer
      - .address_space:  global
        .offset:         16
        .size:           8
        .value_kind:     global_buffer
      - .actual_access:  read_only
        .address_space:  global
        .offset:         24
        .size:           8
        .value_kind:     global_buffer
      - .actual_access:  read_only
        .address_space:  global
        .offset:         32
        .size:           8
        .value_kind:     global_buffer
      - .offset:         40
        .size:           4
        .value_kind:     by_value
      - .offset:         48
        .size:           8
        .value_kind:     by_value
      - .offset:         56
        .size:           8
        .value_kind:     by_value
      - .offset:         64
        .size:           8
        .value_kind:     by_value
      - .offset:         72
        .size:           8
        .value_kind:     by_value
      - .offset:         80
        .size:           4
        .value_kind:     by_value
      - .actual_access:  write_only
        .address_space:  global
        .offset:         88
        .size:           8
        .value_kind:     global_buffer
      - .actual_access:  read_only
        .address_space:  global
        .offset:         96
        .size:           8
        .value_kind:     global_buffer
      - .offset:         104
        .size:           4
        .value_kind:     by_value
      - .offset:         108
        .size:           4
        .value_kind:     by_value
      - .offset:         112
        .size:           4
        .value_kind:     by_value
      - .offset:         116
        .size:           4
        .value_kind:     by_value
      - .address_space:  global
        .offset:         120
        .size:           8
        .value_kind:     global_buffer
      - .offset:         128
        .size:           4
        .value_kind:     hidden_block_count_x
      - .offset:         132
        .size:           4
        .value_kind:     hidden_block_count_y
      - .offset:         136
        .size:           4
        .value_kind:     hidden_block_count_z
      - .offset:         140
        .size:           2
        .value_kind:     hidden_group_size_x
      - .offset:         142
        .size:           2
        .value_kind:     hidden_group_size_y
      - .offset:         144
        .size:           2
        .value_kind:     hidden_group_size_z
      - .offset:         146
        .size:           2
        .value_kind:     hidden_remainder_x
      - .offset:         148
        .size:           2
        .value_kind:     hidden_remainder_y
      - .offset:         150
        .size:           2
        .value_kind:     hidden_remainder_z
      - .offset:         168
        .size:           8
        .value_kind:     hidden_global_offset_x
      - .offset:         176
        .size:           8
        .value_kind:     hidden_global_offset_y
      - .offset:         184
        .size:           8
        .value_kind:     hidden_global_offset_z
      - .offset:         192
        .size:           2
        .value_kind:     hidden_grid_dims
    .group_segment_fixed_size: 0
    .kernarg_segment_align: 8
    .kernarg_segment_size: 384
    .language:       OpenCL C
    .language_version:
      - 2
      - 0
    .max_flat_workgroup_size: 1024
    .name:           _ZN4vllm38concat_and_cache_mla_rope_fused_kernelIN3c104HalfENS1_8BFloat16ELb0E14__hip_bfloat16S4_LNS_18Fp8KVCacheDataTypeE0EEEvPKlPT_S9_PKS8_PKT0_illlliPT3_S7_iiiiPKf
    .private_segment_fixed_size: 0
    .sgpr_count:     45
    .sgpr_spill_count: 0
    .symbol:         _ZN4vllm38concat_and_cache_mla_rope_fused_kernelIN3c104HalfENS1_8BFloat16ELb0E14__hip_bfloat16S4_LNS_18Fp8KVCacheDataTypeE0EEEvPKlPT_S9_PKS8_PKT0_illlliPT3_S7_iiiiPKf.kd
    .uniform_work_group_size: 1
    .uses_dynamic_stack: false
    .vgpr_count:     17
    .vgpr_spill_count: 0
    .wavefront_size: 32
    .workgroup_processor_mode: 1
  - .args:
      - .actual_access:  read_only
        .address_space:  global
        .offset:         0
        .size:           8
        .value_kind:     global_buffer
      - .address_space:  global
        .offset:         8
        .size:           8
        .value_kind:     global_buffer
      - .address_space:  global
        .offset:         16
        .size:           8
        .value_kind:     global_buffer
      - .actual_access:  read_only
        .address_space:  global
        .offset:         24
        .size:           8
        .value_kind:     global_buffer
      - .actual_access:  read_only
        .address_space:  global
        .offset:         32
        .size:           8
        .value_kind:     global_buffer
      - .offset:         40
        .size:           4
        .value_kind:     by_value
      - .offset:         48
        .size:           8
        .value_kind:     by_value
      - .offset:         56
        .size:           8
        .value_kind:     by_value
      - .offset:         64
        .size:           8
        .value_kind:     by_value
      - .offset:         72
        .size:           8
        .value_kind:     by_value
      - .offset:         80
        .size:           4
        .value_kind:     by_value
      - .actual_access:  write_only
        .address_space:  global
        .offset:         88
        .size:           8
        .value_kind:     global_buffer
      - .actual_access:  read_only
        .address_space:  global
        .offset:         96
        .size:           8
        .value_kind:     global_buffer
      - .offset:         104
        .size:           4
        .value_kind:     by_value
      - .offset:         108
        .size:           4
        .value_kind:     by_value
      - .offset:         112
        .size:           4
        .value_kind:     by_value
      - .offset:         116
        .size:           4
        .value_kind:     by_value
      - .address_space:  global
        .offset:         120
        .size:           8
        .value_kind:     global_buffer
      - .offset:         128
        .size:           4
        .value_kind:     hidden_block_count_x
      - .offset:         132
        .size:           4
        .value_kind:     hidden_block_count_y
      - .offset:         136
        .size:           4
        .value_kind:     hidden_block_count_z
      - .offset:         140
        .size:           2
        .value_kind:     hidden_group_size_x
      - .offset:         142
        .size:           2
        .value_kind:     hidden_group_size_y
      - .offset:         144
        .size:           2
        .value_kind:     hidden_group_size_z
      - .offset:         146
        .size:           2
        .value_kind:     hidden_remainder_x
      - .offset:         148
        .size:           2
        .value_kind:     hidden_remainder_y
      - .offset:         150
        .size:           2
        .value_kind:     hidden_remainder_z
      - .offset:         168
        .size:           8
        .value_kind:     hidden_global_offset_x
      - .offset:         176
        .size:           8
        .value_kind:     hidden_global_offset_y
      - .offset:         184
        .size:           8
        .value_kind:     hidden_global_offset_z
      - .offset:         192
        .size:           2
        .value_kind:     hidden_grid_dims
    .group_segment_fixed_size: 0
    .kernarg_segment_align: 8
    .kernarg_segment_size: 384
    .language:       OpenCL C
    .language_version:
      - 2
      - 0
    .max_flat_workgroup_size: 1024
    .name:           _ZN4vllm38concat_and_cache_mla_rope_fused_kernelIN3c108BFloat16EfLb1E14__hip_bfloat16S3_LNS_18Fp8KVCacheDataTypeE0EEEvPKlPT_S8_PKS7_PKT0_illlliPT3_S6_iiiiPKf
    .private_segment_fixed_size: 0
    .sgpr_count:     48
    .sgpr_spill_count: 0
    .symbol:         _ZN4vllm38concat_and_cache_mla_rope_fused_kernelIN3c108BFloat16EfLb1E14__hip_bfloat16S3_LNS_18Fp8KVCacheDataTypeE0EEEvPKlPT_S8_PKS7_PKT0_illlliPT3_S6_iiiiPKf.kd
    .uniform_work_group_size: 1
    .uses_dynamic_stack: false
    .vgpr_count:     21
    .vgpr_spill_count: 0
    .wavefront_size: 32
    .workgroup_processor_mode: 1
  - .args:
      - .actual_access:  read_only
        .address_space:  global
        .offset:         0
        .size:           8
        .value_kind:     global_buffer
      - .address_space:  global
        .offset:         8
        .size:           8
        .value_kind:     global_buffer
      - .address_space:  global
        .offset:         16
        .size:           8
        .value_kind:     global_buffer
      - .actual_access:  read_only
        .address_space:  global
        .offset:         24
        .size:           8
        .value_kind:     global_buffer
      - .actual_access:  read_only
        .address_space:  global
        .offset:         32
        .size:           8
        .value_kind:     global_buffer
      - .offset:         40
        .size:           4
        .value_kind:     by_value
      - .offset:         48
        .size:           8
        .value_kind:     by_value
      - .offset:         56
        .size:           8
        .value_kind:     by_value
      - .offset:         64
        .size:           8
        .value_kind:     by_value
      - .offset:         72
        .size:           8
        .value_kind:     by_value
      - .offset:         80
        .size:           4
        .value_kind:     by_value
      - .actual_access:  write_only
        .address_space:  global
        .offset:         88
        .size:           8
        .value_kind:     global_buffer
      - .actual_access:  read_only
        .address_space:  global
        .offset:         96
        .size:           8
        .value_kind:     global_buffer
      - .offset:         104
        .size:           4
        .value_kind:     by_value
      - .offset:         108
        .size:           4
        .value_kind:     by_value
      - .offset:         112
        .size:           4
        .value_kind:     by_value
      - .offset:         116
        .size:           4
        .value_kind:     by_value
      - .address_space:  global
        .offset:         120
        .size:           8
        .value_kind:     global_buffer
      - .offset:         128
        .size:           4
        .value_kind:     hidden_block_count_x
      - .offset:         132
        .size:           4
        .value_kind:     hidden_block_count_y
      - .offset:         136
        .size:           4
        .value_kind:     hidden_block_count_z
      - .offset:         140
        .size:           2
        .value_kind:     hidden_group_size_x
      - .offset:         142
        .size:           2
        .value_kind:     hidden_group_size_y
      - .offset:         144
        .size:           2
        .value_kind:     hidden_group_size_z
      - .offset:         146
        .size:           2
        .value_kind:     hidden_remainder_x
      - .offset:         148
        .size:           2
        .value_kind:     hidden_remainder_y
      - .offset:         150
        .size:           2
        .value_kind:     hidden_remainder_z
      - .offset:         168
        .size:           8
        .value_kind:     hidden_global_offset_x
      - .offset:         176
        .size:           8
        .value_kind:     hidden_global_offset_y
      - .offset:         184
        .size:           8
        .value_kind:     hidden_global_offset_z
      - .offset:         192
        .size:           2
        .value_kind:     hidden_grid_dims
    .group_segment_fixed_size: 0
    .kernarg_segment_align: 8
    .kernarg_segment_size: 384
    .language:       OpenCL C
    .language_version:
      - 2
      - 0
    .max_flat_workgroup_size: 1024
    .name:           _ZN4vllm38concat_and_cache_mla_rope_fused_kernelIN3c108BFloat16EfLb0E14__hip_bfloat16S3_LNS_18Fp8KVCacheDataTypeE0EEEvPKlPT_S8_PKS7_PKT0_illlliPT3_S6_iiiiPKf
    .private_segment_fixed_size: 0
    .sgpr_count:     45
    .sgpr_spill_count: 0
    .symbol:         _ZN4vllm38concat_and_cache_mla_rope_fused_kernelIN3c108BFloat16EfLb0E14__hip_bfloat16S3_LNS_18Fp8KVCacheDataTypeE0EEEvPKlPT_S8_PKS7_PKT0_illlliPT3_S6_iiiiPKf.kd
    .uniform_work_group_size: 1
    .uses_dynamic_stack: false
    .vgpr_count:     20
    .vgpr_spill_count: 0
    .wavefront_size: 32
    .workgroup_processor_mode: 1
  - .args:
      - .actual_access:  read_only
        .address_space:  global
        .offset:         0
        .size:           8
        .value_kind:     global_buffer
      - .address_space:  global
        .offset:         8
        .size:           8
        .value_kind:     global_buffer
      - .address_space:  global
        .offset:         16
        .size:           8
        .value_kind:     global_buffer
      - .actual_access:  read_only
        .address_space:  global
        .offset:         24
        .size:           8
        .value_kind:     global_buffer
      - .actual_access:  read_only
        .address_space:  global
        .offset:         32
        .size:           8
        .value_kind:     global_buffer
      - .offset:         40
        .size:           4
        .value_kind:     by_value
      - .offset:         48
        .size:           8
        .value_kind:     by_value
      - .offset:         56
        .size:           8
        .value_kind:     by_value
      - .offset:         64
        .size:           8
        .value_kind:     by_value
      - .offset:         72
        .size:           8
        .value_kind:     by_value
      - .offset:         80
        .size:           4
        .value_kind:     by_value
      - .actual_access:  write_only
        .address_space:  global
        .offset:         88
        .size:           8
        .value_kind:     global_buffer
      - .actual_access:  read_only
        .address_space:  global
        .offset:         96
        .size:           8
        .value_kind:     global_buffer
      - .offset:         104
        .size:           4
        .value_kind:     by_value
      - .offset:         108
        .size:           4
        .value_kind:     by_value
      - .offset:         112
        .size:           4
        .value_kind:     by_value
      - .offset:         116
        .size:           4
        .value_kind:     by_value
      - .address_space:  global
        .offset:         120
        .size:           8
        .value_kind:     global_buffer
      - .offset:         128
        .size:           4
        .value_kind:     hidden_block_count_x
      - .offset:         132
        .size:           4
        .value_kind:     hidden_block_count_y
      - .offset:         136
        .size:           4
        .value_kind:     hidden_block_count_z
      - .offset:         140
        .size:           2
        .value_kind:     hidden_group_size_x
      - .offset:         142
        .size:           2
        .value_kind:     hidden_group_size_y
      - .offset:         144
        .size:           2
        .value_kind:     hidden_group_size_z
      - .offset:         146
        .size:           2
        .value_kind:     hidden_remainder_x
      - .offset:         148
        .size:           2
        .value_kind:     hidden_remainder_y
      - .offset:         150
        .size:           2
        .value_kind:     hidden_remainder_z
      - .offset:         168
        .size:           8
        .value_kind:     hidden_global_offset_x
      - .offset:         176
        .size:           8
        .value_kind:     hidden_global_offset_y
      - .offset:         184
        .size:           8
        .value_kind:     hidden_global_offset_z
      - .offset:         192
        .size:           2
        .value_kind:     hidden_grid_dims
    .group_segment_fixed_size: 0
    .kernarg_segment_align: 8
    .kernarg_segment_size: 384
    .language:       OpenCL C
    .language_version:
      - 2
      - 0
    .max_flat_workgroup_size: 1024
    .name:           _ZN4vllm38concat_and_cache_mla_rope_fused_kernelIN3c108BFloat16ENS1_4HalfELb1E14__hip_bfloat16S4_LNS_18Fp8KVCacheDataTypeE0EEEvPKlPT_S9_PKS8_PKT0_illlliPT3_S7_iiiiPKf
    .private_segment_fixed_size: 0
    .sgpr_count:     48
    .sgpr_spill_count: 0
    .symbol:         _ZN4vllm38concat_and_cache_mla_rope_fused_kernelIN3c108BFloat16ENS1_4HalfELb1E14__hip_bfloat16S4_LNS_18Fp8KVCacheDataTypeE0EEEvPKlPT_S9_PKS8_PKT0_illlliPT3_S7_iiiiPKf.kd
    .uniform_work_group_size: 1
    .uses_dynamic_stack: false
    .vgpr_count:     19
    .vgpr_spill_count: 0
    .wavefront_size: 32
    .workgroup_processor_mode: 1
  - .args:
      - .actual_access:  read_only
        .address_space:  global
        .offset:         0
        .size:           8
        .value_kind:     global_buffer
      - .address_space:  global
        .offset:         8
        .size:           8
        .value_kind:     global_buffer
      - .address_space:  global
        .offset:         16
        .size:           8
        .value_kind:     global_buffer
      - .actual_access:  read_only
        .address_space:  global
        .offset:         24
        .size:           8
        .value_kind:     global_buffer
      - .actual_access:  read_only
        .address_space:  global
        .offset:         32
        .size:           8
        .value_kind:     global_buffer
      - .offset:         40
        .size:           4
        .value_kind:     by_value
      - .offset:         48
        .size:           8
        .value_kind:     by_value
      - .offset:         56
        .size:           8
        .value_kind:     by_value
      - .offset:         64
        .size:           8
        .value_kind:     by_value
      - .offset:         72
        .size:           8
        .value_kind:     by_value
      - .offset:         80
        .size:           4
        .value_kind:     by_value
      - .actual_access:  write_only
        .address_space:  global
        .offset:         88
        .size:           8
        .value_kind:     global_buffer
      - .actual_access:  read_only
        .address_space:  global
        .offset:         96
        .size:           8
        .value_kind:     global_buffer
      - .offset:         104
        .size:           4
        .value_kind:     by_value
      - .offset:         108
        .size:           4
        .value_kind:     by_value
      - .offset:         112
        .size:           4
        .value_kind:     by_value
      - .offset:         116
        .size:           4
        .value_kind:     by_value
      - .address_space:  global
        .offset:         120
        .size:           8
        .value_kind:     global_buffer
      - .offset:         128
        .size:           4
        .value_kind:     hidden_block_count_x
      - .offset:         132
        .size:           4
        .value_kind:     hidden_block_count_y
      - .offset:         136
        .size:           4
        .value_kind:     hidden_block_count_z
      - .offset:         140
        .size:           2
        .value_kind:     hidden_group_size_x
      - .offset:         142
        .size:           2
        .value_kind:     hidden_group_size_y
      - .offset:         144
        .size:           2
        .value_kind:     hidden_group_size_z
      - .offset:         146
        .size:           2
        .value_kind:     hidden_remainder_x
      - .offset:         148
        .size:           2
        .value_kind:     hidden_remainder_y
      - .offset:         150
        .size:           2
        .value_kind:     hidden_remainder_z
      - .offset:         168
        .size:           8
        .value_kind:     hidden_global_offset_x
      - .offset:         176
        .size:           8
        .value_kind:     hidden_global_offset_y
      - .offset:         184
        .size:           8
        .value_kind:     hidden_global_offset_z
      - .offset:         192
        .size:           2
        .value_kind:     hidden_grid_dims
    .group_segment_fixed_size: 0
    .kernarg_segment_align: 8
    .kernarg_segment_size: 384
    .language:       OpenCL C
    .language_version:
      - 2
      - 0
    .max_flat_workgroup_size: 1024
    .name:           _ZN4vllm38concat_and_cache_mla_rope_fused_kernelIN3c108BFloat16ENS1_4HalfELb0E14__hip_bfloat16S4_LNS_18Fp8KVCacheDataTypeE0EEEvPKlPT_S9_PKS8_PKT0_illlliPT3_S7_iiiiPKf
    .private_segment_fixed_size: 0
    .sgpr_count:     45
    .sgpr_spill_count: 0
    .symbol:         _ZN4vllm38concat_and_cache_mla_rope_fused_kernelIN3c108BFloat16ENS1_4HalfELb0E14__hip_bfloat16S4_LNS_18Fp8KVCacheDataTypeE0EEEvPKlPT_S9_PKS8_PKT0_illlliPT3_S7_iiiiPKf.kd
    .uniform_work_group_size: 1
    .uses_dynamic_stack: false
    .vgpr_count:     18
    .vgpr_spill_count: 0
    .wavefront_size: 32
    .workgroup_processor_mode: 1
  - .args:
      - .actual_access:  read_only
        .address_space:  global
        .offset:         0
        .size:           8
        .value_kind:     global_buffer
      - .address_space:  global
        .offset:         8
        .size:           8
        .value_kind:     global_buffer
      - .address_space:  global
        .offset:         16
        .size:           8
        .value_kind:     global_buffer
      - .actual_access:  read_only
        .address_space:  global
        .offset:         24
        .size:           8
        .value_kind:     global_buffer
      - .actual_access:  read_only
        .address_space:  global
        .offset:         32
        .size:           8
        .value_kind:     global_buffer
      - .offset:         40
        .size:           4
        .value_kind:     by_value
      - .offset:         48
        .size:           8
        .value_kind:     by_value
      - .offset:         56
        .size:           8
        .value_kind:     by_value
      - .offset:         64
        .size:           8
        .value_kind:     by_value
      - .offset:         72
        .size:           8
        .value_kind:     by_value
      - .offset:         80
        .size:           4
        .value_kind:     by_value
      - .actual_access:  write_only
        .address_space:  global
        .offset:         88
        .size:           8
        .value_kind:     global_buffer
      - .actual_access:  read_only
        .address_space:  global
        .offset:         96
        .size:           8
        .value_kind:     global_buffer
      - .offset:         104
        .size:           4
        .value_kind:     by_value
      - .offset:         108
        .size:           4
        .value_kind:     by_value
      - .offset:         112
        .size:           4
        .value_kind:     by_value
      - .offset:         116
        .size:           4
        .value_kind:     by_value
      - .address_space:  global
        .offset:         120
        .size:           8
        .value_kind:     global_buffer
      - .offset:         128
        .size:           4
        .value_kind:     hidden_block_count_x
      - .offset:         132
        .size:           4
        .value_kind:     hidden_block_count_y
      - .offset:         136
        .size:           4
        .value_kind:     hidden_block_count_z
      - .offset:         140
        .size:           2
        .value_kind:     hidden_group_size_x
      - .offset:         142
        .size:           2
        .value_kind:     hidden_group_size_y
      - .offset:         144
        .size:           2
        .value_kind:     hidden_group_size_z
      - .offset:         146
        .size:           2
        .value_kind:     hidden_remainder_x
      - .offset:         148
        .size:           2
        .value_kind:     hidden_remainder_y
      - .offset:         150
        .size:           2
        .value_kind:     hidden_remainder_z
      - .offset:         168
        .size:           8
        .value_kind:     hidden_global_offset_x
      - .offset:         176
        .size:           8
        .value_kind:     hidden_global_offset_y
      - .offset:         184
        .size:           8
        .value_kind:     hidden_global_offset_z
      - .offset:         192
        .size:           2
        .value_kind:     hidden_grid_dims
    .group_segment_fixed_size: 0
    .kernarg_segment_align: 8
    .kernarg_segment_size: 384
    .language:       OpenCL C
    .language_version:
      - 2
      - 0
    .max_flat_workgroup_size: 1024
    .name:           _ZN4vllm38concat_and_cache_mla_rope_fused_kernelIN3c108BFloat16ES2_Lb1E14__hip_bfloat16S3_LNS_18Fp8KVCacheDataTypeE0EEEvPKlPT_S8_PKS7_PKT0_illlliPT3_S6_iiiiPKf
    .private_segment_fixed_size: 0
    .sgpr_count:     48
    .sgpr_spill_count: 0
    .symbol:         _ZN4vllm38concat_and_cache_mla_rope_fused_kernelIN3c108BFloat16ES2_Lb1E14__hip_bfloat16S3_LNS_18Fp8KVCacheDataTypeE0EEEvPKlPT_S8_PKS7_PKT0_illlliPT3_S6_iiiiPKf.kd
    .uniform_work_group_size: 1
    .uses_dynamic_stack: false
    .vgpr_count:     19
    .vgpr_spill_count: 0
    .wavefront_size: 32
    .workgroup_processor_mode: 1
  - .args:
      - .actual_access:  read_only
        .address_space:  global
        .offset:         0
        .size:           8
        .value_kind:     global_buffer
      - .address_space:  global
        .offset:         8
        .size:           8
        .value_kind:     global_buffer
      - .address_space:  global
        .offset:         16
        .size:           8
        .value_kind:     global_buffer
      - .actual_access:  read_only
        .address_space:  global
        .offset:         24
        .size:           8
        .value_kind:     global_buffer
      - .actual_access:  read_only
        .address_space:  global
        .offset:         32
        .size:           8
        .value_kind:     global_buffer
      - .offset:         40
        .size:           4
        .value_kind:     by_value
      - .offset:         48
        .size:           8
        .value_kind:     by_value
      - .offset:         56
        .size:           8
        .value_kind:     by_value
      - .offset:         64
        .size:           8
        .value_kind:     by_value
      - .offset:         72
        .size:           8
        .value_kind:     by_value
      - .offset:         80
        .size:           4
        .value_kind:     by_value
      - .actual_access:  write_only
        .address_space:  global
        .offset:         88
        .size:           8
        .value_kind:     global_buffer
      - .actual_access:  read_only
        .address_space:  global
        .offset:         96
        .size:           8
        .value_kind:     global_buffer
      - .offset:         104
        .size:           4
        .value_kind:     by_value
      - .offset:         108
        .size:           4
        .value_kind:     by_value
      - .offset:         112
        .size:           4
        .value_kind:     by_value
      - .offset:         116
        .size:           4
        .value_kind:     by_value
      - .address_space:  global
        .offset:         120
        .size:           8
        .value_kind:     global_buffer
      - .offset:         128
        .size:           4
        .value_kind:     hidden_block_count_x
      - .offset:         132
        .size:           4
        .value_kind:     hidden_block_count_y
      - .offset:         136
        .size:           4
        .value_kind:     hidden_block_count_z
      - .offset:         140
        .size:           2
        .value_kind:     hidden_group_size_x
      - .offset:         142
        .size:           2
        .value_kind:     hidden_group_size_y
      - .offset:         144
        .size:           2
        .value_kind:     hidden_group_size_z
      - .offset:         146
        .size:           2
        .value_kind:     hidden_remainder_x
      - .offset:         148
        .size:           2
        .value_kind:     hidden_remainder_y
      - .offset:         150
        .size:           2
        .value_kind:     hidden_remainder_z
      - .offset:         168
        .size:           8
        .value_kind:     hidden_global_offset_x
      - .offset:         176
        .size:           8
        .value_kind:     hidden_global_offset_y
      - .offset:         184
        .size:           8
        .value_kind:     hidden_global_offset_z
      - .offset:         192
        .size:           2
        .value_kind:     hidden_grid_dims
    .group_segment_fixed_size: 0
    .kernarg_segment_align: 8
    .kernarg_segment_size: 384
    .language:       OpenCL C
    .language_version:
      - 2
      - 0
    .max_flat_workgroup_size: 1024
    .name:           _ZN4vllm38concat_and_cache_mla_rope_fused_kernelIN3c108BFloat16ES2_Lb0E14__hip_bfloat16S3_LNS_18Fp8KVCacheDataTypeE0EEEvPKlPT_S8_PKS7_PKT0_illlliPT3_S6_iiiiPKf
    .private_segment_fixed_size: 0
    .sgpr_count:     45
    .sgpr_spill_count: 0
    .symbol:         _ZN4vllm38concat_and_cache_mla_rope_fused_kernelIN3c108BFloat16ES2_Lb0E14__hip_bfloat16S3_LNS_18Fp8KVCacheDataTypeE0EEEvPKlPT_S8_PKS7_PKT0_illlliPT3_S6_iiiiPKf.kd
    .uniform_work_group_size: 1
    .uses_dynamic_stack: false
    .vgpr_count:     18
    .vgpr_spill_count: 0
    .wavefront_size: 32
    .workgroup_processor_mode: 1
  - .args:
      - .actual_access:  read_only
        .address_space:  global
        .offset:         0
        .size:           8
        .value_kind:     global_buffer
      - .address_space:  global
        .offset:         8
        .size:           8
        .value_kind:     global_buffer
      - .address_space:  global
        .offset:         16
        .size:           8
        .value_kind:     global_buffer
      - .actual_access:  read_only
        .address_space:  global
        .offset:         24
        .size:           8
        .value_kind:     global_buffer
      - .actual_access:  read_only
        .address_space:  global
        .offset:         32
        .size:           8
        .value_kind:     global_buffer
      - .offset:         40
        .size:           4
        .value_kind:     by_value
      - .offset:         48
        .size:           8
        .value_kind:     by_value
      - .offset:         56
        .size:           8
        .value_kind:     by_value
      - .offset:         64
        .size:           8
        .value_kind:     by_value
      - .offset:         72
        .size:           8
        .value_kind:     by_value
      - .offset:         80
        .size:           4
        .value_kind:     by_value
      - .actual_access:  write_only
        .address_space:  global
        .offset:         88
        .size:           8
        .value_kind:     global_buffer
      - .actual_access:  read_only
        .address_space:  global
        .offset:         96
        .size:           8
        .value_kind:     global_buffer
      - .offset:         104
        .size:           4
        .value_kind:     by_value
      - .offset:         108
        .size:           4
        .value_kind:     by_value
      - .offset:         112
        .size:           4
        .value_kind:     by_value
      - .offset:         116
        .size:           4
        .value_kind:     by_value
      - .address_space:  global
        .offset:         120
        .size:           8
        .value_kind:     global_buffer
      - .offset:         128
        .size:           4
        .value_kind:     hidden_block_count_x
      - .offset:         132
        .size:           4
        .value_kind:     hidden_block_count_y
      - .offset:         136
        .size:           4
        .value_kind:     hidden_block_count_z
      - .offset:         140
        .size:           2
        .value_kind:     hidden_group_size_x
      - .offset:         142
        .size:           2
        .value_kind:     hidden_group_size_y
      - .offset:         144
        .size:           2
        .value_kind:     hidden_group_size_z
      - .offset:         146
        .size:           2
        .value_kind:     hidden_remainder_x
      - .offset:         148
        .size:           2
        .value_kind:     hidden_remainder_y
      - .offset:         150
        .size:           2
        .value_kind:     hidden_remainder_z
      - .offset:         168
        .size:           8
        .value_kind:     hidden_global_offset_x
      - .offset:         176
        .size:           8
        .value_kind:     hidden_global_offset_y
      - .offset:         184
        .size:           8
        .value_kind:     hidden_global_offset_z
      - .offset:         192
        .size:           2
        .value_kind:     hidden_grid_dims
    .group_segment_fixed_size: 0
    .kernarg_segment_align: 8
    .kernarg_segment_size: 384
    .language:       OpenCL C
    .language_version:
      - 2
      - 0
    .max_flat_workgroup_size: 1024
    .name:           _ZN4vllm38concat_and_cache_mla_rope_fused_kernelIffLb1EfhLNS_18Fp8KVCacheDataTypeE1EEEvPKlPT_S5_PKS4_PKT0_illlliPT3_S3_iiiiPKf
    .private_segment_fixed_size: 0
    .sgpr_count:     48
    .sgpr_spill_count: 0
    .symbol:         _ZN4vllm38concat_and_cache_mla_rope_fused_kernelIffLb1EfhLNS_18Fp8KVCacheDataTypeE1EEEvPKlPT_S5_PKS4_PKT0_illlliPT3_S3_iiiiPKf.kd
    .uniform_work_group_size: 1
    .uses_dynamic_stack: false
    .vgpr_count:     20
    .vgpr_spill_count: 0
    .wavefront_size: 32
    .workgroup_processor_mode: 1
  - .args:
      - .actual_access:  read_only
        .address_space:  global
        .offset:         0
        .size:           8
        .value_kind:     global_buffer
      - .address_space:  global
        .offset:         8
        .size:           8
        .value_kind:     global_buffer
      - .address_space:  global
        .offset:         16
        .size:           8
        .value_kind:     global_buffer
      - .actual_access:  read_only
        .address_space:  global
        .offset:         24
        .size:           8
        .value_kind:     global_buffer
      - .actual_access:  read_only
        .address_space:  global
        .offset:         32
        .size:           8
        .value_kind:     global_buffer
      - .offset:         40
        .size:           4
        .value_kind:     by_value
      - .offset:         48
        .size:           8
        .value_kind:     by_value
      - .offset:         56
        .size:           8
        .value_kind:     by_value
      - .offset:         64
        .size:           8
        .value_kind:     by_value
      - .offset:         72
        .size:           8
        .value_kind:     by_value
      - .offset:         80
        .size:           4
        .value_kind:     by_value
      - .actual_access:  write_only
        .address_space:  global
        .offset:         88
        .size:           8
        .value_kind:     global_buffer
      - .actual_access:  read_only
        .address_space:  global
        .offset:         96
        .size:           8
        .value_kind:     global_buffer
      - .offset:         104
        .size:           4
        .value_kind:     by_value
      - .offset:         108
        .size:           4
        .value_kind:     by_value
      - .offset:         112
        .size:           4
        .value_kind:     by_value
      - .offset:         116
        .size:           4
        .value_kind:     by_value
      - .address_space:  global
        .offset:         120
        .size:           8
        .value_kind:     global_buffer
      - .offset:         128
        .size:           4
        .value_kind:     hidden_block_count_x
      - .offset:         132
        .size:           4
        .value_kind:     hidden_block_count_y
      - .offset:         136
        .size:           4
        .value_kind:     hidden_block_count_z
      - .offset:         140
        .size:           2
        .value_kind:     hidden_group_size_x
      - .offset:         142
        .size:           2
        .value_kind:     hidden_group_size_y
      - .offset:         144
        .size:           2
        .value_kind:     hidden_group_size_z
      - .offset:         146
        .size:           2
        .value_kind:     hidden_remainder_x
      - .offset:         148
        .size:           2
        .value_kind:     hidden_remainder_y
      - .offset:         150
        .size:           2
        .value_kind:     hidden_remainder_z
      - .offset:         168
        .size:           8
        .value_kind:     hidden_global_offset_x
      - .offset:         176
        .size:           8
        .value_kind:     hidden_global_offset_y
      - .offset:         184
        .size:           8
        .value_kind:     hidden_global_offset_z
      - .offset:         192
        .size:           2
        .value_kind:     hidden_grid_dims
    .group_segment_fixed_size: 0
    .kernarg_segment_align: 8
    .kernarg_segment_size: 384
    .language:       OpenCL C
    .language_version:
      - 2
      - 0
    .max_flat_workgroup_size: 1024
    .name:           _ZN4vllm38concat_and_cache_mla_rope_fused_kernelIffLb0EfhLNS_18Fp8KVCacheDataTypeE1EEEvPKlPT_S5_PKS4_PKT0_illlliPT3_S3_iiiiPKf
    .private_segment_fixed_size: 0
    .sgpr_count:     45
    .sgpr_spill_count: 0
    .symbol:         _ZN4vllm38concat_and_cache_mla_rope_fused_kernelIffLb0EfhLNS_18Fp8KVCacheDataTypeE1EEEvPKlPT_S5_PKS4_PKT0_illlliPT3_S3_iiiiPKf.kd
    .uniform_work_group_size: 1
    .uses_dynamic_stack: false
    .vgpr_count:     20
    .vgpr_spill_count: 0
    .wavefront_size: 32
    .workgroup_processor_mode: 1
  - .args:
      - .actual_access:  read_only
        .address_space:  global
        .offset:         0
        .size:           8
        .value_kind:     global_buffer
      - .address_space:  global
        .offset:         8
        .size:           8
        .value_kind:     global_buffer
      - .address_space:  global
        .offset:         16
        .size:           8
        .value_kind:     global_buffer
      - .actual_access:  read_only
        .address_space:  global
        .offset:         24
        .size:           8
        .value_kind:     global_buffer
      - .actual_access:  read_only
        .address_space:  global
        .offset:         32
        .size:           8
        .value_kind:     global_buffer
      - .offset:         40
        .size:           4
        .value_kind:     by_value
      - .offset:         48
        .size:           8
        .value_kind:     by_value
      - .offset:         56
        .size:           8
        .value_kind:     by_value
      - .offset:         64
        .size:           8
        .value_kind:     by_value
      - .offset:         72
        .size:           8
        .value_kind:     by_value
      - .offset:         80
        .size:           4
        .value_kind:     by_value
      - .actual_access:  write_only
        .address_space:  global
        .offset:         88
        .size:           8
        .value_kind:     global_buffer
      - .actual_access:  read_only
        .address_space:  global
        .offset:         96
        .size:           8
        .value_kind:     global_buffer
      - .offset:         104
        .size:           4
        .value_kind:     by_value
      - .offset:         108
        .size:           4
        .value_kind:     by_value
      - .offset:         112
        .size:           4
        .value_kind:     by_value
      - .offset:         116
        .size:           4
        .value_kind:     by_value
      - .address_space:  global
        .offset:         120
        .size:           8
        .value_kind:     global_buffer
      - .offset:         128
        .size:           4
        .value_kind:     hidden_block_count_x
      - .offset:         132
        .size:           4
        .value_kind:     hidden_block_count_y
      - .offset:         136
        .size:           4
        .value_kind:     hidden_block_count_z
      - .offset:         140
        .size:           2
        .value_kind:     hidden_group_size_x
      - .offset:         142
        .size:           2
        .value_kind:     hidden_group_size_y
      - .offset:         144
        .size:           2
        .value_kind:     hidden_group_size_z
      - .offset:         146
        .size:           2
        .value_kind:     hidden_remainder_x
      - .offset:         148
        .size:           2
        .value_kind:     hidden_remainder_y
      - .offset:         150
        .size:           2
        .value_kind:     hidden_remainder_z
      - .offset:         168
        .size:           8
        .value_kind:     hidden_global_offset_x
      - .offset:         176
        .size:           8
        .value_kind:     hidden_global_offset_y
      - .offset:         184
        .size:           8
        .value_kind:     hidden_global_offset_z
      - .offset:         192
        .size:           2
        .value_kind:     hidden_grid_dims
    .group_segment_fixed_size: 0
    .kernarg_segment_align: 8
    .kernarg_segment_size: 384
    .language:       OpenCL C
    .language_version:
      - 2
      - 0
    .max_flat_workgroup_size: 1024
    .name:           _ZN4vllm38concat_and_cache_mla_rope_fused_kernelIfN3c104HalfELb1EfhLNS_18Fp8KVCacheDataTypeE1EEEvPKlPT_S7_PKS6_PKT0_illlliPT3_S5_iiiiPKf
    .private_segment_fixed_size: 0
    .sgpr_count:     47
    .sgpr_spill_count: 0
    .symbol:         _ZN4vllm38concat_and_cache_mla_rope_fused_kernelIfN3c104HalfELb1EfhLNS_18Fp8KVCacheDataTypeE1EEEvPKlPT_S7_PKS6_PKT0_illlliPT3_S5_iiiiPKf.kd
    .uniform_work_group_size: 1
    .uses_dynamic_stack: false
    .vgpr_count:     18
    .vgpr_spill_count: 0
    .wavefront_size: 32
    .workgroup_processor_mode: 1
  - .args:
      - .actual_access:  read_only
        .address_space:  global
        .offset:         0
        .size:           8
        .value_kind:     global_buffer
      - .address_space:  global
        .offset:         8
        .size:           8
        .value_kind:     global_buffer
      - .address_space:  global
        .offset:         16
        .size:           8
        .value_kind:     global_buffer
      - .actual_access:  read_only
        .address_space:  global
        .offset:         24
        .size:           8
        .value_kind:     global_buffer
      - .actual_access:  read_only
        .address_space:  global
        .offset:         32
        .size:           8
        .value_kind:     global_buffer
      - .offset:         40
        .size:           4
        .value_kind:     by_value
      - .offset:         48
        .size:           8
        .value_kind:     by_value
      - .offset:         56
        .size:           8
        .value_kind:     by_value
      - .offset:         64
        .size:           8
        .value_kind:     by_value
      - .offset:         72
        .size:           8
        .value_kind:     by_value
      - .offset:         80
        .size:           4
        .value_kind:     by_value
      - .actual_access:  write_only
        .address_space:  global
        .offset:         88
        .size:           8
        .value_kind:     global_buffer
      - .actual_access:  read_only
        .address_space:  global
        .offset:         96
        .size:           8
        .value_kind:     global_buffer
      - .offset:         104
        .size:           4
        .value_kind:     by_value
      - .offset:         108
        .size:           4
        .value_kind:     by_value
      - .offset:         112
        .size:           4
        .value_kind:     by_value
      - .offset:         116
        .size:           4
        .value_kind:     by_value
      - .address_space:  global
        .offset:         120
        .size:           8
        .value_kind:     global_buffer
      - .offset:         128
        .size:           4
        .value_kind:     hidden_block_count_x
      - .offset:         132
        .size:           4
        .value_kind:     hidden_block_count_y
      - .offset:         136
        .size:           4
        .value_kind:     hidden_block_count_z
      - .offset:         140
        .size:           2
        .value_kind:     hidden_group_size_x
      - .offset:         142
        .size:           2
        .value_kind:     hidden_group_size_y
      - .offset:         144
        .size:           2
        .value_kind:     hidden_group_size_z
      - .offset:         146
        .size:           2
        .value_kind:     hidden_remainder_x
      - .offset:         148
        .size:           2
        .value_kind:     hidden_remainder_y
      - .offset:         150
        .size:           2
        .value_kind:     hidden_remainder_z
      - .offset:         168
        .size:           8
        .value_kind:     hidden_global_offset_x
      - .offset:         176
        .size:           8
        .value_kind:     hidden_global_offset_y
      - .offset:         184
        .size:           8
        .value_kind:     hidden_global_offset_z
      - .offset:         192
        .size:           2
        .value_kind:     hidden_grid_dims
    .group_segment_fixed_size: 0
    .kernarg_segment_align: 8
    .kernarg_segment_size: 384
    .language:       OpenCL C
    .language_version:
      - 2
      - 0
    .max_flat_workgroup_size: 1024
    .name:           _ZN4vllm38concat_and_cache_mla_rope_fused_kernelIfN3c104HalfELb0EfhLNS_18Fp8KVCacheDataTypeE1EEEvPKlPT_S7_PKS6_PKT0_illlliPT3_S5_iiiiPKf
    .private_segment_fixed_size: 0
    .sgpr_count:     45
    .sgpr_spill_count: 0
    .symbol:         _ZN4vllm38concat_and_cache_mla_rope_fused_kernelIfN3c104HalfELb0EfhLNS_18Fp8KVCacheDataTypeE1EEEvPKlPT_S7_PKS6_PKT0_illlliPT3_S5_iiiiPKf.kd
    .uniform_work_group_size: 1
    .uses_dynamic_stack: false
    .vgpr_count:     23
    .vgpr_spill_count: 0
    .wavefront_size: 32
    .workgroup_processor_mode: 1
  - .args:
      - .actual_access:  read_only
        .address_space:  global
        .offset:         0
        .size:           8
        .value_kind:     global_buffer
      - .address_space:  global
        .offset:         8
        .size:           8
        .value_kind:     global_buffer
      - .address_space:  global
        .offset:         16
        .size:           8
        .value_kind:     global_buffer
      - .actual_access:  read_only
        .address_space:  global
        .offset:         24
        .size:           8
        .value_kind:     global_buffer
      - .actual_access:  read_only
        .address_space:  global
        .offset:         32
        .size:           8
        .value_kind:     global_buffer
      - .offset:         40
        .size:           4
        .value_kind:     by_value
      - .offset:         48
        .size:           8
        .value_kind:     by_value
      - .offset:         56
        .size:           8
        .value_kind:     by_value
      - .offset:         64
        .size:           8
        .value_kind:     by_value
      - .offset:         72
        .size:           8
        .value_kind:     by_value
      - .offset:         80
        .size:           4
        .value_kind:     by_value
      - .actual_access:  write_only
        .address_space:  global
        .offset:         88
        .size:           8
        .value_kind:     global_buffer
      - .actual_access:  read_only
        .address_space:  global
        .offset:         96
        .size:           8
        .value_kind:     global_buffer
      - .offset:         104
        .size:           4
        .value_kind:     by_value
      - .offset:         108
        .size:           4
        .value_kind:     by_value
      - .offset:         112
        .size:           4
        .value_kind:     by_value
      - .offset:         116
        .size:           4
        .value_kind:     by_value
      - .address_space:  global
        .offset:         120
        .size:           8
        .value_kind:     global_buffer
      - .offset:         128
        .size:           4
        .value_kind:     hidden_block_count_x
      - .offset:         132
        .size:           4
        .value_kind:     hidden_block_count_y
      - .offset:         136
        .size:           4
        .value_kind:     hidden_block_count_z
      - .offset:         140
        .size:           2
        .value_kind:     hidden_group_size_x
      - .offset:         142
        .size:           2
        .value_kind:     hidden_group_size_y
      - .offset:         144
        .size:           2
        .value_kind:     hidden_group_size_z
      - .offset:         146
        .size:           2
        .value_kind:     hidden_remainder_x
      - .offset:         148
        .size:           2
        .value_kind:     hidden_remainder_y
      - .offset:         150
        .size:           2
        .value_kind:     hidden_remainder_z
      - .offset:         168
        .size:           8
        .value_kind:     hidden_global_offset_x
      - .offset:         176
        .size:           8
        .value_kind:     hidden_global_offset_y
      - .offset:         184
        .size:           8
        .value_kind:     hidden_global_offset_z
      - .offset:         192
        .size:           2
        .value_kind:     hidden_grid_dims
    .group_segment_fixed_size: 0
    .kernarg_segment_align: 8
    .kernarg_segment_size: 384
    .language:       OpenCL C
    .language_version:
      - 2
      - 0
    .max_flat_workgroup_size: 1024
    .name:           _ZN4vllm38concat_and_cache_mla_rope_fused_kernelIfN3c108BFloat16ELb1EfhLNS_18Fp8KVCacheDataTypeE1EEEvPKlPT_S7_PKS6_PKT0_illlliPT3_S5_iiiiPKf
    .private_segment_fixed_size: 0
    .sgpr_count:     47
    .sgpr_spill_count: 0
    .symbol:         _ZN4vllm38concat_and_cache_mla_rope_fused_kernelIfN3c108BFloat16ELb1EfhLNS_18Fp8KVCacheDataTypeE1EEEvPKlPT_S7_PKS6_PKT0_illlliPT3_S5_iiiiPKf.kd
    .uniform_work_group_size: 1
    .uses_dynamic_stack: false
    .vgpr_count:     19
    .vgpr_spill_count: 0
    .wavefront_size: 32
    .workgroup_processor_mode: 1
  - .args:
      - .actual_access:  read_only
        .address_space:  global
        .offset:         0
        .size:           8
        .value_kind:     global_buffer
      - .address_space:  global
        .offset:         8
        .size:           8
        .value_kind:     global_buffer
      - .address_space:  global
        .offset:         16
        .size:           8
        .value_kind:     global_buffer
      - .actual_access:  read_only
        .address_space:  global
        .offset:         24
        .size:           8
        .value_kind:     global_buffer
      - .actual_access:  read_only
        .address_space:  global
        .offset:         32
        .size:           8
        .value_kind:     global_buffer
      - .offset:         40
        .size:           4
        .value_kind:     by_value
      - .offset:         48
        .size:           8
        .value_kind:     by_value
      - .offset:         56
        .size:           8
        .value_kind:     by_value
      - .offset:         64
        .size:           8
        .value_kind:     by_value
      - .offset:         72
        .size:           8
        .value_kind:     by_value
      - .offset:         80
        .size:           4
        .value_kind:     by_value
      - .actual_access:  write_only
        .address_space:  global
        .offset:         88
        .size:           8
        .value_kind:     global_buffer
      - .actual_access:  read_only
        .address_space:  global
        .offset:         96
        .size:           8
        .value_kind:     global_buffer
      - .offset:         104
        .size:           4
        .value_kind:     by_value
      - .offset:         108
        .size:           4
        .value_kind:     by_value
      - .offset:         112
        .size:           4
        .value_kind:     by_value
      - .offset:         116
        .size:           4
        .value_kind:     by_value
      - .address_space:  global
        .offset:         120
        .size:           8
        .value_kind:     global_buffer
      - .offset:         128
        .size:           4
        .value_kind:     hidden_block_count_x
      - .offset:         132
        .size:           4
        .value_kind:     hidden_block_count_y
      - .offset:         136
        .size:           4
        .value_kind:     hidden_block_count_z
      - .offset:         140
        .size:           2
        .value_kind:     hidden_group_size_x
      - .offset:         142
        .size:           2
        .value_kind:     hidden_group_size_y
      - .offset:         144
        .size:           2
        .value_kind:     hidden_group_size_z
      - .offset:         146
        .size:           2
        .value_kind:     hidden_remainder_x
      - .offset:         148
        .size:           2
        .value_kind:     hidden_remainder_y
      - .offset:         150
        .size:           2
        .value_kind:     hidden_remainder_z
      - .offset:         168
        .size:           8
        .value_kind:     hidden_global_offset_x
      - .offset:         176
        .size:           8
        .value_kind:     hidden_global_offset_y
      - .offset:         184
        .size:           8
        .value_kind:     hidden_global_offset_z
      - .offset:         192
        .size:           2
        .value_kind:     hidden_grid_dims
    .group_segment_fixed_size: 0
    .kernarg_segment_align: 8
    .kernarg_segment_size: 384
    .language:       OpenCL C
    .language_version:
      - 2
      - 0
    .max_flat_workgroup_size: 1024
    .name:           _ZN4vllm38concat_and_cache_mla_rope_fused_kernelIfN3c108BFloat16ELb0EfhLNS_18Fp8KVCacheDataTypeE1EEEvPKlPT_S7_PKS6_PKT0_illlliPT3_S5_iiiiPKf
    .private_segment_fixed_size: 0
    .sgpr_count:     45
    .sgpr_spill_count: 0
    .symbol:         _ZN4vllm38concat_and_cache_mla_rope_fused_kernelIfN3c108BFloat16ELb0EfhLNS_18Fp8KVCacheDataTypeE1EEEvPKlPT_S7_PKS6_PKT0_illlliPT3_S5_iiiiPKf.kd
    .uniform_work_group_size: 1
    .uses_dynamic_stack: false
    .vgpr_count:     23
    .vgpr_spill_count: 0
    .wavefront_size: 32
    .workgroup_processor_mode: 1
  - .args:
      - .actual_access:  read_only
        .address_space:  global
        .offset:         0
        .size:           8
        .value_kind:     global_buffer
      - .address_space:  global
        .offset:         8
        .size:           8
        .value_kind:     global_buffer
      - .address_space:  global
        .offset:         16
        .size:           8
        .value_kind:     global_buffer
      - .actual_access:  read_only
        .address_space:  global
        .offset:         24
        .size:           8
        .value_kind:     global_buffer
      - .actual_access:  read_only
        .address_space:  global
        .offset:         32
        .size:           8
        .value_kind:     global_buffer
      - .offset:         40
        .size:           4
        .value_kind:     by_value
      - .offset:         48
        .size:           8
        .value_kind:     by_value
      - .offset:         56
        .size:           8
        .value_kind:     by_value
      - .offset:         64
        .size:           8
        .value_kind:     by_value
      - .offset:         72
        .size:           8
        .value_kind:     by_value
      - .offset:         80
        .size:           4
        .value_kind:     by_value
      - .actual_access:  write_only
        .address_space:  global
        .offset:         88
        .size:           8
        .value_kind:     global_buffer
      - .actual_access:  read_only
        .address_space:  global
        .offset:         96
        .size:           8
        .value_kind:     global_buffer
      - .offset:         104
        .size:           4
        .value_kind:     by_value
      - .offset:         108
        .size:           4
        .value_kind:     by_value
      - .offset:         112
        .size:           4
        .value_kind:     by_value
      - .offset:         116
        .size:           4
        .value_kind:     by_value
      - .address_space:  global
        .offset:         120
        .size:           8
        .value_kind:     global_buffer
      - .offset:         128
        .size:           4
        .value_kind:     hidden_block_count_x
      - .offset:         132
        .size:           4
        .value_kind:     hidden_block_count_y
      - .offset:         136
        .size:           4
        .value_kind:     hidden_block_count_z
      - .offset:         140
        .size:           2
        .value_kind:     hidden_group_size_x
      - .offset:         142
        .size:           2
        .value_kind:     hidden_group_size_y
      - .offset:         144
        .size:           2
        .value_kind:     hidden_group_size_z
      - .offset:         146
        .size:           2
        .value_kind:     hidden_remainder_x
      - .offset:         148
        .size:           2
        .value_kind:     hidden_remainder_y
      - .offset:         150
        .size:           2
        .value_kind:     hidden_remainder_z
      - .offset:         168
        .size:           8
        .value_kind:     hidden_global_offset_x
      - .offset:         176
        .size:           8
        .value_kind:     hidden_global_offset_y
      - .offset:         184
        .size:           8
        .value_kind:     hidden_global_offset_z
      - .offset:         192
        .size:           2
        .value_kind:     hidden_grid_dims
    .group_segment_fixed_size: 4096
    .kernarg_segment_align: 8
    .kernarg_segment_size: 384
    .language:       OpenCL C
    .language_version:
      - 2
      - 0
    .max_flat_workgroup_size: 1024
    .name:           _ZN4vllm38concat_and_cache_mla_rope_fused_kernelIN3c104HalfEfLb1EfhLNS_18Fp8KVCacheDataTypeE1EEEvPKlPT_S7_PKS6_PKT0_illlliPT3_S5_iiiiPKf
    .private_segment_fixed_size: 0
    .sgpr_count:     49
    .sgpr_spill_count: 0
    .symbol:         _ZN4vllm38concat_and_cache_mla_rope_fused_kernelIN3c104HalfEfLb1EfhLNS_18Fp8KVCacheDataTypeE1EEEvPKlPT_S7_PKS6_PKT0_illlliPT3_S5_iiiiPKf.kd
    .uniform_work_group_size: 1
    .uses_dynamic_stack: false
    .vgpr_count:     21
    .vgpr_spill_count: 0
    .wavefront_size: 32
    .workgroup_processor_mode: 1
  - .args:
      - .actual_access:  read_only
        .address_space:  global
        .offset:         0
        .size:           8
        .value_kind:     global_buffer
      - .address_space:  global
        .offset:         8
        .size:           8
        .value_kind:     global_buffer
      - .address_space:  global
        .offset:         16
        .size:           8
        .value_kind:     global_buffer
      - .actual_access:  read_only
        .address_space:  global
        .offset:         24
        .size:           8
        .value_kind:     global_buffer
      - .actual_access:  read_only
        .address_space:  global
        .offset:         32
        .size:           8
        .value_kind:     global_buffer
      - .offset:         40
        .size:           4
        .value_kind:     by_value
      - .offset:         48
        .size:           8
        .value_kind:     by_value
      - .offset:         56
        .size:           8
        .value_kind:     by_value
      - .offset:         64
        .size:           8
        .value_kind:     by_value
      - .offset:         72
        .size:           8
        .value_kind:     by_value
      - .offset:         80
        .size:           4
        .value_kind:     by_value
      - .actual_access:  write_only
        .address_space:  global
        .offset:         88
        .size:           8
        .value_kind:     global_buffer
      - .actual_access:  read_only
        .address_space:  global
        .offset:         96
        .size:           8
        .value_kind:     global_buffer
      - .offset:         104
        .size:           4
        .value_kind:     by_value
      - .offset:         108
        .size:           4
        .value_kind:     by_value
      - .offset:         112
        .size:           4
        .value_kind:     by_value
      - .offset:         116
        .size:           4
        .value_kind:     by_value
      - .address_space:  global
        .offset:         120
        .size:           8
        .value_kind:     global_buffer
      - .offset:         128
        .size:           4
        .value_kind:     hidden_block_count_x
      - .offset:         132
        .size:           4
        .value_kind:     hidden_block_count_y
      - .offset:         136
        .size:           4
        .value_kind:     hidden_block_count_z
      - .offset:         140
        .size:           2
        .value_kind:     hidden_group_size_x
      - .offset:         142
        .size:           2
        .value_kind:     hidden_group_size_y
      - .offset:         144
        .size:           2
        .value_kind:     hidden_group_size_z
      - .offset:         146
        .size:           2
        .value_kind:     hidden_remainder_x
      - .offset:         148
        .size:           2
        .value_kind:     hidden_remainder_y
      - .offset:         150
        .size:           2
        .value_kind:     hidden_remainder_z
      - .offset:         168
        .size:           8
        .value_kind:     hidden_global_offset_x
      - .offset:         176
        .size:           8
        .value_kind:     hidden_global_offset_y
      - .offset:         184
        .size:           8
        .value_kind:     hidden_global_offset_z
      - .offset:         192
        .size:           2
        .value_kind:     hidden_grid_dims
    .group_segment_fixed_size: 4096
    .kernarg_segment_align: 8
    .kernarg_segment_size: 384
    .language:       OpenCL C
    .language_version:
      - 2
      - 0
    .max_flat_workgroup_size: 1024
    .name:           _ZN4vllm38concat_and_cache_mla_rope_fused_kernelIN3c104HalfEfLb0EfhLNS_18Fp8KVCacheDataTypeE1EEEvPKlPT_S7_PKS6_PKT0_illlliPT3_S5_iiiiPKf
    .private_segment_fixed_size: 0
    .sgpr_count:     47
    .sgpr_spill_count: 0
    .symbol:         _ZN4vllm38concat_and_cache_mla_rope_fused_kernelIN3c104HalfEfLb0EfhLNS_18Fp8KVCacheDataTypeE1EEEvPKlPT_S7_PKS6_PKT0_illlliPT3_S5_iiiiPKf.kd
    .uniform_work_group_size: 1
    .uses_dynamic_stack: false
    .vgpr_count:     26
    .vgpr_spill_count: 0
    .wavefront_size: 32
    .workgroup_processor_mode: 1
  - .args:
      - .actual_access:  read_only
        .address_space:  global
        .offset:         0
        .size:           8
        .value_kind:     global_buffer
      - .address_space:  global
        .offset:         8
        .size:           8
        .value_kind:     global_buffer
      - .address_space:  global
        .offset:         16
        .size:           8
        .value_kind:     global_buffer
      - .actual_access:  read_only
        .address_space:  global
        .offset:         24
        .size:           8
        .value_kind:     global_buffer
      - .actual_access:  read_only
        .address_space:  global
        .offset:         32
        .size:           8
        .value_kind:     global_buffer
      - .offset:         40
        .size:           4
        .value_kind:     by_value
      - .offset:         48
        .size:           8
        .value_kind:     by_value
      - .offset:         56
        .size:           8
        .value_kind:     by_value
      - .offset:         64
        .size:           8
        .value_kind:     by_value
      - .offset:         72
        .size:           8
        .value_kind:     by_value
      - .offset:         80
        .size:           4
        .value_kind:     by_value
      - .actual_access:  write_only
        .address_space:  global
        .offset:         88
        .size:           8
        .value_kind:     global_buffer
      - .actual_access:  read_only
        .address_space:  global
        .offset:         96
        .size:           8
        .value_kind:     global_buffer
      - .offset:         104
        .size:           4
        .value_kind:     by_value
      - .offset:         108
        .size:           4
        .value_kind:     by_value
      - .offset:         112
        .size:           4
        .value_kind:     by_value
      - .offset:         116
        .size:           4
        .value_kind:     by_value
      - .address_space:  global
        .offset:         120
        .size:           8
        .value_kind:     global_buffer
      - .offset:         128
        .size:           4
        .value_kind:     hidden_block_count_x
      - .offset:         132
        .size:           4
        .value_kind:     hidden_block_count_y
      - .offset:         136
        .size:           4
        .value_kind:     hidden_block_count_z
      - .offset:         140
        .size:           2
        .value_kind:     hidden_group_size_x
      - .offset:         142
        .size:           2
        .value_kind:     hidden_group_size_y
      - .offset:         144
        .size:           2
        .value_kind:     hidden_group_size_z
      - .offset:         146
        .size:           2
        .value_kind:     hidden_remainder_x
      - .offset:         148
        .size:           2
        .value_kind:     hidden_remainder_y
      - .offset:         150
        .size:           2
        .value_kind:     hidden_remainder_z
      - .offset:         168
        .size:           8
        .value_kind:     hidden_global_offset_x
      - .offset:         176
        .size:           8
        .value_kind:     hidden_global_offset_y
      - .offset:         184
        .size:           8
        .value_kind:     hidden_global_offset_z
      - .offset:         192
        .size:           2
        .value_kind:     hidden_grid_dims
    .group_segment_fixed_size: 4096
    .kernarg_segment_align: 8
    .kernarg_segment_size: 384
    .language:       OpenCL C
    .language_version:
      - 2
      - 0
    .max_flat_workgroup_size: 1024
    .name:           _ZN4vllm38concat_and_cache_mla_rope_fused_kernelIN3c104HalfES2_Lb1EfhLNS_18Fp8KVCacheDataTypeE1EEEvPKlPT_S7_PKS6_PKT0_illlliPT3_S5_iiiiPKf
    .private_segment_fixed_size: 0
    .sgpr_count:     50
    .sgpr_spill_count: 0
    .symbol:         _ZN4vllm38concat_and_cache_mla_rope_fused_kernelIN3c104HalfES2_Lb1EfhLNS_18Fp8KVCacheDataTypeE1EEEvPKlPT_S7_PKS6_PKT0_illlliPT3_S5_iiiiPKf.kd
    .uniform_work_group_size: 1
    .uses_dynamic_stack: false
    .vgpr_count:     23
    .vgpr_spill_count: 0
    .wavefront_size: 32
    .workgroup_processor_mode: 1
  - .args:
      - .actual_access:  read_only
        .address_space:  global
        .offset:         0
        .size:           8
        .value_kind:     global_buffer
      - .address_space:  global
        .offset:         8
        .size:           8
        .value_kind:     global_buffer
      - .address_space:  global
        .offset:         16
        .size:           8
        .value_kind:     global_buffer
      - .actual_access:  read_only
        .address_space:  global
        .offset:         24
        .size:           8
        .value_kind:     global_buffer
      - .actual_access:  read_only
        .address_space:  global
        .offset:         32
        .size:           8
        .value_kind:     global_buffer
      - .offset:         40
        .size:           4
        .value_kind:     by_value
      - .offset:         48
        .size:           8
        .value_kind:     by_value
      - .offset:         56
        .size:           8
        .value_kind:     by_value
      - .offset:         64
        .size:           8
        .value_kind:     by_value
      - .offset:         72
        .size:           8
        .value_kind:     by_value
      - .offset:         80
        .size:           4
        .value_kind:     by_value
      - .actual_access:  write_only
        .address_space:  global
        .offset:         88
        .size:           8
        .value_kind:     global_buffer
      - .actual_access:  read_only
        .address_space:  global
        .offset:         96
        .size:           8
        .value_kind:     global_buffer
      - .offset:         104
        .size:           4
        .value_kind:     by_value
      - .offset:         108
        .size:           4
        .value_kind:     by_value
      - .offset:         112
        .size:           4
        .value_kind:     by_value
      - .offset:         116
        .size:           4
        .value_kind:     by_value
      - .address_space:  global
        .offset:         120
        .size:           8
        .value_kind:     global_buffer
      - .offset:         128
        .size:           4
        .value_kind:     hidden_block_count_x
      - .offset:         132
        .size:           4
        .value_kind:     hidden_block_count_y
      - .offset:         136
        .size:           4
        .value_kind:     hidden_block_count_z
      - .offset:         140
        .size:           2
        .value_kind:     hidden_group_size_x
      - .offset:         142
        .size:           2
        .value_kind:     hidden_group_size_y
      - .offset:         144
        .size:           2
        .value_kind:     hidden_group_size_z
      - .offset:         146
        .size:           2
        .value_kind:     hidden_remainder_x
      - .offset:         148
        .size:           2
        .value_kind:     hidden_remainder_y
      - .offset:         150
        .size:           2
        .value_kind:     hidden_remainder_z
      - .offset:         168
        .size:           8
        .value_kind:     hidden_global_offset_x
      - .offset:         176
        .size:           8
        .value_kind:     hidden_global_offset_y
      - .offset:         184
        .size:           8
        .value_kind:     hidden_global_offset_z
      - .offset:         192
        .size:           2
        .value_kind:     hidden_grid_dims
    .group_segment_fixed_size: 4096
    .kernarg_segment_align: 8
    .kernarg_segment_size: 384
    .language:       OpenCL C
    .language_version:
      - 2
      - 0
    .max_flat_workgroup_size: 1024
    .name:           _ZN4vllm38concat_and_cache_mla_rope_fused_kernelIN3c104HalfES2_Lb0EfhLNS_18Fp8KVCacheDataTypeE1EEEvPKlPT_S7_PKS6_PKT0_illlliPT3_S5_iiiiPKf
    .private_segment_fixed_size: 0
    .sgpr_count:     47
    .sgpr_spill_count: 0
    .symbol:         _ZN4vllm38concat_and_cache_mla_rope_fused_kernelIN3c104HalfES2_Lb0EfhLNS_18Fp8KVCacheDataTypeE1EEEvPKlPT_S7_PKS6_PKT0_illlliPT3_S5_iiiiPKf.kd
    .uniform_work_group_size: 1
    .uses_dynamic_stack: false
    .vgpr_count:     25
    .vgpr_spill_count: 0
    .wavefront_size: 32
    .workgroup_processor_mode: 1
  - .args:
      - .actual_access:  read_only
        .address_space:  global
        .offset:         0
        .size:           8
        .value_kind:     global_buffer
      - .address_space:  global
        .offset:         8
        .size:           8
        .value_kind:     global_buffer
      - .address_space:  global
        .offset:         16
        .size:           8
        .value_kind:     global_buffer
      - .actual_access:  read_only
        .address_space:  global
        .offset:         24
        .size:           8
        .value_kind:     global_buffer
      - .actual_access:  read_only
        .address_space:  global
        .offset:         32
        .size:           8
        .value_kind:     global_buffer
      - .offset:         40
        .size:           4
        .value_kind:     by_value
      - .offset:         48
        .size:           8
        .value_kind:     by_value
      - .offset:         56
        .size:           8
        .value_kind:     by_value
      - .offset:         64
        .size:           8
        .value_kind:     by_value
      - .offset:         72
        .size:           8
        .value_kind:     by_value
      - .offset:         80
        .size:           4
        .value_kind:     by_value
      - .actual_access:  write_only
        .address_space:  global
        .offset:         88
        .size:           8
        .value_kind:     global_buffer
      - .actual_access:  read_only
        .address_space:  global
        .offset:         96
        .size:           8
        .value_kind:     global_buffer
      - .offset:         104
        .size:           4
        .value_kind:     by_value
      - .offset:         108
        .size:           4
        .value_kind:     by_value
      - .offset:         112
        .size:           4
        .value_kind:     by_value
      - .offset:         116
        .size:           4
        .value_kind:     by_value
      - .address_space:  global
        .offset:         120
        .size:           8
        .value_kind:     global_buffer
      - .offset:         128
        .size:           4
        .value_kind:     hidden_block_count_x
      - .offset:         132
        .size:           4
        .value_kind:     hidden_block_count_y
      - .offset:         136
        .size:           4
        .value_kind:     hidden_block_count_z
      - .offset:         140
        .size:           2
        .value_kind:     hidden_group_size_x
      - .offset:         142
        .size:           2
        .value_kind:     hidden_group_size_y
      - .offset:         144
        .size:           2
        .value_kind:     hidden_group_size_z
      - .offset:         146
        .size:           2
        .value_kind:     hidden_remainder_x
      - .offset:         148
        .size:           2
        .value_kind:     hidden_remainder_y
      - .offset:         150
        .size:           2
        .value_kind:     hidden_remainder_z
      - .offset:         168
        .size:           8
        .value_kind:     hidden_global_offset_x
      - .offset:         176
        .size:           8
        .value_kind:     hidden_global_offset_y
      - .offset:         184
        .size:           8
        .value_kind:     hidden_global_offset_z
      - .offset:         192
        .size:           2
        .value_kind:     hidden_grid_dims
    .group_segment_fixed_size: 4096
    .kernarg_segment_align: 8
    .kernarg_segment_size: 384
    .language:       OpenCL C
    .language_version:
      - 2
      - 0
    .max_flat_workgroup_size: 1024
    .name:           _ZN4vllm38concat_and_cache_mla_rope_fused_kernelIN3c104HalfENS1_8BFloat16ELb1EfhLNS_18Fp8KVCacheDataTypeE1EEEvPKlPT_S8_PKS7_PKT0_illlliPT3_S6_iiiiPKf
    .private_segment_fixed_size: 0
    .sgpr_count:     50
    .sgpr_spill_count: 0
    .symbol:         _ZN4vllm38concat_and_cache_mla_rope_fused_kernelIN3c104HalfENS1_8BFloat16ELb1EfhLNS_18Fp8KVCacheDataTypeE1EEEvPKlPT_S8_PKS7_PKT0_illlliPT3_S6_iiiiPKf.kd
    .uniform_work_group_size: 1
    .uses_dynamic_stack: false
    .vgpr_count:     23
    .vgpr_spill_count: 0
    .wavefront_size: 32
    .workgroup_processor_mode: 1
  - .args:
      - .actual_access:  read_only
        .address_space:  global
        .offset:         0
        .size:           8
        .value_kind:     global_buffer
      - .address_space:  global
        .offset:         8
        .size:           8
        .value_kind:     global_buffer
      - .address_space:  global
        .offset:         16
        .size:           8
        .value_kind:     global_buffer
      - .actual_access:  read_only
        .address_space:  global
        .offset:         24
        .size:           8
        .value_kind:     global_buffer
      - .actual_access:  read_only
        .address_space:  global
        .offset:         32
        .size:           8
        .value_kind:     global_buffer
      - .offset:         40
        .size:           4
        .value_kind:     by_value
      - .offset:         48
        .size:           8
        .value_kind:     by_value
      - .offset:         56
        .size:           8
        .value_kind:     by_value
      - .offset:         64
        .size:           8
        .value_kind:     by_value
      - .offset:         72
        .size:           8
        .value_kind:     by_value
      - .offset:         80
        .size:           4
        .value_kind:     by_value
      - .actual_access:  write_only
        .address_space:  global
        .offset:         88
        .size:           8
        .value_kind:     global_buffer
      - .actual_access:  read_only
        .address_space:  global
        .offset:         96
        .size:           8
        .value_kind:     global_buffer
      - .offset:         104
        .size:           4
        .value_kind:     by_value
      - .offset:         108
        .size:           4
        .value_kind:     by_value
      - .offset:         112
        .size:           4
        .value_kind:     by_value
      - .offset:         116
        .size:           4
        .value_kind:     by_value
      - .address_space:  global
        .offset:         120
        .size:           8
        .value_kind:     global_buffer
      - .offset:         128
        .size:           4
        .value_kind:     hidden_block_count_x
      - .offset:         132
        .size:           4
        .value_kind:     hidden_block_count_y
      - .offset:         136
        .size:           4
        .value_kind:     hidden_block_count_z
      - .offset:         140
        .size:           2
        .value_kind:     hidden_group_size_x
      - .offset:         142
        .size:           2
        .value_kind:     hidden_group_size_y
      - .offset:         144
        .size:           2
        .value_kind:     hidden_group_size_z
      - .offset:         146
        .size:           2
        .value_kind:     hidden_remainder_x
      - .offset:         148
        .size:           2
        .value_kind:     hidden_remainder_y
      - .offset:         150
        .size:           2
        .value_kind:     hidden_remainder_z
      - .offset:         168
        .size:           8
        .value_kind:     hidden_global_offset_x
      - .offset:         176
        .size:           8
        .value_kind:     hidden_global_offset_y
      - .offset:         184
        .size:           8
        .value_kind:     hidden_global_offset_z
      - .offset:         192
        .size:           2
        .value_kind:     hidden_grid_dims
    .group_segment_fixed_size: 4096
    .kernarg_segment_align: 8
    .kernarg_segment_size: 384
    .language:       OpenCL C
    .language_version:
      - 2
      - 0
    .max_flat_workgroup_size: 1024
    .name:           _ZN4vllm38concat_and_cache_mla_rope_fused_kernelIN3c104HalfENS1_8BFloat16ELb0EfhLNS_18Fp8KVCacheDataTypeE1EEEvPKlPT_S8_PKS7_PKT0_illlliPT3_S6_iiiiPKf
    .private_segment_fixed_size: 0
    .sgpr_count:     47
    .sgpr_spill_count: 0
    .symbol:         _ZN4vllm38concat_and_cache_mla_rope_fused_kernelIN3c104HalfENS1_8BFloat16ELb0EfhLNS_18Fp8KVCacheDataTypeE1EEEvPKlPT_S8_PKS7_PKT0_illlliPT3_S6_iiiiPKf.kd
    .uniform_work_group_size: 1
    .uses_dynamic_stack: false
    .vgpr_count:     25
    .vgpr_spill_count: 0
    .wavefront_size: 32
    .workgroup_processor_mode: 1
  - .args:
      - .actual_access:  read_only
        .address_space:  global
        .offset:         0
        .size:           8
        .value_kind:     global_buffer
      - .address_space:  global
        .offset:         8
        .size:           8
        .value_kind:     global_buffer
      - .address_space:  global
        .offset:         16
        .size:           8
        .value_kind:     global_buffer
      - .actual_access:  read_only
        .address_space:  global
        .offset:         24
        .size:           8
        .value_kind:     global_buffer
      - .actual_access:  read_only
        .address_space:  global
        .offset:         32
        .size:           8
        .value_kind:     global_buffer
      - .offset:         40
        .size:           4
        .value_kind:     by_value
      - .offset:         48
        .size:           8
        .value_kind:     by_value
      - .offset:         56
        .size:           8
        .value_kind:     by_value
      - .offset:         64
        .size:           8
        .value_kind:     by_value
      - .offset:         72
        .size:           8
        .value_kind:     by_value
      - .offset:         80
        .size:           4
        .value_kind:     by_value
      - .actual_access:  write_only
        .address_space:  global
        .offset:         88
        .size:           8
        .value_kind:     global_buffer
      - .actual_access:  read_only
        .address_space:  global
        .offset:         96
        .size:           8
        .value_kind:     global_buffer
      - .offset:         104
        .size:           4
        .value_kind:     by_value
      - .offset:         108
        .size:           4
        .value_kind:     by_value
      - .offset:         112
        .size:           4
        .value_kind:     by_value
      - .offset:         116
        .size:           4
        .value_kind:     by_value
      - .address_space:  global
        .offset:         120
        .size:           8
        .value_kind:     global_buffer
      - .offset:         128
        .size:           4
        .value_kind:     hidden_block_count_x
      - .offset:         132
        .size:           4
        .value_kind:     hidden_block_count_y
      - .offset:         136
        .size:           4
        .value_kind:     hidden_block_count_z
      - .offset:         140
        .size:           2
        .value_kind:     hidden_group_size_x
      - .offset:         142
        .size:           2
        .value_kind:     hidden_group_size_y
      - .offset:         144
        .size:           2
        .value_kind:     hidden_group_size_z
      - .offset:         146
        .size:           2
        .value_kind:     hidden_remainder_x
      - .offset:         148
        .size:           2
        .value_kind:     hidden_remainder_y
      - .offset:         150
        .size:           2
        .value_kind:     hidden_remainder_z
      - .offset:         168
        .size:           8
        .value_kind:     hidden_global_offset_x
      - .offset:         176
        .size:           8
        .value_kind:     hidden_global_offset_y
      - .offset:         184
        .size:           8
        .value_kind:     hidden_global_offset_z
      - .offset:         192
        .size:           2
        .value_kind:     hidden_grid_dims
    .group_segment_fixed_size: 4096
    .kernarg_segment_align: 8
    .kernarg_segment_size: 384
    .language:       OpenCL C
    .language_version:
      - 2
      - 0
    .max_flat_workgroup_size: 1024
    .name:           _ZN4vllm38concat_and_cache_mla_rope_fused_kernelIN3c108BFloat16EfLb1EfhLNS_18Fp8KVCacheDataTypeE1EEEvPKlPT_S7_PKS6_PKT0_illlliPT3_S5_iiiiPKf
    .private_segment_fixed_size: 0
    .sgpr_count:     49
    .sgpr_spill_count: 0
    .symbol:         _ZN4vllm38concat_and_cache_mla_rope_fused_kernelIN3c108BFloat16EfLb1EfhLNS_18Fp8KVCacheDataTypeE1EEEvPKlPT_S7_PKS6_PKT0_illlliPT3_S5_iiiiPKf.kd
    .uniform_work_group_size: 1
    .uses_dynamic_stack: false
    .vgpr_count:     20
    .vgpr_spill_count: 0
    .wavefront_size: 32
    .workgroup_processor_mode: 1
  - .args:
      - .actual_access:  read_only
        .address_space:  global
        .offset:         0
        .size:           8
        .value_kind:     global_buffer
      - .address_space:  global
        .offset:         8
        .size:           8
        .value_kind:     global_buffer
      - .address_space:  global
        .offset:         16
        .size:           8
        .value_kind:     global_buffer
      - .actual_access:  read_only
        .address_space:  global
        .offset:         24
        .size:           8
        .value_kind:     global_buffer
      - .actual_access:  read_only
        .address_space:  global
        .offset:         32
        .size:           8
        .value_kind:     global_buffer
      - .offset:         40
        .size:           4
        .value_kind:     by_value
      - .offset:         48
        .size:           8
        .value_kind:     by_value
      - .offset:         56
        .size:           8
        .value_kind:     by_value
      - .offset:         64
        .size:           8
        .value_kind:     by_value
      - .offset:         72
        .size:           8
        .value_kind:     by_value
      - .offset:         80
        .size:           4
        .value_kind:     by_value
      - .actual_access:  write_only
        .address_space:  global
        .offset:         88
        .size:           8
        .value_kind:     global_buffer
      - .actual_access:  read_only
        .address_space:  global
        .offset:         96
        .size:           8
        .value_kind:     global_buffer
      - .offset:         104
        .size:           4
        .value_kind:     by_value
      - .offset:         108
        .size:           4
        .value_kind:     by_value
      - .offset:         112
        .size:           4
        .value_kind:     by_value
      - .offset:         116
        .size:           4
        .value_kind:     by_value
      - .address_space:  global
        .offset:         120
        .size:           8
        .value_kind:     global_buffer
      - .offset:         128
        .size:           4
        .value_kind:     hidden_block_count_x
      - .offset:         132
        .size:           4
        .value_kind:     hidden_block_count_y
      - .offset:         136
        .size:           4
        .value_kind:     hidden_block_count_z
      - .offset:         140
        .size:           2
        .value_kind:     hidden_group_size_x
      - .offset:         142
        .size:           2
        .value_kind:     hidden_group_size_y
      - .offset:         144
        .size:           2
        .value_kind:     hidden_group_size_z
      - .offset:         146
        .size:           2
        .value_kind:     hidden_remainder_x
      - .offset:         148
        .size:           2
        .value_kind:     hidden_remainder_y
      - .offset:         150
        .size:           2
        .value_kind:     hidden_remainder_z
      - .offset:         168
        .size:           8
        .value_kind:     hidden_global_offset_x
      - .offset:         176
        .size:           8
        .value_kind:     hidden_global_offset_y
      - .offset:         184
        .size:           8
        .value_kind:     hidden_global_offset_z
      - .offset:         192
        .size:           2
        .value_kind:     hidden_grid_dims
    .group_segment_fixed_size: 4096
    .kernarg_segment_align: 8
    .kernarg_segment_size: 384
    .language:       OpenCL C
    .language_version:
      - 2
      - 0
    .max_flat_workgroup_size: 1024
    .name:           _ZN4vllm38concat_and_cache_mla_rope_fused_kernelIN3c108BFloat16EfLb0EfhLNS_18Fp8KVCacheDataTypeE1EEEvPKlPT_S7_PKS6_PKT0_illlliPT3_S5_iiiiPKf
    .private_segment_fixed_size: 0
    .sgpr_count:     47
    .sgpr_spill_count: 0
    .symbol:         _ZN4vllm38concat_and_cache_mla_rope_fused_kernelIN3c108BFloat16EfLb0EfhLNS_18Fp8KVCacheDataTypeE1EEEvPKlPT_S7_PKS6_PKT0_illlliPT3_S5_iiiiPKf.kd
    .uniform_work_group_size: 1
    .uses_dynamic_stack: false
    .vgpr_count:     24
    .vgpr_spill_count: 0
    .wavefront_size: 32
    .workgroup_processor_mode: 1
  - .args:
      - .actual_access:  read_only
        .address_space:  global
        .offset:         0
        .size:           8
        .value_kind:     global_buffer
      - .address_space:  global
        .offset:         8
        .size:           8
        .value_kind:     global_buffer
      - .address_space:  global
        .offset:         16
        .size:           8
        .value_kind:     global_buffer
      - .actual_access:  read_only
        .address_space:  global
        .offset:         24
        .size:           8
        .value_kind:     global_buffer
      - .actual_access:  read_only
        .address_space:  global
        .offset:         32
        .size:           8
        .value_kind:     global_buffer
      - .offset:         40
        .size:           4
        .value_kind:     by_value
      - .offset:         48
        .size:           8
        .value_kind:     by_value
      - .offset:         56
        .size:           8
        .value_kind:     by_value
      - .offset:         64
        .size:           8
        .value_kind:     by_value
      - .offset:         72
        .size:           8
        .value_kind:     by_value
      - .offset:         80
        .size:           4
        .value_kind:     by_value
      - .actual_access:  write_only
        .address_space:  global
        .offset:         88
        .size:           8
        .value_kind:     global_buffer
      - .actual_access:  read_only
        .address_space:  global
        .offset:         96
        .size:           8
        .value_kind:     global_buffer
      - .offset:         104
        .size:           4
        .value_kind:     by_value
      - .offset:         108
        .size:           4
        .value_kind:     by_value
      - .offset:         112
        .size:           4
        .value_kind:     by_value
      - .offset:         116
        .size:           4
        .value_kind:     by_value
      - .address_space:  global
        .offset:         120
        .size:           8
        .value_kind:     global_buffer
      - .offset:         128
        .size:           4
        .value_kind:     hidden_block_count_x
      - .offset:         132
        .size:           4
        .value_kind:     hidden_block_count_y
      - .offset:         136
        .size:           4
        .value_kind:     hidden_block_count_z
      - .offset:         140
        .size:           2
        .value_kind:     hidden_group_size_x
      - .offset:         142
        .size:           2
        .value_kind:     hidden_group_size_y
      - .offset:         144
        .size:           2
        .value_kind:     hidden_group_size_z
      - .offset:         146
        .size:           2
        .value_kind:     hidden_remainder_x
      - .offset:         148
        .size:           2
        .value_kind:     hidden_remainder_y
      - .offset:         150
        .size:           2
        .value_kind:     hidden_remainder_z
      - .offset:         168
        .size:           8
        .value_kind:     hidden_global_offset_x
      - .offset:         176
        .size:           8
        .value_kind:     hidden_global_offset_y
      - .offset:         184
        .size:           8
        .value_kind:     hidden_global_offset_z
      - .offset:         192
        .size:           2
        .value_kind:     hidden_grid_dims
    .group_segment_fixed_size: 4096
    .kernarg_segment_align: 8
    .kernarg_segment_size: 384
    .language:       OpenCL C
    .language_version:
      - 2
      - 0
    .max_flat_workgroup_size: 1024
    .name:           _ZN4vllm38concat_and_cache_mla_rope_fused_kernelIN3c108BFloat16ENS1_4HalfELb1EfhLNS_18Fp8KVCacheDataTypeE1EEEvPKlPT_S8_PKS7_PKT0_illlliPT3_S6_iiiiPKf
    .private_segment_fixed_size: 0
    .sgpr_count:     50
    .sgpr_spill_count: 0
    .symbol:         _ZN4vllm38concat_and_cache_mla_rope_fused_kernelIN3c108BFloat16ENS1_4HalfELb1EfhLNS_18Fp8KVCacheDataTypeE1EEEvPKlPT_S8_PKS7_PKT0_illlliPT3_S6_iiiiPKf.kd
    .uniform_work_group_size: 1
    .uses_dynamic_stack: false
    .vgpr_count:     21
    .vgpr_spill_count: 0
    .wavefront_size: 32
    .workgroup_processor_mode: 1
  - .args:
      - .actual_access:  read_only
        .address_space:  global
        .offset:         0
        .size:           8
        .value_kind:     global_buffer
      - .address_space:  global
        .offset:         8
        .size:           8
        .value_kind:     global_buffer
      - .address_space:  global
        .offset:         16
        .size:           8
        .value_kind:     global_buffer
      - .actual_access:  read_only
        .address_space:  global
        .offset:         24
        .size:           8
        .value_kind:     global_buffer
      - .actual_access:  read_only
        .address_space:  global
        .offset:         32
        .size:           8
        .value_kind:     global_buffer
      - .offset:         40
        .size:           4
        .value_kind:     by_value
      - .offset:         48
        .size:           8
        .value_kind:     by_value
      - .offset:         56
        .size:           8
        .value_kind:     by_value
      - .offset:         64
        .size:           8
        .value_kind:     by_value
      - .offset:         72
        .size:           8
        .value_kind:     by_value
      - .offset:         80
        .size:           4
        .value_kind:     by_value
      - .actual_access:  write_only
        .address_space:  global
        .offset:         88
        .size:           8
        .value_kind:     global_buffer
      - .actual_access:  read_only
        .address_space:  global
        .offset:         96
        .size:           8
        .value_kind:     global_buffer
      - .offset:         104
        .size:           4
        .value_kind:     by_value
      - .offset:         108
        .size:           4
        .value_kind:     by_value
      - .offset:         112
        .size:           4
        .value_kind:     by_value
      - .offset:         116
        .size:           4
        .value_kind:     by_value
      - .address_space:  global
        .offset:         120
        .size:           8
        .value_kind:     global_buffer
      - .offset:         128
        .size:           4
        .value_kind:     hidden_block_count_x
      - .offset:         132
        .size:           4
        .value_kind:     hidden_block_count_y
      - .offset:         136
        .size:           4
        .value_kind:     hidden_block_count_z
      - .offset:         140
        .size:           2
        .value_kind:     hidden_group_size_x
      - .offset:         142
        .size:           2
        .value_kind:     hidden_group_size_y
      - .offset:         144
        .size:           2
        .value_kind:     hidden_group_size_z
      - .offset:         146
        .size:           2
        .value_kind:     hidden_remainder_x
      - .offset:         148
        .size:           2
        .value_kind:     hidden_remainder_y
      - .offset:         150
        .size:           2
        .value_kind:     hidden_remainder_z
      - .offset:         168
        .size:           8
        .value_kind:     hidden_global_offset_x
      - .offset:         176
        .size:           8
        .value_kind:     hidden_global_offset_y
      - .offset:         184
        .size:           8
        .value_kind:     hidden_global_offset_z
      - .offset:         192
        .size:           2
        .value_kind:     hidden_grid_dims
    .group_segment_fixed_size: 4096
    .kernarg_segment_align: 8
    .kernarg_segment_size: 384
    .language:       OpenCL C
    .language_version:
      - 2
      - 0
    .max_flat_workgroup_size: 1024
    .name:           _ZN4vllm38concat_and_cache_mla_rope_fused_kernelIN3c108BFloat16ENS1_4HalfELb0EfhLNS_18Fp8KVCacheDataTypeE1EEEvPKlPT_S8_PKS7_PKT0_illlliPT3_S6_iiiiPKf
    .private_segment_fixed_size: 0
    .sgpr_count:     47
    .sgpr_spill_count: 0
    .symbol:         _ZN4vllm38concat_and_cache_mla_rope_fused_kernelIN3c108BFloat16ENS1_4HalfELb0EfhLNS_18Fp8KVCacheDataTypeE1EEEvPKlPT_S8_PKS7_PKT0_illlliPT3_S6_iiiiPKf.kd
    .uniform_work_group_size: 1
    .uses_dynamic_stack: false
    .vgpr_count:     25
    .vgpr_spill_count: 0
    .wavefront_size: 32
    .workgroup_processor_mode: 1
  - .args:
      - .actual_access:  read_only
        .address_space:  global
        .offset:         0
        .size:           8
        .value_kind:     global_buffer
      - .address_space:  global
        .offset:         8
        .size:           8
        .value_kind:     global_buffer
      - .address_space:  global
        .offset:         16
        .size:           8
        .value_kind:     global_buffer
      - .actual_access:  read_only
        .address_space:  global
        .offset:         24
        .size:           8
        .value_kind:     global_buffer
      - .actual_access:  read_only
        .address_space:  global
        .offset:         32
        .size:           8
        .value_kind:     global_buffer
      - .offset:         40
        .size:           4
        .value_kind:     by_value
      - .offset:         48
        .size:           8
        .value_kind:     by_value
      - .offset:         56
        .size:           8
        .value_kind:     by_value
      - .offset:         64
        .size:           8
        .value_kind:     by_value
      - .offset:         72
        .size:           8
        .value_kind:     by_value
      - .offset:         80
        .size:           4
        .value_kind:     by_value
      - .actual_access:  write_only
        .address_space:  global
        .offset:         88
        .size:           8
        .value_kind:     global_buffer
      - .actual_access:  read_only
        .address_space:  global
        .offset:         96
        .size:           8
        .value_kind:     global_buffer
      - .offset:         104
        .size:           4
        .value_kind:     by_value
      - .offset:         108
        .size:           4
        .value_kind:     by_value
      - .offset:         112
        .size:           4
        .value_kind:     by_value
      - .offset:         116
        .size:           4
        .value_kind:     by_value
      - .address_space:  global
        .offset:         120
        .size:           8
        .value_kind:     global_buffer
      - .offset:         128
        .size:           4
        .value_kind:     hidden_block_count_x
      - .offset:         132
        .size:           4
        .value_kind:     hidden_block_count_y
      - .offset:         136
        .size:           4
        .value_kind:     hidden_block_count_z
      - .offset:         140
        .size:           2
        .value_kind:     hidden_group_size_x
      - .offset:         142
        .size:           2
        .value_kind:     hidden_group_size_y
      - .offset:         144
        .size:           2
        .value_kind:     hidden_group_size_z
      - .offset:         146
        .size:           2
        .value_kind:     hidden_remainder_x
      - .offset:         148
        .size:           2
        .value_kind:     hidden_remainder_y
      - .offset:         150
        .size:           2
        .value_kind:     hidden_remainder_z
      - .offset:         168
        .size:           8
        .value_kind:     hidden_global_offset_x
      - .offset:         176
        .size:           8
        .value_kind:     hidden_global_offset_y
      - .offset:         184
        .size:           8
        .value_kind:     hidden_global_offset_z
      - .offset:         192
        .size:           2
        .value_kind:     hidden_grid_dims
    .group_segment_fixed_size: 4096
    .kernarg_segment_align: 8
    .kernarg_segment_size: 384
    .language:       OpenCL C
    .language_version:
      - 2
      - 0
    .max_flat_workgroup_size: 1024
    .name:           _ZN4vllm38concat_and_cache_mla_rope_fused_kernelIN3c108BFloat16ES2_Lb1EfhLNS_18Fp8KVCacheDataTypeE1EEEvPKlPT_S7_PKS6_PKT0_illlliPT3_S5_iiiiPKf
    .private_segment_fixed_size: 0
    .sgpr_count:     50
    .sgpr_spill_count: 0
    .symbol:         _ZN4vllm38concat_and_cache_mla_rope_fused_kernelIN3c108BFloat16ES2_Lb1EfhLNS_18Fp8KVCacheDataTypeE1EEEvPKlPT_S7_PKS6_PKT0_illlliPT3_S5_iiiiPKf.kd
    .uniform_work_group_size: 1
    .uses_dynamic_stack: false
    .vgpr_count:     21
    .vgpr_spill_count: 0
    .wavefront_size: 32
    .workgroup_processor_mode: 1
  - .args:
      - .actual_access:  read_only
        .address_space:  global
        .offset:         0
        .size:           8
        .value_kind:     global_buffer
      - .address_space:  global
        .offset:         8
        .size:           8
        .value_kind:     global_buffer
      - .address_space:  global
        .offset:         16
        .size:           8
        .value_kind:     global_buffer
      - .actual_access:  read_only
        .address_space:  global
        .offset:         24
        .size:           8
        .value_kind:     global_buffer
      - .actual_access:  read_only
        .address_space:  global
        .offset:         32
        .size:           8
        .value_kind:     global_buffer
      - .offset:         40
        .size:           4
        .value_kind:     by_value
      - .offset:         48
        .size:           8
        .value_kind:     by_value
      - .offset:         56
        .size:           8
        .value_kind:     by_value
      - .offset:         64
        .size:           8
        .value_kind:     by_value
      - .offset:         72
        .size:           8
        .value_kind:     by_value
      - .offset:         80
        .size:           4
        .value_kind:     by_value
      - .actual_access:  write_only
        .address_space:  global
        .offset:         88
        .size:           8
        .value_kind:     global_buffer
      - .actual_access:  read_only
        .address_space:  global
        .offset:         96
        .size:           8
        .value_kind:     global_buffer
      - .offset:         104
        .size:           4
        .value_kind:     by_value
      - .offset:         108
        .size:           4
        .value_kind:     by_value
      - .offset:         112
        .size:           4
        .value_kind:     by_value
      - .offset:         116
        .size:           4
        .value_kind:     by_value
      - .address_space:  global
        .offset:         120
        .size:           8
        .value_kind:     global_buffer
      - .offset:         128
        .size:           4
        .value_kind:     hidden_block_count_x
      - .offset:         132
        .size:           4
        .value_kind:     hidden_block_count_y
      - .offset:         136
        .size:           4
        .value_kind:     hidden_block_count_z
      - .offset:         140
        .size:           2
        .value_kind:     hidden_group_size_x
      - .offset:         142
        .size:           2
        .value_kind:     hidden_group_size_y
      - .offset:         144
        .size:           2
        .value_kind:     hidden_group_size_z
      - .offset:         146
        .size:           2
        .value_kind:     hidden_remainder_x
      - .offset:         148
        .size:           2
        .value_kind:     hidden_remainder_y
      - .offset:         150
        .size:           2
        .value_kind:     hidden_remainder_z
      - .offset:         168
        .size:           8
        .value_kind:     hidden_global_offset_x
      - .offset:         176
        .size:           8
        .value_kind:     hidden_global_offset_y
      - .offset:         184
        .size:           8
        .value_kind:     hidden_global_offset_z
      - .offset:         192
        .size:           2
        .value_kind:     hidden_grid_dims
    .group_segment_fixed_size: 4096
    .kernarg_segment_align: 8
    .kernarg_segment_size: 384
    .language:       OpenCL C
    .language_version:
      - 2
      - 0
    .max_flat_workgroup_size: 1024
    .name:           _ZN4vllm38concat_and_cache_mla_rope_fused_kernelIN3c108BFloat16ES2_Lb0EfhLNS_18Fp8KVCacheDataTypeE1EEEvPKlPT_S7_PKS6_PKT0_illlliPT3_S5_iiiiPKf
    .private_segment_fixed_size: 0
    .sgpr_count:     47
    .sgpr_spill_count: 0
    .symbol:         _ZN4vllm38concat_and_cache_mla_rope_fused_kernelIN3c108BFloat16ES2_Lb0EfhLNS_18Fp8KVCacheDataTypeE1EEEvPKlPT_S7_PKS6_PKT0_illlliPT3_S5_iiiiPKf.kd
    .uniform_work_group_size: 1
    .uses_dynamic_stack: false
    .vgpr_count:     22
    .vgpr_spill_count: 0
    .wavefront_size: 32
    .workgroup_processor_mode: 1
  - .args:
      - .actual_access:  read_only
        .address_space:  global
        .offset:         0
        .size:           8
        .value_kind:     global_buffer
      - .address_space:  global
        .offset:         8
        .size:           8
        .value_kind:     global_buffer
      - .address_space:  global
        .offset:         16
        .size:           8
        .value_kind:     global_buffer
      - .actual_access:  read_only
        .address_space:  global
        .offset:         24
        .size:           8
        .value_kind:     global_buffer
      - .actual_access:  read_only
        .address_space:  global
        .offset:         32
        .size:           8
        .value_kind:     global_buffer
      - .offset:         40
        .size:           4
        .value_kind:     by_value
      - .offset:         48
        .size:           8
        .value_kind:     by_value
      - .offset:         56
        .size:           8
        .value_kind:     by_value
      - .offset:         64
        .size:           8
        .value_kind:     by_value
      - .offset:         72
        .size:           8
        .value_kind:     by_value
      - .offset:         80
        .size:           4
        .value_kind:     by_value
      - .actual_access:  write_only
        .address_space:  global
        .offset:         88
        .size:           8
        .value_kind:     global_buffer
      - .actual_access:  read_only
        .address_space:  global
        .offset:         96
        .size:           8
        .value_kind:     global_buffer
      - .offset:         104
        .size:           4
        .value_kind:     by_value
      - .offset:         108
        .size:           4
        .value_kind:     by_value
      - .offset:         112
        .size:           4
        .value_kind:     by_value
      - .offset:         116
        .size:           4
        .value_kind:     by_value
      - .address_space:  global
        .offset:         120
        .size:           8
        .value_kind:     global_buffer
      - .offset:         128
        .size:           4
        .value_kind:     hidden_block_count_x
      - .offset:         132
        .size:           4
        .value_kind:     hidden_block_count_y
      - .offset:         136
        .size:           4
        .value_kind:     hidden_block_count_z
      - .offset:         140
        .size:           2
        .value_kind:     hidden_group_size_x
      - .offset:         142
        .size:           2
        .value_kind:     hidden_group_size_y
      - .offset:         144
        .size:           2
        .value_kind:     hidden_group_size_z
      - .offset:         146
        .size:           2
        .value_kind:     hidden_remainder_x
      - .offset:         148
        .size:           2
        .value_kind:     hidden_remainder_y
      - .offset:         150
        .size:           2
        .value_kind:     hidden_remainder_z
      - .offset:         168
        .size:           8
        .value_kind:     hidden_global_offset_x
      - .offset:         176
        .size:           8
        .value_kind:     hidden_global_offset_y
      - .offset:         184
        .size:           8
        .value_kind:     hidden_global_offset_z
      - .offset:         192
        .size:           2
        .value_kind:     hidden_grid_dims
    .group_segment_fixed_size: 0
    .kernarg_segment_align: 8
    .kernarg_segment_size: 384
    .language:       OpenCL C
    .language_version:
      - 2
      - 0
    .max_flat_workgroup_size: 1024
    .name:           _ZN4vllm38concat_and_cache_mla_rope_fused_kernelIffLb1EthLNS_18Fp8KVCacheDataTypeE1EEEvPKlPT_S5_PKS4_PKT0_illlliPT3_S3_iiiiPKf
    .private_segment_fixed_size: 0
    .sgpr_count:     48
    .sgpr_spill_count: 0
    .symbol:         _ZN4vllm38concat_and_cache_mla_rope_fused_kernelIffLb1EthLNS_18Fp8KVCacheDataTypeE1EEEvPKlPT_S5_PKS4_PKT0_illlliPT3_S3_iiiiPKf.kd
    .uniform_work_group_size: 1
    .uses_dynamic_stack: false
    .vgpr_count:     21
    .vgpr_spill_count: 0
    .wavefront_size: 32
    .workgroup_processor_mode: 1
  - .args:
      - .actual_access:  read_only
        .address_space:  global
        .offset:         0
        .size:           8
        .value_kind:     global_buffer
      - .address_space:  global
        .offset:         8
        .size:           8
        .value_kind:     global_buffer
      - .address_space:  global
        .offset:         16
        .size:           8
        .value_kind:     global_buffer
      - .actual_access:  read_only
        .address_space:  global
        .offset:         24
        .size:           8
        .value_kind:     global_buffer
      - .actual_access:  read_only
        .address_space:  global
        .offset:         32
        .size:           8
        .value_kind:     global_buffer
      - .offset:         40
        .size:           4
        .value_kind:     by_value
      - .offset:         48
        .size:           8
        .value_kind:     by_value
      - .offset:         56
        .size:           8
        .value_kind:     by_value
      - .offset:         64
        .size:           8
        .value_kind:     by_value
      - .offset:         72
        .size:           8
        .value_kind:     by_value
      - .offset:         80
        .size:           4
        .value_kind:     by_value
      - .actual_access:  write_only
        .address_space:  global
        .offset:         88
        .size:           8
        .value_kind:     global_buffer
      - .actual_access:  read_only
        .address_space:  global
        .offset:         96
        .size:           8
        .value_kind:     global_buffer
      - .offset:         104
        .size:           4
        .value_kind:     by_value
      - .offset:         108
        .size:           4
        .value_kind:     by_value
      - .offset:         112
        .size:           4
        .value_kind:     by_value
      - .offset:         116
        .size:           4
        .value_kind:     by_value
      - .address_space:  global
        .offset:         120
        .size:           8
        .value_kind:     global_buffer
      - .offset:         128
        .size:           4
        .value_kind:     hidden_block_count_x
      - .offset:         132
        .size:           4
        .value_kind:     hidden_block_count_y
      - .offset:         136
        .size:           4
        .value_kind:     hidden_block_count_z
      - .offset:         140
        .size:           2
        .value_kind:     hidden_group_size_x
      - .offset:         142
        .size:           2
        .value_kind:     hidden_group_size_y
      - .offset:         144
        .size:           2
        .value_kind:     hidden_group_size_z
      - .offset:         146
        .size:           2
        .value_kind:     hidden_remainder_x
      - .offset:         148
        .size:           2
        .value_kind:     hidden_remainder_y
      - .offset:         150
        .size:           2
        .value_kind:     hidden_remainder_z
      - .offset:         168
        .size:           8
        .value_kind:     hidden_global_offset_x
      - .offset:         176
        .size:           8
        .value_kind:     hidden_global_offset_y
      - .offset:         184
        .size:           8
        .value_kind:     hidden_global_offset_z
      - .offset:         192
        .size:           2
        .value_kind:     hidden_grid_dims
    .group_segment_fixed_size: 0
    .kernarg_segment_align: 8
    .kernarg_segment_size: 384
    .language:       OpenCL C
    .language_version:
      - 2
      - 0
    .max_flat_workgroup_size: 1024
    .name:           _ZN4vllm38concat_and_cache_mla_rope_fused_kernelIffLb0EthLNS_18Fp8KVCacheDataTypeE1EEEvPKlPT_S5_PKS4_PKT0_illlliPT3_S3_iiiiPKf
    .private_segment_fixed_size: 0
    .sgpr_count:     45
    .sgpr_spill_count: 0
    .symbol:         _ZN4vllm38concat_and_cache_mla_rope_fused_kernelIffLb0EthLNS_18Fp8KVCacheDataTypeE1EEEvPKlPT_S5_PKS4_PKT0_illlliPT3_S3_iiiiPKf.kd
    .uniform_work_group_size: 1
    .uses_dynamic_stack: false
    .vgpr_count:     20
    .vgpr_spill_count: 0
    .wavefront_size: 32
    .workgroup_processor_mode: 1
  - .args:
      - .actual_access:  read_only
        .address_space:  global
        .offset:         0
        .size:           8
        .value_kind:     global_buffer
      - .address_space:  global
        .offset:         8
        .size:           8
        .value_kind:     global_buffer
      - .address_space:  global
        .offset:         16
        .size:           8
        .value_kind:     global_buffer
      - .actual_access:  read_only
        .address_space:  global
        .offset:         24
        .size:           8
        .value_kind:     global_buffer
      - .actual_access:  read_only
        .address_space:  global
        .offset:         32
        .size:           8
        .value_kind:     global_buffer
      - .offset:         40
        .size:           4
        .value_kind:     by_value
      - .offset:         48
        .size:           8
        .value_kind:     by_value
      - .offset:         56
        .size:           8
        .value_kind:     by_value
      - .offset:         64
        .size:           8
        .value_kind:     by_value
      - .offset:         72
        .size:           8
        .value_kind:     by_value
      - .offset:         80
        .size:           4
        .value_kind:     by_value
      - .actual_access:  write_only
        .address_space:  global
        .offset:         88
        .size:           8
        .value_kind:     global_buffer
      - .actual_access:  read_only
        .address_space:  global
        .offset:         96
        .size:           8
        .value_kind:     global_buffer
      - .offset:         104
        .size:           4
        .value_kind:     by_value
      - .offset:         108
        .size:           4
        .value_kind:     by_value
      - .offset:         112
        .size:           4
        .value_kind:     by_value
      - .offset:         116
        .size:           4
        .value_kind:     by_value
      - .address_space:  global
        .offset:         120
        .size:           8
        .value_kind:     global_buffer
      - .offset:         128
        .size:           4
        .value_kind:     hidden_block_count_x
      - .offset:         132
        .size:           4
        .value_kind:     hidden_block_count_y
      - .offset:         136
        .size:           4
        .value_kind:     hidden_block_count_z
      - .offset:         140
        .size:           2
        .value_kind:     hidden_group_size_x
      - .offset:         142
        .size:           2
        .value_kind:     hidden_group_size_y
      - .offset:         144
        .size:           2
        .value_kind:     hidden_group_size_z
      - .offset:         146
        .size:           2
        .value_kind:     hidden_remainder_x
      - .offset:         148
        .size:           2
        .value_kind:     hidden_remainder_y
      - .offset:         150
        .size:           2
        .value_kind:     hidden_remainder_z
      - .offset:         168
        .size:           8
        .value_kind:     hidden_global_offset_x
      - .offset:         176
        .size:           8
        .value_kind:     hidden_global_offset_y
      - .offset:         184
        .size:           8
        .value_kind:     hidden_global_offset_z
      - .offset:         192
        .size:           2
        .value_kind:     hidden_grid_dims
    .group_segment_fixed_size: 0
    .kernarg_segment_align: 8
    .kernarg_segment_size: 384
    .language:       OpenCL C
    .language_version:
      - 2
      - 0
    .max_flat_workgroup_size: 1024
    .name:           _ZN4vllm38concat_and_cache_mla_rope_fused_kernelIfN3c104HalfELb1EthLNS_18Fp8KVCacheDataTypeE1EEEvPKlPT_S7_PKS6_PKT0_illlliPT3_S5_iiiiPKf
    .private_segment_fixed_size: 0
    .sgpr_count:     47
    .sgpr_spill_count: 0
    .symbol:         _ZN4vllm38concat_and_cache_mla_rope_fused_kernelIfN3c104HalfELb1EthLNS_18Fp8KVCacheDataTypeE1EEEvPKlPT_S7_PKS6_PKT0_illlliPT3_S5_iiiiPKf.kd
    .uniform_work_group_size: 1
    .uses_dynamic_stack: false
    .vgpr_count:     19
    .vgpr_spill_count: 0
    .wavefront_size: 32
    .workgroup_processor_mode: 1
  - .args:
      - .actual_access:  read_only
        .address_space:  global
        .offset:         0
        .size:           8
        .value_kind:     global_buffer
      - .address_space:  global
        .offset:         8
        .size:           8
        .value_kind:     global_buffer
      - .address_space:  global
        .offset:         16
        .size:           8
        .value_kind:     global_buffer
      - .actual_access:  read_only
        .address_space:  global
        .offset:         24
        .size:           8
        .value_kind:     global_buffer
      - .actual_access:  read_only
        .address_space:  global
        .offset:         32
        .size:           8
        .value_kind:     global_buffer
      - .offset:         40
        .size:           4
        .value_kind:     by_value
      - .offset:         48
        .size:           8
        .value_kind:     by_value
      - .offset:         56
        .size:           8
        .value_kind:     by_value
      - .offset:         64
        .size:           8
        .value_kind:     by_value
      - .offset:         72
        .size:           8
        .value_kind:     by_value
      - .offset:         80
        .size:           4
        .value_kind:     by_value
      - .actual_access:  write_only
        .address_space:  global
        .offset:         88
        .size:           8
        .value_kind:     global_buffer
      - .actual_access:  read_only
        .address_space:  global
        .offset:         96
        .size:           8
        .value_kind:     global_buffer
      - .offset:         104
        .size:           4
        .value_kind:     by_value
      - .offset:         108
        .size:           4
        .value_kind:     by_value
      - .offset:         112
        .size:           4
        .value_kind:     by_value
      - .offset:         116
        .size:           4
        .value_kind:     by_value
      - .address_space:  global
        .offset:         120
        .size:           8
        .value_kind:     global_buffer
      - .offset:         128
        .size:           4
        .value_kind:     hidden_block_count_x
      - .offset:         132
        .size:           4
        .value_kind:     hidden_block_count_y
      - .offset:         136
        .size:           4
        .value_kind:     hidden_block_count_z
      - .offset:         140
        .size:           2
        .value_kind:     hidden_group_size_x
      - .offset:         142
        .size:           2
        .value_kind:     hidden_group_size_y
      - .offset:         144
        .size:           2
        .value_kind:     hidden_group_size_z
      - .offset:         146
        .size:           2
        .value_kind:     hidden_remainder_x
      - .offset:         148
        .size:           2
        .value_kind:     hidden_remainder_y
      - .offset:         150
        .size:           2
        .value_kind:     hidden_remainder_z
      - .offset:         168
        .size:           8
        .value_kind:     hidden_global_offset_x
      - .offset:         176
        .size:           8
        .value_kind:     hidden_global_offset_y
      - .offset:         184
        .size:           8
        .value_kind:     hidden_global_offset_z
      - .offset:         192
        .size:           2
        .value_kind:     hidden_grid_dims
    .group_segment_fixed_size: 0
    .kernarg_segment_align: 8
    .kernarg_segment_size: 384
    .language:       OpenCL C
    .language_version:
      - 2
      - 0
    .max_flat_workgroup_size: 1024
    .name:           _ZN4vllm38concat_and_cache_mla_rope_fused_kernelIfN3c104HalfELb0EthLNS_18Fp8KVCacheDataTypeE1EEEvPKlPT_S7_PKS6_PKT0_illlliPT3_S5_iiiiPKf
    .private_segment_fixed_size: 0
    .sgpr_count:     45
    .sgpr_spill_count: 0
    .symbol:         _ZN4vllm38concat_and_cache_mla_rope_fused_kernelIfN3c104HalfELb0EthLNS_18Fp8KVCacheDataTypeE1EEEvPKlPT_S7_PKS6_PKT0_illlliPT3_S5_iiiiPKf.kd
    .uniform_work_group_size: 1
    .uses_dynamic_stack: false
    .vgpr_count:     23
    .vgpr_spill_count: 0
    .wavefront_size: 32
    .workgroup_processor_mode: 1
  - .args:
      - .actual_access:  read_only
        .address_space:  global
        .offset:         0
        .size:           8
        .value_kind:     global_buffer
      - .address_space:  global
        .offset:         8
        .size:           8
        .value_kind:     global_buffer
      - .address_space:  global
        .offset:         16
        .size:           8
        .value_kind:     global_buffer
      - .actual_access:  read_only
        .address_space:  global
        .offset:         24
        .size:           8
        .value_kind:     global_buffer
      - .actual_access:  read_only
        .address_space:  global
        .offset:         32
        .size:           8
        .value_kind:     global_buffer
      - .offset:         40
        .size:           4
        .value_kind:     by_value
      - .offset:         48
        .size:           8
        .value_kind:     by_value
      - .offset:         56
        .size:           8
        .value_kind:     by_value
      - .offset:         64
        .size:           8
        .value_kind:     by_value
      - .offset:         72
        .size:           8
        .value_kind:     by_value
      - .offset:         80
        .size:           4
        .value_kind:     by_value
      - .actual_access:  write_only
        .address_space:  global
        .offset:         88
        .size:           8
        .value_kind:     global_buffer
      - .actual_access:  read_only
        .address_space:  global
        .offset:         96
        .size:           8
        .value_kind:     global_buffer
      - .offset:         104
        .size:           4
        .value_kind:     by_value
      - .offset:         108
        .size:           4
        .value_kind:     by_value
      - .offset:         112
        .size:           4
        .value_kind:     by_value
      - .offset:         116
        .size:           4
        .value_kind:     by_value
      - .address_space:  global
        .offset:         120
        .size:           8
        .value_kind:     global_buffer
      - .offset:         128
        .size:           4
        .value_kind:     hidden_block_count_x
      - .offset:         132
        .size:           4
        .value_kind:     hidden_block_count_y
      - .offset:         136
        .size:           4
        .value_kind:     hidden_block_count_z
      - .offset:         140
        .size:           2
        .value_kind:     hidden_group_size_x
      - .offset:         142
        .size:           2
        .value_kind:     hidden_group_size_y
      - .offset:         144
        .size:           2
        .value_kind:     hidden_group_size_z
      - .offset:         146
        .size:           2
        .value_kind:     hidden_remainder_x
      - .offset:         148
        .size:           2
        .value_kind:     hidden_remainder_y
      - .offset:         150
        .size:           2
        .value_kind:     hidden_remainder_z
      - .offset:         168
        .size:           8
        .value_kind:     hidden_global_offset_x
      - .offset:         176
        .size:           8
        .value_kind:     hidden_global_offset_y
      - .offset:         184
        .size:           8
        .value_kind:     hidden_global_offset_z
      - .offset:         192
        .size:           2
        .value_kind:     hidden_grid_dims
    .group_segment_fixed_size: 0
    .kernarg_segment_align: 8
    .kernarg_segment_size: 384
    .language:       OpenCL C
    .language_version:
      - 2
      - 0
    .max_flat_workgroup_size: 1024
    .name:           _ZN4vllm38concat_and_cache_mla_rope_fused_kernelIfN3c108BFloat16ELb1EthLNS_18Fp8KVCacheDataTypeE1EEEvPKlPT_S7_PKS6_PKT0_illlliPT3_S5_iiiiPKf
    .private_segment_fixed_size: 0
    .sgpr_count:     47
    .sgpr_spill_count: 0
    .symbol:         _ZN4vllm38concat_and_cache_mla_rope_fused_kernelIfN3c108BFloat16ELb1EthLNS_18Fp8KVCacheDataTypeE1EEEvPKlPT_S7_PKS6_PKT0_illlliPT3_S5_iiiiPKf.kd
    .uniform_work_group_size: 1
    .uses_dynamic_stack: false
    .vgpr_count:     19
    .vgpr_spill_count: 0
    .wavefront_size: 32
    .workgroup_processor_mode: 1
  - .args:
      - .actual_access:  read_only
        .address_space:  global
        .offset:         0
        .size:           8
        .value_kind:     global_buffer
      - .address_space:  global
        .offset:         8
        .size:           8
        .value_kind:     global_buffer
      - .address_space:  global
        .offset:         16
        .size:           8
        .value_kind:     global_buffer
      - .actual_access:  read_only
        .address_space:  global
        .offset:         24
        .size:           8
        .value_kind:     global_buffer
      - .actual_access:  read_only
        .address_space:  global
        .offset:         32
        .size:           8
        .value_kind:     global_buffer
      - .offset:         40
        .size:           4
        .value_kind:     by_value
      - .offset:         48
        .size:           8
        .value_kind:     by_value
      - .offset:         56
        .size:           8
        .value_kind:     by_value
      - .offset:         64
        .size:           8
        .value_kind:     by_value
      - .offset:         72
        .size:           8
        .value_kind:     by_value
      - .offset:         80
        .size:           4
        .value_kind:     by_value
      - .actual_access:  write_only
        .address_space:  global
        .offset:         88
        .size:           8
        .value_kind:     global_buffer
      - .actual_access:  read_only
        .address_space:  global
        .offset:         96
        .size:           8
        .value_kind:     global_buffer
      - .offset:         104
        .size:           4
        .value_kind:     by_value
      - .offset:         108
        .size:           4
        .value_kind:     by_value
      - .offset:         112
        .size:           4
        .value_kind:     by_value
      - .offset:         116
        .size:           4
        .value_kind:     by_value
      - .address_space:  global
        .offset:         120
        .size:           8
        .value_kind:     global_buffer
      - .offset:         128
        .size:           4
        .value_kind:     hidden_block_count_x
      - .offset:         132
        .size:           4
        .value_kind:     hidden_block_count_y
      - .offset:         136
        .size:           4
        .value_kind:     hidden_block_count_z
      - .offset:         140
        .size:           2
        .value_kind:     hidden_group_size_x
      - .offset:         142
        .size:           2
        .value_kind:     hidden_group_size_y
      - .offset:         144
        .size:           2
        .value_kind:     hidden_group_size_z
      - .offset:         146
        .size:           2
        .value_kind:     hidden_remainder_x
      - .offset:         148
        .size:           2
        .value_kind:     hidden_remainder_y
      - .offset:         150
        .size:           2
        .value_kind:     hidden_remainder_z
      - .offset:         168
        .size:           8
        .value_kind:     hidden_global_offset_x
      - .offset:         176
        .size:           8
        .value_kind:     hidden_global_offset_y
      - .offset:         184
        .size:           8
        .value_kind:     hidden_global_offset_z
      - .offset:         192
        .size:           2
        .value_kind:     hidden_grid_dims
    .group_segment_fixed_size: 0
    .kernarg_segment_align: 8
    .kernarg_segment_size: 384
    .language:       OpenCL C
    .language_version:
      - 2
      - 0
    .max_flat_workgroup_size: 1024
    .name:           _ZN4vllm38concat_and_cache_mla_rope_fused_kernelIfN3c108BFloat16ELb0EthLNS_18Fp8KVCacheDataTypeE1EEEvPKlPT_S7_PKS6_PKT0_illlliPT3_S5_iiiiPKf
    .private_segment_fixed_size: 0
    .sgpr_count:     45
    .sgpr_spill_count: 0
    .symbol:         _ZN4vllm38concat_and_cache_mla_rope_fused_kernelIfN3c108BFloat16ELb0EthLNS_18Fp8KVCacheDataTypeE1EEEvPKlPT_S7_PKS6_PKT0_illlliPT3_S5_iiiiPKf.kd
    .uniform_work_group_size: 1
    .uses_dynamic_stack: false
    .vgpr_count:     23
    .vgpr_spill_count: 0
    .wavefront_size: 32
    .workgroup_processor_mode: 1
  - .args:
      - .actual_access:  read_only
        .address_space:  global
        .offset:         0
        .size:           8
        .value_kind:     global_buffer
      - .address_space:  global
        .offset:         8
        .size:           8
        .value_kind:     global_buffer
      - .address_space:  global
        .offset:         16
        .size:           8
        .value_kind:     global_buffer
      - .actual_access:  read_only
        .address_space:  global
        .offset:         24
        .size:           8
        .value_kind:     global_buffer
      - .actual_access:  read_only
        .address_space:  global
        .offset:         32
        .size:           8
        .value_kind:     global_buffer
      - .offset:         40
        .size:           4
        .value_kind:     by_value
      - .offset:         48
        .size:           8
        .value_kind:     by_value
      - .offset:         56
        .size:           8
        .value_kind:     by_value
      - .offset:         64
        .size:           8
        .value_kind:     by_value
      - .offset:         72
        .size:           8
        .value_kind:     by_value
      - .offset:         80
        .size:           4
        .value_kind:     by_value
      - .actual_access:  write_only
        .address_space:  global
        .offset:         88
        .size:           8
        .value_kind:     global_buffer
      - .actual_access:  read_only
        .address_space:  global
        .offset:         96
        .size:           8
        .value_kind:     global_buffer
      - .offset:         104
        .size:           4
        .value_kind:     by_value
      - .offset:         108
        .size:           4
        .value_kind:     by_value
      - .offset:         112
        .size:           4
        .value_kind:     by_value
      - .offset:         116
        .size:           4
        .value_kind:     by_value
      - .address_space:  global
        .offset:         120
        .size:           8
        .value_kind:     global_buffer
      - .offset:         128
        .size:           4
        .value_kind:     hidden_block_count_x
      - .offset:         132
        .size:           4
        .value_kind:     hidden_block_count_y
      - .offset:         136
        .size:           4
        .value_kind:     hidden_block_count_z
      - .offset:         140
        .size:           2
        .value_kind:     hidden_group_size_x
      - .offset:         142
        .size:           2
        .value_kind:     hidden_group_size_y
      - .offset:         144
        .size:           2
        .value_kind:     hidden_group_size_z
      - .offset:         146
        .size:           2
        .value_kind:     hidden_remainder_x
      - .offset:         148
        .size:           2
        .value_kind:     hidden_remainder_y
      - .offset:         150
        .size:           2
        .value_kind:     hidden_remainder_z
      - .offset:         168
        .size:           8
        .value_kind:     hidden_global_offset_x
      - .offset:         176
        .size:           8
        .value_kind:     hidden_global_offset_y
      - .offset:         184
        .size:           8
        .value_kind:     hidden_global_offset_z
      - .offset:         192
        .size:           2
        .value_kind:     hidden_grid_dims
    .group_segment_fixed_size: 0
    .kernarg_segment_align: 8
    .kernarg_segment_size: 384
    .language:       OpenCL C
    .language_version:
      - 2
      - 0
    .max_flat_workgroup_size: 1024
    .name:           _ZN4vllm38concat_and_cache_mla_rope_fused_kernelIN3c104HalfEfLb1EthLNS_18Fp8KVCacheDataTypeE1EEEvPKlPT_S7_PKS6_PKT0_illlliPT3_S5_iiiiPKf
    .private_segment_fixed_size: 0
    .sgpr_count:     47
    .sgpr_spill_count: 0
    .symbol:         _ZN4vllm38concat_and_cache_mla_rope_fused_kernelIN3c104HalfEfLb1EthLNS_18Fp8KVCacheDataTypeE1EEEvPKlPT_S7_PKS6_PKT0_illlliPT3_S5_iiiiPKf.kd
    .uniform_work_group_size: 1
    .uses_dynamic_stack: false
    .vgpr_count:     19
    .vgpr_spill_count: 0
    .wavefront_size: 32
    .workgroup_processor_mode: 1
  - .args:
      - .actual_access:  read_only
        .address_space:  global
        .offset:         0
        .size:           8
        .value_kind:     global_buffer
      - .address_space:  global
        .offset:         8
        .size:           8
        .value_kind:     global_buffer
      - .address_space:  global
        .offset:         16
        .size:           8
        .value_kind:     global_buffer
      - .actual_access:  read_only
        .address_space:  global
        .offset:         24
        .size:           8
        .value_kind:     global_buffer
      - .actual_access:  read_only
        .address_space:  global
        .offset:         32
        .size:           8
        .value_kind:     global_buffer
      - .offset:         40
        .size:           4
        .value_kind:     by_value
      - .offset:         48
        .size:           8
        .value_kind:     by_value
      - .offset:         56
        .size:           8
        .value_kind:     by_value
      - .offset:         64
        .size:           8
        .value_kind:     by_value
      - .offset:         72
        .size:           8
        .value_kind:     by_value
      - .offset:         80
        .size:           4
        .value_kind:     by_value
      - .actual_access:  write_only
        .address_space:  global
        .offset:         88
        .size:           8
        .value_kind:     global_buffer
      - .actual_access:  read_only
        .address_space:  global
        .offset:         96
        .size:           8
        .value_kind:     global_buffer
      - .offset:         104
        .size:           4
        .value_kind:     by_value
      - .offset:         108
        .size:           4
        .value_kind:     by_value
      - .offset:         112
        .size:           4
        .value_kind:     by_value
      - .offset:         116
        .size:           4
        .value_kind:     by_value
      - .address_space:  global
        .offset:         120
        .size:           8
        .value_kind:     global_buffer
      - .offset:         128
        .size:           4
        .value_kind:     hidden_block_count_x
      - .offset:         132
        .size:           4
        .value_kind:     hidden_block_count_y
      - .offset:         136
        .size:           4
        .value_kind:     hidden_block_count_z
      - .offset:         140
        .size:           2
        .value_kind:     hidden_group_size_x
      - .offset:         142
        .size:           2
        .value_kind:     hidden_group_size_y
      - .offset:         144
        .size:           2
        .value_kind:     hidden_group_size_z
      - .offset:         146
        .size:           2
        .value_kind:     hidden_remainder_x
      - .offset:         148
        .size:           2
        .value_kind:     hidden_remainder_y
      - .offset:         150
        .size:           2
        .value_kind:     hidden_remainder_z
      - .offset:         168
        .size:           8
        .value_kind:     hidden_global_offset_x
      - .offset:         176
        .size:           8
        .value_kind:     hidden_global_offset_y
      - .offset:         184
        .size:           8
        .value_kind:     hidden_global_offset_z
      - .offset:         192
        .size:           2
        .value_kind:     hidden_grid_dims
    .group_segment_fixed_size: 0
    .kernarg_segment_align: 8
    .kernarg_segment_size: 384
    .language:       OpenCL C
    .language_version:
      - 2
      - 0
    .max_flat_workgroup_size: 1024
    .name:           _ZN4vllm38concat_and_cache_mla_rope_fused_kernelIN3c104HalfEfLb0EthLNS_18Fp8KVCacheDataTypeE1EEEvPKlPT_S7_PKS6_PKT0_illlliPT3_S5_iiiiPKf
    .private_segment_fixed_size: 0
    .sgpr_count:     45
    .sgpr_spill_count: 0
    .symbol:         _ZN4vllm38concat_and_cache_mla_rope_fused_kernelIN3c104HalfEfLb0EthLNS_18Fp8KVCacheDataTypeE1EEEvPKlPT_S7_PKS6_PKT0_illlliPT3_S5_iiiiPKf.kd
    .uniform_work_group_size: 1
    .uses_dynamic_stack: false
    .vgpr_count:     24
    .vgpr_spill_count: 0
    .wavefront_size: 32
    .workgroup_processor_mode: 1
  - .args:
      - .actual_access:  read_only
        .address_space:  global
        .offset:         0
        .size:           8
        .value_kind:     global_buffer
      - .address_space:  global
        .offset:         8
        .size:           8
        .value_kind:     global_buffer
      - .address_space:  global
        .offset:         16
        .size:           8
        .value_kind:     global_buffer
      - .actual_access:  read_only
        .address_space:  global
        .offset:         24
        .size:           8
        .value_kind:     global_buffer
      - .actual_access:  read_only
        .address_space:  global
        .offset:         32
        .size:           8
        .value_kind:     global_buffer
      - .offset:         40
        .size:           4
        .value_kind:     by_value
      - .offset:         48
        .size:           8
        .value_kind:     by_value
      - .offset:         56
        .size:           8
        .value_kind:     by_value
      - .offset:         64
        .size:           8
        .value_kind:     by_value
      - .offset:         72
        .size:           8
        .value_kind:     by_value
      - .offset:         80
        .size:           4
        .value_kind:     by_value
      - .actual_access:  write_only
        .address_space:  global
        .offset:         88
        .size:           8
        .value_kind:     global_buffer
      - .actual_access:  read_only
        .address_space:  global
        .offset:         96
        .size:           8
        .value_kind:     global_buffer
      - .offset:         104
        .size:           4
        .value_kind:     by_value
      - .offset:         108
        .size:           4
        .value_kind:     by_value
      - .offset:         112
        .size:           4
        .value_kind:     by_value
      - .offset:         116
        .size:           4
        .value_kind:     by_value
      - .address_space:  global
        .offset:         120
        .size:           8
        .value_kind:     global_buffer
      - .offset:         128
        .size:           4
        .value_kind:     hidden_block_count_x
      - .offset:         132
        .size:           4
        .value_kind:     hidden_block_count_y
      - .offset:         136
        .size:           4
        .value_kind:     hidden_block_count_z
      - .offset:         140
        .size:           2
        .value_kind:     hidden_group_size_x
      - .offset:         142
        .size:           2
        .value_kind:     hidden_group_size_y
      - .offset:         144
        .size:           2
        .value_kind:     hidden_group_size_z
      - .offset:         146
        .size:           2
        .value_kind:     hidden_remainder_x
      - .offset:         148
        .size:           2
        .value_kind:     hidden_remainder_y
      - .offset:         150
        .size:           2
        .value_kind:     hidden_remainder_z
      - .offset:         168
        .size:           8
        .value_kind:     hidden_global_offset_x
      - .offset:         176
        .size:           8
        .value_kind:     hidden_global_offset_y
      - .offset:         184
        .size:           8
        .value_kind:     hidden_global_offset_z
      - .offset:         192
        .size:           2
        .value_kind:     hidden_grid_dims
    .group_segment_fixed_size: 0
    .kernarg_segment_align: 8
    .kernarg_segment_size: 384
    .language:       OpenCL C
    .language_version:
      - 2
      - 0
    .max_flat_workgroup_size: 1024
    .name:           _ZN4vllm38concat_and_cache_mla_rope_fused_kernelIN3c104HalfES2_Lb1EthLNS_18Fp8KVCacheDataTypeE1EEEvPKlPT_S7_PKS6_PKT0_illlliPT3_S5_iiiiPKf
    .private_segment_fixed_size: 0
    .sgpr_count:     48
    .sgpr_spill_count: 0
    .symbol:         _ZN4vllm38concat_and_cache_mla_rope_fused_kernelIN3c104HalfES2_Lb1EthLNS_18Fp8KVCacheDataTypeE1EEEvPKlPT_S7_PKS6_PKT0_illlliPT3_S5_iiiiPKf.kd
    .uniform_work_group_size: 1
    .uses_dynamic_stack: false
    .vgpr_count:     21
    .vgpr_spill_count: 0
    .wavefront_size: 32
    .workgroup_processor_mode: 1
  - .args:
      - .actual_access:  read_only
        .address_space:  global
        .offset:         0
        .size:           8
        .value_kind:     global_buffer
      - .address_space:  global
        .offset:         8
        .size:           8
        .value_kind:     global_buffer
      - .address_space:  global
        .offset:         16
        .size:           8
        .value_kind:     global_buffer
      - .actual_access:  read_only
        .address_space:  global
        .offset:         24
        .size:           8
        .value_kind:     global_buffer
      - .actual_access:  read_only
        .address_space:  global
        .offset:         32
        .size:           8
        .value_kind:     global_buffer
      - .offset:         40
        .size:           4
        .value_kind:     by_value
      - .offset:         48
        .size:           8
        .value_kind:     by_value
      - .offset:         56
        .size:           8
        .value_kind:     by_value
      - .offset:         64
        .size:           8
        .value_kind:     by_value
      - .offset:         72
        .size:           8
        .value_kind:     by_value
      - .offset:         80
        .size:           4
        .value_kind:     by_value
      - .actual_access:  write_only
        .address_space:  global
        .offset:         88
        .size:           8
        .value_kind:     global_buffer
      - .actual_access:  read_only
        .address_space:  global
        .offset:         96
        .size:           8
        .value_kind:     global_buffer
      - .offset:         104
        .size:           4
        .value_kind:     by_value
      - .offset:         108
        .size:           4
        .value_kind:     by_value
      - .offset:         112
        .size:           4
        .value_kind:     by_value
      - .offset:         116
        .size:           4
        .value_kind:     by_value
      - .address_space:  global
        .offset:         120
        .size:           8
        .value_kind:     global_buffer
      - .offset:         128
        .size:           4
        .value_kind:     hidden_block_count_x
      - .offset:         132
        .size:           4
        .value_kind:     hidden_block_count_y
      - .offset:         136
        .size:           4
        .value_kind:     hidden_block_count_z
      - .offset:         140
        .size:           2
        .value_kind:     hidden_group_size_x
      - .offset:         142
        .size:           2
        .value_kind:     hidden_group_size_y
      - .offset:         144
        .size:           2
        .value_kind:     hidden_group_size_z
      - .offset:         146
        .size:           2
        .value_kind:     hidden_remainder_x
      - .offset:         148
        .size:           2
        .value_kind:     hidden_remainder_y
      - .offset:         150
        .size:           2
        .value_kind:     hidden_remainder_z
      - .offset:         168
        .size:           8
        .value_kind:     hidden_global_offset_x
      - .offset:         176
        .size:           8
        .value_kind:     hidden_global_offset_y
      - .offset:         184
        .size:           8
        .value_kind:     hidden_global_offset_z
      - .offset:         192
        .size:           2
        .value_kind:     hidden_grid_dims
    .group_segment_fixed_size: 0
    .kernarg_segment_align: 8
    .kernarg_segment_size: 384
    .language:       OpenCL C
    .language_version:
      - 2
      - 0
    .max_flat_workgroup_size: 1024
    .name:           _ZN4vllm38concat_and_cache_mla_rope_fused_kernelIN3c104HalfES2_Lb0EthLNS_18Fp8KVCacheDataTypeE1EEEvPKlPT_S7_PKS6_PKT0_illlliPT3_S5_iiiiPKf
    .private_segment_fixed_size: 0
    .sgpr_count:     45
    .sgpr_spill_count: 0
    .symbol:         _ZN4vllm38concat_and_cache_mla_rope_fused_kernelIN3c104HalfES2_Lb0EthLNS_18Fp8KVCacheDataTypeE1EEEvPKlPT_S7_PKS6_PKT0_illlliPT3_S5_iiiiPKf.kd
    .uniform_work_group_size: 1
    .uses_dynamic_stack: false
    .vgpr_count:     23
    .vgpr_spill_count: 0
    .wavefront_size: 32
    .workgroup_processor_mode: 1
  - .args:
      - .actual_access:  read_only
        .address_space:  global
        .offset:         0
        .size:           8
        .value_kind:     global_buffer
      - .address_space:  global
        .offset:         8
        .size:           8
        .value_kind:     global_buffer
      - .address_space:  global
        .offset:         16
        .size:           8
        .value_kind:     global_buffer
      - .actual_access:  read_only
        .address_space:  global
        .offset:         24
        .size:           8
        .value_kind:     global_buffer
      - .actual_access:  read_only
        .address_space:  global
        .offset:         32
        .size:           8
        .value_kind:     global_buffer
      - .offset:         40
        .size:           4
        .value_kind:     by_value
      - .offset:         48
        .size:           8
        .value_kind:     by_value
      - .offset:         56
        .size:           8
        .value_kind:     by_value
      - .offset:         64
        .size:           8
        .value_kind:     by_value
      - .offset:         72
        .size:           8
        .value_kind:     by_value
      - .offset:         80
        .size:           4
        .value_kind:     by_value
      - .actual_access:  write_only
        .address_space:  global
        .offset:         88
        .size:           8
        .value_kind:     global_buffer
      - .actual_access:  read_only
        .address_space:  global
        .offset:         96
        .size:           8
        .value_kind:     global_buffer
      - .offset:         104
        .size:           4
        .value_kind:     by_value
      - .offset:         108
        .size:           4
        .value_kind:     by_value
      - .offset:         112
        .size:           4
        .value_kind:     by_value
      - .offset:         116
        .size:           4
        .value_kind:     by_value
      - .address_space:  global
        .offset:         120
        .size:           8
        .value_kind:     global_buffer
      - .offset:         128
        .size:           4
        .value_kind:     hidden_block_count_x
      - .offset:         132
        .size:           4
        .value_kind:     hidden_block_count_y
      - .offset:         136
        .size:           4
        .value_kind:     hidden_block_count_z
      - .offset:         140
        .size:           2
        .value_kind:     hidden_group_size_x
      - .offset:         142
        .size:           2
        .value_kind:     hidden_group_size_y
      - .offset:         144
        .size:           2
        .value_kind:     hidden_group_size_z
      - .offset:         146
        .size:           2
        .value_kind:     hidden_remainder_x
      - .offset:         148
        .size:           2
        .value_kind:     hidden_remainder_y
      - .offset:         150
        .size:           2
        .value_kind:     hidden_remainder_z
      - .offset:         168
        .size:           8
        .value_kind:     hidden_global_offset_x
      - .offset:         176
        .size:           8
        .value_kind:     hidden_global_offset_y
      - .offset:         184
        .size:           8
        .value_kind:     hidden_global_offset_z
      - .offset:         192
        .size:           2
        .value_kind:     hidden_grid_dims
    .group_segment_fixed_size: 0
    .kernarg_segment_align: 8
    .kernarg_segment_size: 384
    .language:       OpenCL C
    .language_version:
      - 2
      - 0
    .max_flat_workgroup_size: 1024
    .name:           _ZN4vllm38concat_and_cache_mla_rope_fused_kernelIN3c104HalfENS1_8BFloat16ELb1EthLNS_18Fp8KVCacheDataTypeE1EEEvPKlPT_S8_PKS7_PKT0_illlliPT3_S6_iiiiPKf
    .private_segment_fixed_size: 0
    .sgpr_count:     48
    .sgpr_spill_count: 0
    .symbol:         _ZN4vllm38concat_and_cache_mla_rope_fused_kernelIN3c104HalfENS1_8BFloat16ELb1EthLNS_18Fp8KVCacheDataTypeE1EEEvPKlPT_S8_PKS7_PKT0_illlliPT3_S6_iiiiPKf.kd
    .uniform_work_group_size: 1
    .uses_dynamic_stack: false
    .vgpr_count:     21
    .vgpr_spill_count: 0
    .wavefront_size: 32
    .workgroup_processor_mode: 1
  - .args:
      - .actual_access:  read_only
        .address_space:  global
        .offset:         0
        .size:           8
        .value_kind:     global_buffer
      - .address_space:  global
        .offset:         8
        .size:           8
        .value_kind:     global_buffer
      - .address_space:  global
        .offset:         16
        .size:           8
        .value_kind:     global_buffer
      - .actual_access:  read_only
        .address_space:  global
        .offset:         24
        .size:           8
        .value_kind:     global_buffer
      - .actual_access:  read_only
        .address_space:  global
        .offset:         32
        .size:           8
        .value_kind:     global_buffer
      - .offset:         40
        .size:           4
        .value_kind:     by_value
      - .offset:         48
        .size:           8
        .value_kind:     by_value
      - .offset:         56
        .size:           8
        .value_kind:     by_value
      - .offset:         64
        .size:           8
        .value_kind:     by_value
      - .offset:         72
        .size:           8
        .value_kind:     by_value
      - .offset:         80
        .size:           4
        .value_kind:     by_value
      - .actual_access:  write_only
        .address_space:  global
        .offset:         88
        .size:           8
        .value_kind:     global_buffer
      - .actual_access:  read_only
        .address_space:  global
        .offset:         96
        .size:           8
        .value_kind:     global_buffer
      - .offset:         104
        .size:           4
        .value_kind:     by_value
      - .offset:         108
        .size:           4
        .value_kind:     by_value
      - .offset:         112
        .size:           4
        .value_kind:     by_value
      - .offset:         116
        .size:           4
        .value_kind:     by_value
      - .address_space:  global
        .offset:         120
        .size:           8
        .value_kind:     global_buffer
      - .offset:         128
        .size:           4
        .value_kind:     hidden_block_count_x
      - .offset:         132
        .size:           4
        .value_kind:     hidden_block_count_y
      - .offset:         136
        .size:           4
        .value_kind:     hidden_block_count_z
      - .offset:         140
        .size:           2
        .value_kind:     hidden_group_size_x
      - .offset:         142
        .size:           2
        .value_kind:     hidden_group_size_y
      - .offset:         144
        .size:           2
        .value_kind:     hidden_group_size_z
      - .offset:         146
        .size:           2
        .value_kind:     hidden_remainder_x
      - .offset:         148
        .size:           2
        .value_kind:     hidden_remainder_y
      - .offset:         150
        .size:           2
        .value_kind:     hidden_remainder_z
      - .offset:         168
        .size:           8
        .value_kind:     hidden_global_offset_x
      - .offset:         176
        .size:           8
        .value_kind:     hidden_global_offset_y
      - .offset:         184
        .size:           8
        .value_kind:     hidden_global_offset_z
      - .offset:         192
        .size:           2
        .value_kind:     hidden_grid_dims
    .group_segment_fixed_size: 0
    .kernarg_segment_align: 8
    .kernarg_segment_size: 384
    .language:       OpenCL C
    .language_version:
      - 2
      - 0
    .max_flat_workgroup_size: 1024
    .name:           _ZN4vllm38concat_and_cache_mla_rope_fused_kernelIN3c104HalfENS1_8BFloat16ELb0EthLNS_18Fp8KVCacheDataTypeE1EEEvPKlPT_S8_PKS7_PKT0_illlliPT3_S6_iiiiPKf
    .private_segment_fixed_size: 0
    .sgpr_count:     45
    .sgpr_spill_count: 0
    .symbol:         _ZN4vllm38concat_and_cache_mla_rope_fused_kernelIN3c104HalfENS1_8BFloat16ELb0EthLNS_18Fp8KVCacheDataTypeE1EEEvPKlPT_S8_PKS7_PKT0_illlliPT3_S6_iiiiPKf.kd
    .uniform_work_group_size: 1
    .uses_dynamic_stack: false
    .vgpr_count:     23
    .vgpr_spill_count: 0
    .wavefront_size: 32
    .workgroup_processor_mode: 1
  - .args:
      - .actual_access:  read_only
        .address_space:  global
        .offset:         0
        .size:           8
        .value_kind:     global_buffer
      - .address_space:  global
        .offset:         8
        .size:           8
        .value_kind:     global_buffer
      - .address_space:  global
        .offset:         16
        .size:           8
        .value_kind:     global_buffer
      - .actual_access:  read_only
        .address_space:  global
        .offset:         24
        .size:           8
        .value_kind:     global_buffer
      - .actual_access:  read_only
        .address_space:  global
        .offset:         32
        .size:           8
        .value_kind:     global_buffer
      - .offset:         40
        .size:           4
        .value_kind:     by_value
      - .offset:         48
        .size:           8
        .value_kind:     by_value
      - .offset:         56
        .size:           8
        .value_kind:     by_value
      - .offset:         64
        .size:           8
        .value_kind:     by_value
      - .offset:         72
        .size:           8
        .value_kind:     by_value
      - .offset:         80
        .size:           4
        .value_kind:     by_value
      - .actual_access:  write_only
        .address_space:  global
        .offset:         88
        .size:           8
        .value_kind:     global_buffer
      - .actual_access:  read_only
        .address_space:  global
        .offset:         96
        .size:           8
        .value_kind:     global_buffer
      - .offset:         104
        .size:           4
        .value_kind:     by_value
      - .offset:         108
        .size:           4
        .value_kind:     by_value
      - .offset:         112
        .size:           4
        .value_kind:     by_value
      - .offset:         116
        .size:           4
        .value_kind:     by_value
      - .address_space:  global
        .offset:         120
        .size:           8
        .value_kind:     global_buffer
      - .offset:         128
        .size:           4
        .value_kind:     hidden_block_count_x
      - .offset:         132
        .size:           4
        .value_kind:     hidden_block_count_y
      - .offset:         136
        .size:           4
        .value_kind:     hidden_block_count_z
      - .offset:         140
        .size:           2
        .value_kind:     hidden_group_size_x
      - .offset:         142
        .size:           2
        .value_kind:     hidden_group_size_y
      - .offset:         144
        .size:           2
        .value_kind:     hidden_group_size_z
      - .offset:         146
        .size:           2
        .value_kind:     hidden_remainder_x
      - .offset:         148
        .size:           2
        .value_kind:     hidden_remainder_y
      - .offset:         150
        .size:           2
        .value_kind:     hidden_remainder_z
      - .offset:         168
        .size:           8
        .value_kind:     hidden_global_offset_x
      - .offset:         176
        .size:           8
        .value_kind:     hidden_global_offset_y
      - .offset:         184
        .size:           8
        .value_kind:     hidden_global_offset_z
      - .offset:         192
        .size:           2
        .value_kind:     hidden_grid_dims
    .group_segment_fixed_size: 0
    .kernarg_segment_align: 8
    .kernarg_segment_size: 384
    .language:       OpenCL C
    .language_version:
      - 2
      - 0
    .max_flat_workgroup_size: 1024
    .name:           _ZN4vllm38concat_and_cache_mla_rope_fused_kernelIN3c108BFloat16EfLb1EthLNS_18Fp8KVCacheDataTypeE1EEEvPKlPT_S7_PKS6_PKT0_illlliPT3_S5_iiiiPKf
    .private_segment_fixed_size: 0
    .sgpr_count:     47
    .sgpr_spill_count: 0
    .symbol:         _ZN4vllm38concat_and_cache_mla_rope_fused_kernelIN3c108BFloat16EfLb1EthLNS_18Fp8KVCacheDataTypeE1EEEvPKlPT_S7_PKS6_PKT0_illlliPT3_S5_iiiiPKf.kd
    .uniform_work_group_size: 1
    .uses_dynamic_stack: false
    .vgpr_count:     19
    .vgpr_spill_count: 0
    .wavefront_size: 32
    .workgroup_processor_mode: 1
  - .args:
      - .actual_access:  read_only
        .address_space:  global
        .offset:         0
        .size:           8
        .value_kind:     global_buffer
      - .address_space:  global
        .offset:         8
        .size:           8
        .value_kind:     global_buffer
      - .address_space:  global
        .offset:         16
        .size:           8
        .value_kind:     global_buffer
      - .actual_access:  read_only
        .address_space:  global
        .offset:         24
        .size:           8
        .value_kind:     global_buffer
      - .actual_access:  read_only
        .address_space:  global
        .offset:         32
        .size:           8
        .value_kind:     global_buffer
      - .offset:         40
        .size:           4
        .value_kind:     by_value
      - .offset:         48
        .size:           8
        .value_kind:     by_value
      - .offset:         56
        .size:           8
        .value_kind:     by_value
      - .offset:         64
        .size:           8
        .value_kind:     by_value
      - .offset:         72
        .size:           8
        .value_kind:     by_value
      - .offset:         80
        .size:           4
        .value_kind:     by_value
      - .actual_access:  write_only
        .address_space:  global
        .offset:         88
        .size:           8
        .value_kind:     global_buffer
      - .actual_access:  read_only
        .address_space:  global
        .offset:         96
        .size:           8
        .value_kind:     global_buffer
      - .offset:         104
        .size:           4
        .value_kind:     by_value
      - .offset:         108
        .size:           4
        .value_kind:     by_value
      - .offset:         112
        .size:           4
        .value_kind:     by_value
      - .offset:         116
        .size:           4
        .value_kind:     by_value
      - .address_space:  global
        .offset:         120
        .size:           8
        .value_kind:     global_buffer
      - .offset:         128
        .size:           4
        .value_kind:     hidden_block_count_x
      - .offset:         132
        .size:           4
        .value_kind:     hidden_block_count_y
      - .offset:         136
        .size:           4
        .value_kind:     hidden_block_count_z
      - .offset:         140
        .size:           2
        .value_kind:     hidden_group_size_x
      - .offset:         142
        .size:           2
        .value_kind:     hidden_group_size_y
      - .offset:         144
        .size:           2
        .value_kind:     hidden_group_size_z
      - .offset:         146
        .size:           2
        .value_kind:     hidden_remainder_x
      - .offset:         148
        .size:           2
        .value_kind:     hidden_remainder_y
      - .offset:         150
        .size:           2
        .value_kind:     hidden_remainder_z
      - .offset:         168
        .size:           8
        .value_kind:     hidden_global_offset_x
      - .offset:         176
        .size:           8
        .value_kind:     hidden_global_offset_y
      - .offset:         184
        .size:           8
        .value_kind:     hidden_global_offset_z
      - .offset:         192
        .size:           2
        .value_kind:     hidden_grid_dims
    .group_segment_fixed_size: 0
    .kernarg_segment_align: 8
    .kernarg_segment_size: 384
    .language:       OpenCL C
    .language_version:
      - 2
      - 0
    .max_flat_workgroup_size: 1024
    .name:           _ZN4vllm38concat_and_cache_mla_rope_fused_kernelIN3c108BFloat16EfLb0EthLNS_18Fp8KVCacheDataTypeE1EEEvPKlPT_S7_PKS6_PKT0_illlliPT3_S5_iiiiPKf
    .private_segment_fixed_size: 0
    .sgpr_count:     45
    .sgpr_spill_count: 0
    .symbol:         _ZN4vllm38concat_and_cache_mla_rope_fused_kernelIN3c108BFloat16EfLb0EthLNS_18Fp8KVCacheDataTypeE1EEEvPKlPT_S7_PKS6_PKT0_illlliPT3_S5_iiiiPKf.kd
    .uniform_work_group_size: 1
    .uses_dynamic_stack: false
    .vgpr_count:     24
    .vgpr_spill_count: 0
    .wavefront_size: 32
    .workgroup_processor_mode: 1
  - .args:
      - .actual_access:  read_only
        .address_space:  global
        .offset:         0
        .size:           8
        .value_kind:     global_buffer
      - .address_space:  global
        .offset:         8
        .size:           8
        .value_kind:     global_buffer
      - .address_space:  global
        .offset:         16
        .size:           8
        .value_kind:     global_buffer
      - .actual_access:  read_only
        .address_space:  global
        .offset:         24
        .size:           8
        .value_kind:     global_buffer
      - .actual_access:  read_only
        .address_space:  global
        .offset:         32
        .size:           8
        .value_kind:     global_buffer
      - .offset:         40
        .size:           4
        .value_kind:     by_value
      - .offset:         48
        .size:           8
        .value_kind:     by_value
      - .offset:         56
        .size:           8
        .value_kind:     by_value
      - .offset:         64
        .size:           8
        .value_kind:     by_value
      - .offset:         72
        .size:           8
        .value_kind:     by_value
      - .offset:         80
        .size:           4
        .value_kind:     by_value
      - .actual_access:  write_only
        .address_space:  global
        .offset:         88
        .size:           8
        .value_kind:     global_buffer
      - .actual_access:  read_only
        .address_space:  global
        .offset:         96
        .size:           8
        .value_kind:     global_buffer
      - .offset:         104
        .size:           4
        .value_kind:     by_value
      - .offset:         108
        .size:           4
        .value_kind:     by_value
      - .offset:         112
        .size:           4
        .value_kind:     by_value
      - .offset:         116
        .size:           4
        .value_kind:     by_value
      - .address_space:  global
        .offset:         120
        .size:           8
        .value_kind:     global_buffer
      - .offset:         128
        .size:           4
        .value_kind:     hidden_block_count_x
      - .offset:         132
        .size:           4
        .value_kind:     hidden_block_count_y
      - .offset:         136
        .size:           4
        .value_kind:     hidden_block_count_z
      - .offset:         140
        .size:           2
        .value_kind:     hidden_group_size_x
      - .offset:         142
        .size:           2
        .value_kind:     hidden_group_size_y
      - .offset:         144
        .size:           2
        .value_kind:     hidden_group_size_z
      - .offset:         146
        .size:           2
        .value_kind:     hidden_remainder_x
      - .offset:         148
        .size:           2
        .value_kind:     hidden_remainder_y
      - .offset:         150
        .size:           2
        .value_kind:     hidden_remainder_z
      - .offset:         168
        .size:           8
        .value_kind:     hidden_global_offset_x
      - .offset:         176
        .size:           8
        .value_kind:     hidden_global_offset_y
      - .offset:         184
        .size:           8
        .value_kind:     hidden_global_offset_z
      - .offset:         192
        .size:           2
        .value_kind:     hidden_grid_dims
    .group_segment_fixed_size: 0
    .kernarg_segment_align: 8
    .kernarg_segment_size: 384
    .language:       OpenCL C
    .language_version:
      - 2
      - 0
    .max_flat_workgroup_size: 1024
    .name:           _ZN4vllm38concat_and_cache_mla_rope_fused_kernelIN3c108BFloat16ENS1_4HalfELb1EthLNS_18Fp8KVCacheDataTypeE1EEEvPKlPT_S8_PKS7_PKT0_illlliPT3_S6_iiiiPKf
    .private_segment_fixed_size: 0
    .sgpr_count:     49
    .sgpr_spill_count: 0
    .symbol:         _ZN4vllm38concat_and_cache_mla_rope_fused_kernelIN3c108BFloat16ENS1_4HalfELb1EthLNS_18Fp8KVCacheDataTypeE1EEEvPKlPT_S8_PKS7_PKT0_illlliPT3_S6_iiiiPKf.kd
    .uniform_work_group_size: 1
    .uses_dynamic_stack: false
    .vgpr_count:     21
    .vgpr_spill_count: 0
    .wavefront_size: 32
    .workgroup_processor_mode: 1
  - .args:
      - .actual_access:  read_only
        .address_space:  global
        .offset:         0
        .size:           8
        .value_kind:     global_buffer
      - .address_space:  global
        .offset:         8
        .size:           8
        .value_kind:     global_buffer
      - .address_space:  global
        .offset:         16
        .size:           8
        .value_kind:     global_buffer
      - .actual_access:  read_only
        .address_space:  global
        .offset:         24
        .size:           8
        .value_kind:     global_buffer
      - .actual_access:  read_only
        .address_space:  global
        .offset:         32
        .size:           8
        .value_kind:     global_buffer
      - .offset:         40
        .size:           4
        .value_kind:     by_value
      - .offset:         48
        .size:           8
        .value_kind:     by_value
      - .offset:         56
        .size:           8
        .value_kind:     by_value
      - .offset:         64
        .size:           8
        .value_kind:     by_value
      - .offset:         72
        .size:           8
        .value_kind:     by_value
      - .offset:         80
        .size:           4
        .value_kind:     by_value
      - .actual_access:  write_only
        .address_space:  global
        .offset:         88
        .size:           8
        .value_kind:     global_buffer
      - .actual_access:  read_only
        .address_space:  global
        .offset:         96
        .size:           8
        .value_kind:     global_buffer
      - .offset:         104
        .size:           4
        .value_kind:     by_value
      - .offset:         108
        .size:           4
        .value_kind:     by_value
      - .offset:         112
        .size:           4
        .value_kind:     by_value
      - .offset:         116
        .size:           4
        .value_kind:     by_value
      - .address_space:  global
        .offset:         120
        .size:           8
        .value_kind:     global_buffer
      - .offset:         128
        .size:           4
        .value_kind:     hidden_block_count_x
      - .offset:         132
        .size:           4
        .value_kind:     hidden_block_count_y
      - .offset:         136
        .size:           4
        .value_kind:     hidden_block_count_z
      - .offset:         140
        .size:           2
        .value_kind:     hidden_group_size_x
      - .offset:         142
        .size:           2
        .value_kind:     hidden_group_size_y
      - .offset:         144
        .size:           2
        .value_kind:     hidden_group_size_z
      - .offset:         146
        .size:           2
        .value_kind:     hidden_remainder_x
      - .offset:         148
        .size:           2
        .value_kind:     hidden_remainder_y
      - .offset:         150
        .size:           2
        .value_kind:     hidden_remainder_z
      - .offset:         168
        .size:           8
        .value_kind:     hidden_global_offset_x
      - .offset:         176
        .size:           8
        .value_kind:     hidden_global_offset_y
      - .offset:         184
        .size:           8
        .value_kind:     hidden_global_offset_z
      - .offset:         192
        .size:           2
        .value_kind:     hidden_grid_dims
    .group_segment_fixed_size: 0
    .kernarg_segment_align: 8
    .kernarg_segment_size: 384
    .language:       OpenCL C
    .language_version:
      - 2
      - 0
    .max_flat_workgroup_size: 1024
    .name:           _ZN4vllm38concat_and_cache_mla_rope_fused_kernelIN3c108BFloat16ENS1_4HalfELb0EthLNS_18Fp8KVCacheDataTypeE1EEEvPKlPT_S8_PKS7_PKT0_illlliPT3_S6_iiiiPKf
    .private_segment_fixed_size: 0
    .sgpr_count:     45
    .sgpr_spill_count: 0
    .symbol:         _ZN4vllm38concat_and_cache_mla_rope_fused_kernelIN3c108BFloat16ENS1_4HalfELb0EthLNS_18Fp8KVCacheDataTypeE1EEEvPKlPT_S8_PKS7_PKT0_illlliPT3_S6_iiiiPKf.kd
    .uniform_work_group_size: 1
    .uses_dynamic_stack: false
    .vgpr_count:     23
    .vgpr_spill_count: 0
    .wavefront_size: 32
    .workgroup_processor_mode: 1
  - .args:
      - .actual_access:  read_only
        .address_space:  global
        .offset:         0
        .size:           8
        .value_kind:     global_buffer
      - .address_space:  global
        .offset:         8
        .size:           8
        .value_kind:     global_buffer
      - .address_space:  global
        .offset:         16
        .size:           8
        .value_kind:     global_buffer
      - .actual_access:  read_only
        .address_space:  global
        .offset:         24
        .size:           8
        .value_kind:     global_buffer
      - .actual_access:  read_only
        .address_space:  global
        .offset:         32
        .size:           8
        .value_kind:     global_buffer
      - .offset:         40
        .size:           4
        .value_kind:     by_value
      - .offset:         48
        .size:           8
        .value_kind:     by_value
      - .offset:         56
        .size:           8
        .value_kind:     by_value
      - .offset:         64
        .size:           8
        .value_kind:     by_value
      - .offset:         72
        .size:           8
        .value_kind:     by_value
      - .offset:         80
        .size:           4
        .value_kind:     by_value
      - .actual_access:  write_only
        .address_space:  global
        .offset:         88
        .size:           8
        .value_kind:     global_buffer
      - .actual_access:  read_only
        .address_space:  global
        .offset:         96
        .size:           8
        .value_kind:     global_buffer
      - .offset:         104
        .size:           4
        .value_kind:     by_value
      - .offset:         108
        .size:           4
        .value_kind:     by_value
      - .offset:         112
        .size:           4
        .value_kind:     by_value
      - .offset:         116
        .size:           4
        .value_kind:     by_value
      - .address_space:  global
        .offset:         120
        .size:           8
        .value_kind:     global_buffer
      - .offset:         128
        .size:           4
        .value_kind:     hidden_block_count_x
      - .offset:         132
        .size:           4
        .value_kind:     hidden_block_count_y
      - .offset:         136
        .size:           4
        .value_kind:     hidden_block_count_z
      - .offset:         140
        .size:           2
        .value_kind:     hidden_group_size_x
      - .offset:         142
        .size:           2
        .value_kind:     hidden_group_size_y
      - .offset:         144
        .size:           2
        .value_kind:     hidden_group_size_z
      - .offset:         146
        .size:           2
        .value_kind:     hidden_remainder_x
      - .offset:         148
        .size:           2
        .value_kind:     hidden_remainder_y
      - .offset:         150
        .size:           2
        .value_kind:     hidden_remainder_z
      - .offset:         168
        .size:           8
        .value_kind:     hidden_global_offset_x
      - .offset:         176
        .size:           8
        .value_kind:     hidden_global_offset_y
      - .offset:         184
        .size:           8
        .value_kind:     hidden_global_offset_z
      - .offset:         192
        .size:           2
        .value_kind:     hidden_grid_dims
    .group_segment_fixed_size: 0
    .kernarg_segment_align: 8
    .kernarg_segment_size: 384
    .language:       OpenCL C
    .language_version:
      - 2
      - 0
    .max_flat_workgroup_size: 1024
    .name:           _ZN4vllm38concat_and_cache_mla_rope_fused_kernelIN3c108BFloat16ES2_Lb1EthLNS_18Fp8KVCacheDataTypeE1EEEvPKlPT_S7_PKS6_PKT0_illlliPT3_S5_iiiiPKf
    .private_segment_fixed_size: 0
    .sgpr_count:     49
    .sgpr_spill_count: 0
    .symbol:         _ZN4vllm38concat_and_cache_mla_rope_fused_kernelIN3c108BFloat16ES2_Lb1EthLNS_18Fp8KVCacheDataTypeE1EEEvPKlPT_S7_PKS6_PKT0_illlliPT3_S5_iiiiPKf.kd
    .uniform_work_group_size: 1
    .uses_dynamic_stack: false
    .vgpr_count:     21
    .vgpr_spill_count: 0
    .wavefront_size: 32
    .workgroup_processor_mode: 1
  - .args:
      - .actual_access:  read_only
        .address_space:  global
        .offset:         0
        .size:           8
        .value_kind:     global_buffer
      - .address_space:  global
        .offset:         8
        .size:           8
        .value_kind:     global_buffer
      - .address_space:  global
        .offset:         16
        .size:           8
        .value_kind:     global_buffer
      - .actual_access:  read_only
        .address_space:  global
        .offset:         24
        .size:           8
        .value_kind:     global_buffer
      - .actual_access:  read_only
        .address_space:  global
        .offset:         32
        .size:           8
        .value_kind:     global_buffer
      - .offset:         40
        .size:           4
        .value_kind:     by_value
      - .offset:         48
        .size:           8
        .value_kind:     by_value
      - .offset:         56
        .size:           8
        .value_kind:     by_value
      - .offset:         64
        .size:           8
        .value_kind:     by_value
      - .offset:         72
        .size:           8
        .value_kind:     by_value
      - .offset:         80
        .size:           4
        .value_kind:     by_value
      - .actual_access:  write_only
        .address_space:  global
        .offset:         88
        .size:           8
        .value_kind:     global_buffer
      - .actual_access:  read_only
        .address_space:  global
        .offset:         96
        .size:           8
        .value_kind:     global_buffer
      - .offset:         104
        .size:           4
        .value_kind:     by_value
      - .offset:         108
        .size:           4
        .value_kind:     by_value
      - .offset:         112
        .size:           4
        .value_kind:     by_value
      - .offset:         116
        .size:           4
        .value_kind:     by_value
      - .address_space:  global
        .offset:         120
        .size:           8
        .value_kind:     global_buffer
      - .offset:         128
        .size:           4
        .value_kind:     hidden_block_count_x
      - .offset:         132
        .size:           4
        .value_kind:     hidden_block_count_y
      - .offset:         136
        .size:           4
        .value_kind:     hidden_block_count_z
      - .offset:         140
        .size:           2
        .value_kind:     hidden_group_size_x
      - .offset:         142
        .size:           2
        .value_kind:     hidden_group_size_y
      - .offset:         144
        .size:           2
        .value_kind:     hidden_group_size_z
      - .offset:         146
        .size:           2
        .value_kind:     hidden_remainder_x
      - .offset:         148
        .size:           2
        .value_kind:     hidden_remainder_y
      - .offset:         150
        .size:           2
        .value_kind:     hidden_remainder_z
      - .offset:         168
        .size:           8
        .value_kind:     hidden_global_offset_x
      - .offset:         176
        .size:           8
        .value_kind:     hidden_global_offset_y
      - .offset:         184
        .size:           8
        .value_kind:     hidden_global_offset_z
      - .offset:         192
        .size:           2
        .value_kind:     hidden_grid_dims
    .group_segment_fixed_size: 0
    .kernarg_segment_align: 8
    .kernarg_segment_size: 384
    .language:       OpenCL C
    .language_version:
      - 2
      - 0
    .max_flat_workgroup_size: 1024
    .name:           _ZN4vllm38concat_and_cache_mla_rope_fused_kernelIN3c108BFloat16ES2_Lb0EthLNS_18Fp8KVCacheDataTypeE1EEEvPKlPT_S7_PKS6_PKT0_illlliPT3_S5_iiiiPKf
    .private_segment_fixed_size: 0
    .sgpr_count:     45
    .sgpr_spill_count: 0
    .symbol:         _ZN4vllm38concat_and_cache_mla_rope_fused_kernelIN3c108BFloat16ES2_Lb0EthLNS_18Fp8KVCacheDataTypeE1EEEvPKlPT_S7_PKS6_PKT0_illlliPT3_S5_iiiiPKf.kd
    .uniform_work_group_size: 1
    .uses_dynamic_stack: false
    .vgpr_count:     20
    .vgpr_spill_count: 0
    .wavefront_size: 32
    .workgroup_processor_mode: 1
  - .args:
      - .actual_access:  read_only
        .address_space:  global
        .offset:         0
        .size:           8
        .value_kind:     global_buffer
      - .address_space:  global
        .offset:         8
        .size:           8
        .value_kind:     global_buffer
      - .address_space:  global
        .offset:         16
        .size:           8
        .value_kind:     global_buffer
      - .actual_access:  read_only
        .address_space:  global
        .offset:         24
        .size:           8
        .value_kind:     global_buffer
      - .actual_access:  read_only
        .address_space:  global
        .offset:         32
        .size:           8
        .value_kind:     global_buffer
      - .offset:         40
        .size:           4
        .value_kind:     by_value
      - .offset:         48
        .size:           8
        .value_kind:     by_value
      - .offset:         56
        .size:           8
        .value_kind:     by_value
      - .offset:         64
        .size:           8
        .value_kind:     by_value
      - .offset:         72
        .size:           8
        .value_kind:     by_value
      - .offset:         80
        .size:           4
        .value_kind:     by_value
      - .actual_access:  write_only
        .address_space:  global
        .offset:         88
        .size:           8
        .value_kind:     global_buffer
      - .actual_access:  read_only
        .address_space:  global
        .offset:         96
        .size:           8
        .value_kind:     global_buffer
      - .offset:         104
        .size:           4
        .value_kind:     by_value
      - .offset:         108
        .size:           4
        .value_kind:     by_value
      - .offset:         112
        .size:           4
        .value_kind:     by_value
      - .offset:         116
        .size:           4
        .value_kind:     by_value
      - .address_space:  global
        .offset:         120
        .size:           8
        .value_kind:     global_buffer
      - .offset:         128
        .size:           4
        .value_kind:     hidden_block_count_x
      - .offset:         132
        .size:           4
        .value_kind:     hidden_block_count_y
      - .offset:         136
        .size:           4
        .value_kind:     hidden_block_count_z
      - .offset:         140
        .size:           2
        .value_kind:     hidden_group_size_x
      - .offset:         142
        .size:           2
        .value_kind:     hidden_group_size_y
      - .offset:         144
        .size:           2
        .value_kind:     hidden_group_size_z
      - .offset:         146
        .size:           2
        .value_kind:     hidden_remainder_x
      - .offset:         148
        .size:           2
        .value_kind:     hidden_remainder_y
      - .offset:         150
        .size:           2
        .value_kind:     hidden_remainder_z
      - .offset:         168
        .size:           8
        .value_kind:     hidden_global_offset_x
      - .offset:         176
        .size:           8
        .value_kind:     hidden_global_offset_y
      - .offset:         184
        .size:           8
        .value_kind:     hidden_global_offset_z
      - .offset:         192
        .size:           2
        .value_kind:     hidden_grid_dims
    .group_segment_fixed_size: 0
    .kernarg_segment_align: 8
    .kernarg_segment_size: 384
    .language:       OpenCL C
    .language_version:
      - 2
      - 0
    .max_flat_workgroup_size: 1024
    .name:           _ZN4vllm38concat_and_cache_mla_rope_fused_kernelIffLb1E14__hip_bfloat16hLNS_18Fp8KVCacheDataTypeE1EEEvPKlPT_S6_PKS5_PKT0_illlliPT3_S4_iiiiPKf
    .private_segment_fixed_size: 0
    .sgpr_count:     48
    .sgpr_spill_count: 0
    .symbol:         _ZN4vllm38concat_and_cache_mla_rope_fused_kernelIffLb1E14__hip_bfloat16hLNS_18Fp8KVCacheDataTypeE1EEEvPKlPT_S6_PKS5_PKT0_illlliPT3_S4_iiiiPKf.kd
    .uniform_work_group_size: 1
    .uses_dynamic_stack: false
    .vgpr_count:     21
    .vgpr_spill_count: 0
    .wavefront_size: 32
    .workgroup_processor_mode: 1
  - .args:
      - .actual_access:  read_only
        .address_space:  global
        .offset:         0
        .size:           8
        .value_kind:     global_buffer
      - .address_space:  global
        .offset:         8
        .size:           8
        .value_kind:     global_buffer
      - .address_space:  global
        .offset:         16
        .size:           8
        .value_kind:     global_buffer
      - .actual_access:  read_only
        .address_space:  global
        .offset:         24
        .size:           8
        .value_kind:     global_buffer
      - .actual_access:  read_only
        .address_space:  global
        .offset:         32
        .size:           8
        .value_kind:     global_buffer
      - .offset:         40
        .size:           4
        .value_kind:     by_value
      - .offset:         48
        .size:           8
        .value_kind:     by_value
      - .offset:         56
        .size:           8
        .value_kind:     by_value
      - .offset:         64
        .size:           8
        .value_kind:     by_value
      - .offset:         72
        .size:           8
        .value_kind:     by_value
      - .offset:         80
        .size:           4
        .value_kind:     by_value
      - .actual_access:  write_only
        .address_space:  global
        .offset:         88
        .size:           8
        .value_kind:     global_buffer
      - .actual_access:  read_only
        .address_space:  global
        .offset:         96
        .size:           8
        .value_kind:     global_buffer
      - .offset:         104
        .size:           4
        .value_kind:     by_value
      - .offset:         108
        .size:           4
        .value_kind:     by_value
      - .offset:         112
        .size:           4
        .value_kind:     by_value
      - .offset:         116
        .size:           4
        .value_kind:     by_value
      - .address_space:  global
        .offset:         120
        .size:           8
        .value_kind:     global_buffer
      - .offset:         128
        .size:           4
        .value_kind:     hidden_block_count_x
      - .offset:         132
        .size:           4
        .value_kind:     hidden_block_count_y
      - .offset:         136
        .size:           4
        .value_kind:     hidden_block_count_z
      - .offset:         140
        .size:           2
        .value_kind:     hidden_group_size_x
      - .offset:         142
        .size:           2
        .value_kind:     hidden_group_size_y
      - .offset:         144
        .size:           2
        .value_kind:     hidden_group_size_z
      - .offset:         146
        .size:           2
        .value_kind:     hidden_remainder_x
      - .offset:         148
        .size:           2
        .value_kind:     hidden_remainder_y
      - .offset:         150
        .size:           2
        .value_kind:     hidden_remainder_z
      - .offset:         168
        .size:           8
        .value_kind:     hidden_global_offset_x
      - .offset:         176
        .size:           8
        .value_kind:     hidden_global_offset_y
      - .offset:         184
        .size:           8
        .value_kind:     hidden_global_offset_z
      - .offset:         192
        .size:           2
        .value_kind:     hidden_grid_dims
    .group_segment_fixed_size: 0
    .kernarg_segment_align: 8
    .kernarg_segment_size: 384
    .language:       OpenCL C
    .language_version:
      - 2
      - 0
    .max_flat_workgroup_size: 1024
    .name:           _ZN4vllm38concat_and_cache_mla_rope_fused_kernelIffLb0E14__hip_bfloat16hLNS_18Fp8KVCacheDataTypeE1EEEvPKlPT_S6_PKS5_PKT0_illlliPT3_S4_iiiiPKf
    .private_segment_fixed_size: 0
    .sgpr_count:     45
    .sgpr_spill_count: 0
    .symbol:         _ZN4vllm38concat_and_cache_mla_rope_fused_kernelIffLb0E14__hip_bfloat16hLNS_18Fp8KVCacheDataTypeE1EEEvPKlPT_S6_PKS5_PKT0_illlliPT3_S4_iiiiPKf.kd
    .uniform_work_group_size: 1
    .uses_dynamic_stack: false
    .vgpr_count:     20
    .vgpr_spill_count: 0
    .wavefront_size: 32
    .workgroup_processor_mode: 1
  - .args:
      - .actual_access:  read_only
        .address_space:  global
        .offset:         0
        .size:           8
        .value_kind:     global_buffer
      - .address_space:  global
        .offset:         8
        .size:           8
        .value_kind:     global_buffer
      - .address_space:  global
        .offset:         16
        .size:           8
        .value_kind:     global_buffer
      - .actual_access:  read_only
        .address_space:  global
        .offset:         24
        .size:           8
        .value_kind:     global_buffer
      - .actual_access:  read_only
        .address_space:  global
        .offset:         32
        .size:           8
        .value_kind:     global_buffer
      - .offset:         40
        .size:           4
        .value_kind:     by_value
      - .offset:         48
        .size:           8
        .value_kind:     by_value
      - .offset:         56
        .size:           8
        .value_kind:     by_value
      - .offset:         64
        .size:           8
        .value_kind:     by_value
      - .offset:         72
        .size:           8
        .value_kind:     by_value
      - .offset:         80
        .size:           4
        .value_kind:     by_value
      - .actual_access:  write_only
        .address_space:  global
        .offset:         88
        .size:           8
        .value_kind:     global_buffer
      - .actual_access:  read_only
        .address_space:  global
        .offset:         96
        .size:           8
        .value_kind:     global_buffer
      - .offset:         104
        .size:           4
        .value_kind:     by_value
      - .offset:         108
        .size:           4
        .value_kind:     by_value
      - .offset:         112
        .size:           4
        .value_kind:     by_value
      - .offset:         116
        .size:           4
        .value_kind:     by_value
      - .address_space:  global
        .offset:         120
        .size:           8
        .value_kind:     global_buffer
      - .offset:         128
        .size:           4
        .value_kind:     hidden_block_count_x
      - .offset:         132
        .size:           4
        .value_kind:     hidden_block_count_y
      - .offset:         136
        .size:           4
        .value_kind:     hidden_block_count_z
      - .offset:         140
        .size:           2
        .value_kind:     hidden_group_size_x
      - .offset:         142
        .size:           2
        .value_kind:     hidden_group_size_y
      - .offset:         144
        .size:           2
        .value_kind:     hidden_group_size_z
      - .offset:         146
        .size:           2
        .value_kind:     hidden_remainder_x
      - .offset:         148
        .size:           2
        .value_kind:     hidden_remainder_y
      - .offset:         150
        .size:           2
        .value_kind:     hidden_remainder_z
      - .offset:         168
        .size:           8
        .value_kind:     hidden_global_offset_x
      - .offset:         176
        .size:           8
        .value_kind:     hidden_global_offset_y
      - .offset:         184
        .size:           8
        .value_kind:     hidden_global_offset_z
      - .offset:         192
        .size:           2
        .value_kind:     hidden_grid_dims
    .group_segment_fixed_size: 0
    .kernarg_segment_align: 8
    .kernarg_segment_size: 384
    .language:       OpenCL C
    .language_version:
      - 2
      - 0
    .max_flat_workgroup_size: 1024
    .name:           _ZN4vllm38concat_and_cache_mla_rope_fused_kernelIfN3c104HalfELb1E14__hip_bfloat16hLNS_18Fp8KVCacheDataTypeE1EEEvPKlPT_S8_PKS7_PKT0_illlliPT3_S6_iiiiPKf
    .private_segment_fixed_size: 0
    .sgpr_count:     47
    .sgpr_spill_count: 0
    .symbol:         _ZN4vllm38concat_and_cache_mla_rope_fused_kernelIfN3c104HalfELb1E14__hip_bfloat16hLNS_18Fp8KVCacheDataTypeE1EEEvPKlPT_S8_PKS7_PKT0_illlliPT3_S6_iiiiPKf.kd
    .uniform_work_group_size: 1
    .uses_dynamic_stack: false
    .vgpr_count:     19
    .vgpr_spill_count: 0
    .wavefront_size: 32
    .workgroup_processor_mode: 1
  - .args:
      - .actual_access:  read_only
        .address_space:  global
        .offset:         0
        .size:           8
        .value_kind:     global_buffer
      - .address_space:  global
        .offset:         8
        .size:           8
        .value_kind:     global_buffer
      - .address_space:  global
        .offset:         16
        .size:           8
        .value_kind:     global_buffer
      - .actual_access:  read_only
        .address_space:  global
        .offset:         24
        .size:           8
        .value_kind:     global_buffer
      - .actual_access:  read_only
        .address_space:  global
        .offset:         32
        .size:           8
        .value_kind:     global_buffer
      - .offset:         40
        .size:           4
        .value_kind:     by_value
      - .offset:         48
        .size:           8
        .value_kind:     by_value
      - .offset:         56
        .size:           8
        .value_kind:     by_value
      - .offset:         64
        .size:           8
        .value_kind:     by_value
      - .offset:         72
        .size:           8
        .value_kind:     by_value
      - .offset:         80
        .size:           4
        .value_kind:     by_value
      - .actual_access:  write_only
        .address_space:  global
        .offset:         88
        .size:           8
        .value_kind:     global_buffer
      - .actual_access:  read_only
        .address_space:  global
        .offset:         96
        .size:           8
        .value_kind:     global_buffer
      - .offset:         104
        .size:           4
        .value_kind:     by_value
      - .offset:         108
        .size:           4
        .value_kind:     by_value
      - .offset:         112
        .size:           4
        .value_kind:     by_value
      - .offset:         116
        .size:           4
        .value_kind:     by_value
      - .address_space:  global
        .offset:         120
        .size:           8
        .value_kind:     global_buffer
      - .offset:         128
        .size:           4
        .value_kind:     hidden_block_count_x
      - .offset:         132
        .size:           4
        .value_kind:     hidden_block_count_y
      - .offset:         136
        .size:           4
        .value_kind:     hidden_block_count_z
      - .offset:         140
        .size:           2
        .value_kind:     hidden_group_size_x
      - .offset:         142
        .size:           2
        .value_kind:     hidden_group_size_y
      - .offset:         144
        .size:           2
        .value_kind:     hidden_group_size_z
      - .offset:         146
        .size:           2
        .value_kind:     hidden_remainder_x
      - .offset:         148
        .size:           2
        .value_kind:     hidden_remainder_y
      - .offset:         150
        .size:           2
        .value_kind:     hidden_remainder_z
      - .offset:         168
        .size:           8
        .value_kind:     hidden_global_offset_x
      - .offset:         176
        .size:           8
        .value_kind:     hidden_global_offset_y
      - .offset:         184
        .size:           8
        .value_kind:     hidden_global_offset_z
      - .offset:         192
        .size:           2
        .value_kind:     hidden_grid_dims
    .group_segment_fixed_size: 0
    .kernarg_segment_align: 8
    .kernarg_segment_size: 384
    .language:       OpenCL C
    .language_version:
      - 2
      - 0
    .max_flat_workgroup_size: 1024
    .name:           _ZN4vllm38concat_and_cache_mla_rope_fused_kernelIfN3c104HalfELb0E14__hip_bfloat16hLNS_18Fp8KVCacheDataTypeE1EEEvPKlPT_S8_PKS7_PKT0_illlliPT3_S6_iiiiPKf
    .private_segment_fixed_size: 0
    .sgpr_count:     45
    .sgpr_spill_count: 0
    .symbol:         _ZN4vllm38concat_and_cache_mla_rope_fused_kernelIfN3c104HalfELb0E14__hip_bfloat16hLNS_18Fp8KVCacheDataTypeE1EEEvPKlPT_S8_PKS7_PKT0_illlliPT3_S6_iiiiPKf.kd
    .uniform_work_group_size: 1
    .uses_dynamic_stack: false
    .vgpr_count:     23
    .vgpr_spill_count: 0
    .wavefront_size: 32
    .workgroup_processor_mode: 1
  - .args:
      - .actual_access:  read_only
        .address_space:  global
        .offset:         0
        .size:           8
        .value_kind:     global_buffer
      - .address_space:  global
        .offset:         8
        .size:           8
        .value_kind:     global_buffer
      - .address_space:  global
        .offset:         16
        .size:           8
        .value_kind:     global_buffer
      - .actual_access:  read_only
        .address_space:  global
        .offset:         24
        .size:           8
        .value_kind:     global_buffer
      - .actual_access:  read_only
        .address_space:  global
        .offset:         32
        .size:           8
        .value_kind:     global_buffer
      - .offset:         40
        .size:           4
        .value_kind:     by_value
      - .offset:         48
        .size:           8
        .value_kind:     by_value
      - .offset:         56
        .size:           8
        .value_kind:     by_value
      - .offset:         64
        .size:           8
        .value_kind:     by_value
      - .offset:         72
        .size:           8
        .value_kind:     by_value
      - .offset:         80
        .size:           4
        .value_kind:     by_value
      - .actual_access:  write_only
        .address_space:  global
        .offset:         88
        .size:           8
        .value_kind:     global_buffer
      - .actual_access:  read_only
        .address_space:  global
        .offset:         96
        .size:           8
        .value_kind:     global_buffer
      - .offset:         104
        .size:           4
        .value_kind:     by_value
      - .offset:         108
        .size:           4
        .value_kind:     by_value
      - .offset:         112
        .size:           4
        .value_kind:     by_value
      - .offset:         116
        .size:           4
        .value_kind:     by_value
      - .address_space:  global
        .offset:         120
        .size:           8
        .value_kind:     global_buffer
      - .offset:         128
        .size:           4
        .value_kind:     hidden_block_count_x
      - .offset:         132
        .size:           4
        .value_kind:     hidden_block_count_y
      - .offset:         136
        .size:           4
        .value_kind:     hidden_block_count_z
      - .offset:         140
        .size:           2
        .value_kind:     hidden_group_size_x
      - .offset:         142
        .size:           2
        .value_kind:     hidden_group_size_y
      - .offset:         144
        .size:           2
        .value_kind:     hidden_group_size_z
      - .offset:         146
        .size:           2
        .value_kind:     hidden_remainder_x
      - .offset:         148
        .size:           2
        .value_kind:     hidden_remainder_y
      - .offset:         150
        .size:           2
        .value_kind:     hidden_remainder_z
      - .offset:         168
        .size:           8
        .value_kind:     hidden_global_offset_x
      - .offset:         176
        .size:           8
        .value_kind:     hidden_global_offset_y
      - .offset:         184
        .size:           8
        .value_kind:     hidden_global_offset_z
      - .offset:         192
        .size:           2
        .value_kind:     hidden_grid_dims
    .group_segment_fixed_size: 0
    .kernarg_segment_align: 8
    .kernarg_segment_size: 384
    .language:       OpenCL C
    .language_version:
      - 2
      - 0
    .max_flat_workgroup_size: 1024
    .name:           _ZN4vllm38concat_and_cache_mla_rope_fused_kernelIfN3c108BFloat16ELb1E14__hip_bfloat16hLNS_18Fp8KVCacheDataTypeE1EEEvPKlPT_S8_PKS7_PKT0_illlliPT3_S6_iiiiPKf
    .private_segment_fixed_size: 0
    .sgpr_count:     47
    .sgpr_spill_count: 0
    .symbol:         _ZN4vllm38concat_and_cache_mla_rope_fused_kernelIfN3c108BFloat16ELb1E14__hip_bfloat16hLNS_18Fp8KVCacheDataTypeE1EEEvPKlPT_S8_PKS7_PKT0_illlliPT3_S6_iiiiPKf.kd
    .uniform_work_group_size: 1
    .uses_dynamic_stack: false
    .vgpr_count:     19
    .vgpr_spill_count: 0
    .wavefront_size: 32
    .workgroup_processor_mode: 1
  - .args:
      - .actual_access:  read_only
        .address_space:  global
        .offset:         0
        .size:           8
        .value_kind:     global_buffer
      - .address_space:  global
        .offset:         8
        .size:           8
        .value_kind:     global_buffer
      - .address_space:  global
        .offset:         16
        .size:           8
        .value_kind:     global_buffer
      - .actual_access:  read_only
        .address_space:  global
        .offset:         24
        .size:           8
        .value_kind:     global_buffer
      - .actual_access:  read_only
        .address_space:  global
        .offset:         32
        .size:           8
        .value_kind:     global_buffer
      - .offset:         40
        .size:           4
        .value_kind:     by_value
      - .offset:         48
        .size:           8
        .value_kind:     by_value
      - .offset:         56
        .size:           8
        .value_kind:     by_value
      - .offset:         64
        .size:           8
        .value_kind:     by_value
      - .offset:         72
        .size:           8
        .value_kind:     by_value
      - .offset:         80
        .size:           4
        .value_kind:     by_value
      - .actual_access:  write_only
        .address_space:  global
        .offset:         88
        .size:           8
        .value_kind:     global_buffer
      - .actual_access:  read_only
        .address_space:  global
        .offset:         96
        .size:           8
        .value_kind:     global_buffer
      - .offset:         104
        .size:           4
        .value_kind:     by_value
      - .offset:         108
        .size:           4
        .value_kind:     by_value
      - .offset:         112
        .size:           4
        .value_kind:     by_value
      - .offset:         116
        .size:           4
        .value_kind:     by_value
      - .address_space:  global
        .offset:         120
        .size:           8
        .value_kind:     global_buffer
      - .offset:         128
        .size:           4
        .value_kind:     hidden_block_count_x
      - .offset:         132
        .size:           4
        .value_kind:     hidden_block_count_y
      - .offset:         136
        .size:           4
        .value_kind:     hidden_block_count_z
      - .offset:         140
        .size:           2
        .value_kind:     hidden_group_size_x
      - .offset:         142
        .size:           2
        .value_kind:     hidden_group_size_y
      - .offset:         144
        .size:           2
        .value_kind:     hidden_group_size_z
      - .offset:         146
        .size:           2
        .value_kind:     hidden_remainder_x
      - .offset:         148
        .size:           2
        .value_kind:     hidden_remainder_y
      - .offset:         150
        .size:           2
        .value_kind:     hidden_remainder_z
      - .offset:         168
        .size:           8
        .value_kind:     hidden_global_offset_x
      - .offset:         176
        .size:           8
        .value_kind:     hidden_global_offset_y
      - .offset:         184
        .size:           8
        .value_kind:     hidden_global_offset_z
      - .offset:         192
        .size:           2
        .value_kind:     hidden_grid_dims
    .group_segment_fixed_size: 0
    .kernarg_segment_align: 8
    .kernarg_segment_size: 384
    .language:       OpenCL C
    .language_version:
      - 2
      - 0
    .max_flat_workgroup_size: 1024
    .name:           _ZN4vllm38concat_and_cache_mla_rope_fused_kernelIfN3c108BFloat16ELb0E14__hip_bfloat16hLNS_18Fp8KVCacheDataTypeE1EEEvPKlPT_S8_PKS7_PKT0_illlliPT3_S6_iiiiPKf
    .private_segment_fixed_size: 0
    .sgpr_count:     45
    .sgpr_spill_count: 0
    .symbol:         _ZN4vllm38concat_and_cache_mla_rope_fused_kernelIfN3c108BFloat16ELb0E14__hip_bfloat16hLNS_18Fp8KVCacheDataTypeE1EEEvPKlPT_S8_PKS7_PKT0_illlliPT3_S6_iiiiPKf.kd
    .uniform_work_group_size: 1
    .uses_dynamic_stack: false
    .vgpr_count:     23
    .vgpr_spill_count: 0
    .wavefront_size: 32
    .workgroup_processor_mode: 1
  - .args:
      - .actual_access:  read_only
        .address_space:  global
        .offset:         0
        .size:           8
        .value_kind:     global_buffer
      - .address_space:  global
        .offset:         8
        .size:           8
        .value_kind:     global_buffer
      - .address_space:  global
        .offset:         16
        .size:           8
        .value_kind:     global_buffer
      - .actual_access:  read_only
        .address_space:  global
        .offset:         24
        .size:           8
        .value_kind:     global_buffer
      - .actual_access:  read_only
        .address_space:  global
        .offset:         32
        .size:           8
        .value_kind:     global_buffer
      - .offset:         40
        .size:           4
        .value_kind:     by_value
      - .offset:         48
        .size:           8
        .value_kind:     by_value
      - .offset:         56
        .size:           8
        .value_kind:     by_value
      - .offset:         64
        .size:           8
        .value_kind:     by_value
      - .offset:         72
        .size:           8
        .value_kind:     by_value
      - .offset:         80
        .size:           4
        .value_kind:     by_value
      - .actual_access:  write_only
        .address_space:  global
        .offset:         88
        .size:           8
        .value_kind:     global_buffer
      - .actual_access:  read_only
        .address_space:  global
        .offset:         96
        .size:           8
        .value_kind:     global_buffer
      - .offset:         104
        .size:           4
        .value_kind:     by_value
      - .offset:         108
        .size:           4
        .value_kind:     by_value
      - .offset:         112
        .size:           4
        .value_kind:     by_value
      - .offset:         116
        .size:           4
        .value_kind:     by_value
      - .address_space:  global
        .offset:         120
        .size:           8
        .value_kind:     global_buffer
      - .offset:         128
        .size:           4
        .value_kind:     hidden_block_count_x
      - .offset:         132
        .size:           4
        .value_kind:     hidden_block_count_y
      - .offset:         136
        .size:           4
        .value_kind:     hidden_block_count_z
      - .offset:         140
        .size:           2
        .value_kind:     hidden_group_size_x
      - .offset:         142
        .size:           2
        .value_kind:     hidden_group_size_y
      - .offset:         144
        .size:           2
        .value_kind:     hidden_group_size_z
      - .offset:         146
        .size:           2
        .value_kind:     hidden_remainder_x
      - .offset:         148
        .size:           2
        .value_kind:     hidden_remainder_y
      - .offset:         150
        .size:           2
        .value_kind:     hidden_remainder_z
      - .offset:         168
        .size:           8
        .value_kind:     hidden_global_offset_x
      - .offset:         176
        .size:           8
        .value_kind:     hidden_global_offset_y
      - .offset:         184
        .size:           8
        .value_kind:     hidden_global_offset_z
      - .offset:         192
        .size:           2
        .value_kind:     hidden_grid_dims
    .group_segment_fixed_size: 0
    .kernarg_segment_align: 8
    .kernarg_segment_size: 384
    .language:       OpenCL C
    .language_version:
      - 2
      - 0
    .max_flat_workgroup_size: 1024
    .name:           _ZN4vllm38concat_and_cache_mla_rope_fused_kernelIN3c104HalfEfLb1E14__hip_bfloat16hLNS_18Fp8KVCacheDataTypeE1EEEvPKlPT_S8_PKS7_PKT0_illlliPT3_S6_iiiiPKf
    .private_segment_fixed_size: 0
    .sgpr_count:     47
    .sgpr_spill_count: 0
    .symbol:         _ZN4vllm38concat_and_cache_mla_rope_fused_kernelIN3c104HalfEfLb1E14__hip_bfloat16hLNS_18Fp8KVCacheDataTypeE1EEEvPKlPT_S8_PKS7_PKT0_illlliPT3_S6_iiiiPKf.kd
    .uniform_work_group_size: 1
    .uses_dynamic_stack: false
    .vgpr_count:     19
    .vgpr_spill_count: 0
    .wavefront_size: 32
    .workgroup_processor_mode: 1
  - .args:
      - .actual_access:  read_only
        .address_space:  global
        .offset:         0
        .size:           8
        .value_kind:     global_buffer
      - .address_space:  global
        .offset:         8
        .size:           8
        .value_kind:     global_buffer
      - .address_space:  global
        .offset:         16
        .size:           8
        .value_kind:     global_buffer
      - .actual_access:  read_only
        .address_space:  global
        .offset:         24
        .size:           8
        .value_kind:     global_buffer
      - .actual_access:  read_only
        .address_space:  global
        .offset:         32
        .size:           8
        .value_kind:     global_buffer
      - .offset:         40
        .size:           4
        .value_kind:     by_value
      - .offset:         48
        .size:           8
        .value_kind:     by_value
      - .offset:         56
        .size:           8
        .value_kind:     by_value
      - .offset:         64
        .size:           8
        .value_kind:     by_value
      - .offset:         72
        .size:           8
        .value_kind:     by_value
      - .offset:         80
        .size:           4
        .value_kind:     by_value
      - .actual_access:  write_only
        .address_space:  global
        .offset:         88
        .size:           8
        .value_kind:     global_buffer
      - .actual_access:  read_only
        .address_space:  global
        .offset:         96
        .size:           8
        .value_kind:     global_buffer
      - .offset:         104
        .size:           4
        .value_kind:     by_value
      - .offset:         108
        .size:           4
        .value_kind:     by_value
      - .offset:         112
        .size:           4
        .value_kind:     by_value
      - .offset:         116
        .size:           4
        .value_kind:     by_value
      - .address_space:  global
        .offset:         120
        .size:           8
        .value_kind:     global_buffer
      - .offset:         128
        .size:           4
        .value_kind:     hidden_block_count_x
      - .offset:         132
        .size:           4
        .value_kind:     hidden_block_count_y
      - .offset:         136
        .size:           4
        .value_kind:     hidden_block_count_z
      - .offset:         140
        .size:           2
        .value_kind:     hidden_group_size_x
      - .offset:         142
        .size:           2
        .value_kind:     hidden_group_size_y
      - .offset:         144
        .size:           2
        .value_kind:     hidden_group_size_z
      - .offset:         146
        .size:           2
        .value_kind:     hidden_remainder_x
      - .offset:         148
        .size:           2
        .value_kind:     hidden_remainder_y
      - .offset:         150
        .size:           2
        .value_kind:     hidden_remainder_z
      - .offset:         168
        .size:           8
        .value_kind:     hidden_global_offset_x
      - .offset:         176
        .size:           8
        .value_kind:     hidden_global_offset_y
      - .offset:         184
        .size:           8
        .value_kind:     hidden_global_offset_z
      - .offset:         192
        .size:           2
        .value_kind:     hidden_grid_dims
    .group_segment_fixed_size: 0
    .kernarg_segment_align: 8
    .kernarg_segment_size: 384
    .language:       OpenCL C
    .language_version:
      - 2
      - 0
    .max_flat_workgroup_size: 1024
    .name:           _ZN4vllm38concat_and_cache_mla_rope_fused_kernelIN3c104HalfEfLb0E14__hip_bfloat16hLNS_18Fp8KVCacheDataTypeE1EEEvPKlPT_S8_PKS7_PKT0_illlliPT3_S6_iiiiPKf
    .private_segment_fixed_size: 0
    .sgpr_count:     45
    .sgpr_spill_count: 0
    .symbol:         _ZN4vllm38concat_and_cache_mla_rope_fused_kernelIN3c104HalfEfLb0E14__hip_bfloat16hLNS_18Fp8KVCacheDataTypeE1EEEvPKlPT_S8_PKS7_PKT0_illlliPT3_S6_iiiiPKf.kd
    .uniform_work_group_size: 1
    .uses_dynamic_stack: false
    .vgpr_count:     24
    .vgpr_spill_count: 0
    .wavefront_size: 32
    .workgroup_processor_mode: 1
  - .args:
      - .actual_access:  read_only
        .address_space:  global
        .offset:         0
        .size:           8
        .value_kind:     global_buffer
      - .address_space:  global
        .offset:         8
        .size:           8
        .value_kind:     global_buffer
      - .address_space:  global
        .offset:         16
        .size:           8
        .value_kind:     global_buffer
      - .actual_access:  read_only
        .address_space:  global
        .offset:         24
        .size:           8
        .value_kind:     global_buffer
      - .actual_access:  read_only
        .address_space:  global
        .offset:         32
        .size:           8
        .value_kind:     global_buffer
      - .offset:         40
        .size:           4
        .value_kind:     by_value
      - .offset:         48
        .size:           8
        .value_kind:     by_value
      - .offset:         56
        .size:           8
        .value_kind:     by_value
      - .offset:         64
        .size:           8
        .value_kind:     by_value
      - .offset:         72
        .size:           8
        .value_kind:     by_value
      - .offset:         80
        .size:           4
        .value_kind:     by_value
      - .actual_access:  write_only
        .address_space:  global
        .offset:         88
        .size:           8
        .value_kind:     global_buffer
      - .actual_access:  read_only
        .address_space:  global
        .offset:         96
        .size:           8
        .value_kind:     global_buffer
      - .offset:         104
        .size:           4
        .value_kind:     by_value
      - .offset:         108
        .size:           4
        .value_kind:     by_value
      - .offset:         112
        .size:           4
        .value_kind:     by_value
      - .offset:         116
        .size:           4
        .value_kind:     by_value
      - .address_space:  global
        .offset:         120
        .size:           8
        .value_kind:     global_buffer
      - .offset:         128
        .size:           4
        .value_kind:     hidden_block_count_x
      - .offset:         132
        .size:           4
        .value_kind:     hidden_block_count_y
      - .offset:         136
        .size:           4
        .value_kind:     hidden_block_count_z
      - .offset:         140
        .size:           2
        .value_kind:     hidden_group_size_x
      - .offset:         142
        .size:           2
        .value_kind:     hidden_group_size_y
      - .offset:         144
        .size:           2
        .value_kind:     hidden_group_size_z
      - .offset:         146
        .size:           2
        .value_kind:     hidden_remainder_x
      - .offset:         148
        .size:           2
        .value_kind:     hidden_remainder_y
      - .offset:         150
        .size:           2
        .value_kind:     hidden_remainder_z
      - .offset:         168
        .size:           8
        .value_kind:     hidden_global_offset_x
      - .offset:         176
        .size:           8
        .value_kind:     hidden_global_offset_y
      - .offset:         184
        .size:           8
        .value_kind:     hidden_global_offset_z
      - .offset:         192
        .size:           2
        .value_kind:     hidden_grid_dims
    .group_segment_fixed_size: 0
    .kernarg_segment_align: 8
    .kernarg_segment_size: 384
    .language:       OpenCL C
    .language_version:
      - 2
      - 0
    .max_flat_workgroup_size: 1024
    .name:           _ZN4vllm38concat_and_cache_mla_rope_fused_kernelIN3c104HalfES2_Lb1E14__hip_bfloat16hLNS_18Fp8KVCacheDataTypeE1EEEvPKlPT_S8_PKS7_PKT0_illlliPT3_S6_iiiiPKf
    .private_segment_fixed_size: 0
    .sgpr_count:     48
    .sgpr_spill_count: 0
    .symbol:         _ZN4vllm38concat_and_cache_mla_rope_fused_kernelIN3c104HalfES2_Lb1E14__hip_bfloat16hLNS_18Fp8KVCacheDataTypeE1EEEvPKlPT_S8_PKS7_PKT0_illlliPT3_S6_iiiiPKf.kd
    .uniform_work_group_size: 1
    .uses_dynamic_stack: false
    .vgpr_count:     21
    .vgpr_spill_count: 0
    .wavefront_size: 32
    .workgroup_processor_mode: 1
  - .args:
      - .actual_access:  read_only
        .address_space:  global
        .offset:         0
        .size:           8
        .value_kind:     global_buffer
      - .address_space:  global
        .offset:         8
        .size:           8
        .value_kind:     global_buffer
      - .address_space:  global
        .offset:         16
        .size:           8
        .value_kind:     global_buffer
      - .actual_access:  read_only
        .address_space:  global
        .offset:         24
        .size:           8
        .value_kind:     global_buffer
      - .actual_access:  read_only
        .address_space:  global
        .offset:         32
        .size:           8
        .value_kind:     global_buffer
      - .offset:         40
        .size:           4
        .value_kind:     by_value
      - .offset:         48
        .size:           8
        .value_kind:     by_value
      - .offset:         56
        .size:           8
        .value_kind:     by_value
      - .offset:         64
        .size:           8
        .value_kind:     by_value
      - .offset:         72
        .size:           8
        .value_kind:     by_value
      - .offset:         80
        .size:           4
        .value_kind:     by_value
      - .actual_access:  write_only
        .address_space:  global
        .offset:         88
        .size:           8
        .value_kind:     global_buffer
      - .actual_access:  read_only
        .address_space:  global
        .offset:         96
        .size:           8
        .value_kind:     global_buffer
      - .offset:         104
        .size:           4
        .value_kind:     by_value
      - .offset:         108
        .size:           4
        .value_kind:     by_value
      - .offset:         112
        .size:           4
        .value_kind:     by_value
      - .offset:         116
        .size:           4
        .value_kind:     by_value
      - .address_space:  global
        .offset:         120
        .size:           8
        .value_kind:     global_buffer
      - .offset:         128
        .size:           4
        .value_kind:     hidden_block_count_x
      - .offset:         132
        .size:           4
        .value_kind:     hidden_block_count_y
      - .offset:         136
        .size:           4
        .value_kind:     hidden_block_count_z
      - .offset:         140
        .size:           2
        .value_kind:     hidden_group_size_x
      - .offset:         142
        .size:           2
        .value_kind:     hidden_group_size_y
      - .offset:         144
        .size:           2
        .value_kind:     hidden_group_size_z
      - .offset:         146
        .size:           2
        .value_kind:     hidden_remainder_x
      - .offset:         148
        .size:           2
        .value_kind:     hidden_remainder_y
      - .offset:         150
        .size:           2
        .value_kind:     hidden_remainder_z
      - .offset:         168
        .size:           8
        .value_kind:     hidden_global_offset_x
      - .offset:         176
        .size:           8
        .value_kind:     hidden_global_offset_y
      - .offset:         184
        .size:           8
        .value_kind:     hidden_global_offset_z
      - .offset:         192
        .size:           2
        .value_kind:     hidden_grid_dims
    .group_segment_fixed_size: 0
    .kernarg_segment_align: 8
    .kernarg_segment_size: 384
    .language:       OpenCL C
    .language_version:
      - 2
      - 0
    .max_flat_workgroup_size: 1024
    .name:           _ZN4vllm38concat_and_cache_mla_rope_fused_kernelIN3c104HalfES2_Lb0E14__hip_bfloat16hLNS_18Fp8KVCacheDataTypeE1EEEvPKlPT_S8_PKS7_PKT0_illlliPT3_S6_iiiiPKf
    .private_segment_fixed_size: 0
    .sgpr_count:     45
    .sgpr_spill_count: 0
    .symbol:         _ZN4vllm38concat_and_cache_mla_rope_fused_kernelIN3c104HalfES2_Lb0E14__hip_bfloat16hLNS_18Fp8KVCacheDataTypeE1EEEvPKlPT_S8_PKS7_PKT0_illlliPT3_S6_iiiiPKf.kd
    .uniform_work_group_size: 1
    .uses_dynamic_stack: false
    .vgpr_count:     23
    .vgpr_spill_count: 0
    .wavefront_size: 32
    .workgroup_processor_mode: 1
  - .args:
      - .actual_access:  read_only
        .address_space:  global
        .offset:         0
        .size:           8
        .value_kind:     global_buffer
      - .address_space:  global
        .offset:         8
        .size:           8
        .value_kind:     global_buffer
      - .address_space:  global
        .offset:         16
        .size:           8
        .value_kind:     global_buffer
      - .actual_access:  read_only
        .address_space:  global
        .offset:         24
        .size:           8
        .value_kind:     global_buffer
      - .actual_access:  read_only
        .address_space:  global
        .offset:         32
        .size:           8
        .value_kind:     global_buffer
      - .offset:         40
        .size:           4
        .value_kind:     by_value
      - .offset:         48
        .size:           8
        .value_kind:     by_value
      - .offset:         56
        .size:           8
        .value_kind:     by_value
      - .offset:         64
        .size:           8
        .value_kind:     by_value
      - .offset:         72
        .size:           8
        .value_kind:     by_value
      - .offset:         80
        .size:           4
        .value_kind:     by_value
      - .actual_access:  write_only
        .address_space:  global
        .offset:         88
        .size:           8
        .value_kind:     global_buffer
      - .actual_access:  read_only
        .address_space:  global
        .offset:         96
        .size:           8
        .value_kind:     global_buffer
      - .offset:         104
        .size:           4
        .value_kind:     by_value
      - .offset:         108
        .size:           4
        .value_kind:     by_value
      - .offset:         112
        .size:           4
        .value_kind:     by_value
      - .offset:         116
        .size:           4
        .value_kind:     by_value
      - .address_space:  global
        .offset:         120
        .size:           8
        .value_kind:     global_buffer
      - .offset:         128
        .size:           4
        .value_kind:     hidden_block_count_x
      - .offset:         132
        .size:           4
        .value_kind:     hidden_block_count_y
      - .offset:         136
        .size:           4
        .value_kind:     hidden_block_count_z
      - .offset:         140
        .size:           2
        .value_kind:     hidden_group_size_x
      - .offset:         142
        .size:           2
        .value_kind:     hidden_group_size_y
      - .offset:         144
        .size:           2
        .value_kind:     hidden_group_size_z
      - .offset:         146
        .size:           2
        .value_kind:     hidden_remainder_x
      - .offset:         148
        .size:           2
        .value_kind:     hidden_remainder_y
      - .offset:         150
        .size:           2
        .value_kind:     hidden_remainder_z
      - .offset:         168
        .size:           8
        .value_kind:     hidden_global_offset_x
      - .offset:         176
        .size:           8
        .value_kind:     hidden_global_offset_y
      - .offset:         184
        .size:           8
        .value_kind:     hidden_global_offset_z
      - .offset:         192
        .size:           2
        .value_kind:     hidden_grid_dims
    .group_segment_fixed_size: 0
    .kernarg_segment_align: 8
    .kernarg_segment_size: 384
    .language:       OpenCL C
    .language_version:
      - 2
      - 0
    .max_flat_workgroup_size: 1024
    .name:           _ZN4vllm38concat_and_cache_mla_rope_fused_kernelIN3c104HalfENS1_8BFloat16ELb1E14__hip_bfloat16hLNS_18Fp8KVCacheDataTypeE1EEEvPKlPT_S9_PKS8_PKT0_illlliPT3_S7_iiiiPKf
    .private_segment_fixed_size: 0
    .sgpr_count:     48
    .sgpr_spill_count: 0
    .symbol:         _ZN4vllm38concat_and_cache_mla_rope_fused_kernelIN3c104HalfENS1_8BFloat16ELb1E14__hip_bfloat16hLNS_18Fp8KVCacheDataTypeE1EEEvPKlPT_S9_PKS8_PKT0_illlliPT3_S7_iiiiPKf.kd
    .uniform_work_group_size: 1
    .uses_dynamic_stack: false
    .vgpr_count:     21
    .vgpr_spill_count: 0
    .wavefront_size: 32
    .workgroup_processor_mode: 1
  - .args:
      - .actual_access:  read_only
        .address_space:  global
        .offset:         0
        .size:           8
        .value_kind:     global_buffer
      - .address_space:  global
        .offset:         8
        .size:           8
        .value_kind:     global_buffer
      - .address_space:  global
        .offset:         16
        .size:           8
        .value_kind:     global_buffer
      - .actual_access:  read_only
        .address_space:  global
        .offset:         24
        .size:           8
        .value_kind:     global_buffer
      - .actual_access:  read_only
        .address_space:  global
        .offset:         32
        .size:           8
        .value_kind:     global_buffer
      - .offset:         40
        .size:           4
        .value_kind:     by_value
      - .offset:         48
        .size:           8
        .value_kind:     by_value
      - .offset:         56
        .size:           8
        .value_kind:     by_value
      - .offset:         64
        .size:           8
        .value_kind:     by_value
      - .offset:         72
        .size:           8
        .value_kind:     by_value
      - .offset:         80
        .size:           4
        .value_kind:     by_value
      - .actual_access:  write_only
        .address_space:  global
        .offset:         88
        .size:           8
        .value_kind:     global_buffer
      - .actual_access:  read_only
        .address_space:  global
        .offset:         96
        .size:           8
        .value_kind:     global_buffer
      - .offset:         104
        .size:           4
        .value_kind:     by_value
      - .offset:         108
        .size:           4
        .value_kind:     by_value
      - .offset:         112
        .size:           4
        .value_kind:     by_value
      - .offset:         116
        .size:           4
        .value_kind:     by_value
      - .address_space:  global
        .offset:         120
        .size:           8
        .value_kind:     global_buffer
      - .offset:         128
        .size:           4
        .value_kind:     hidden_block_count_x
      - .offset:         132
        .size:           4
        .value_kind:     hidden_block_count_y
      - .offset:         136
        .size:           4
        .value_kind:     hidden_block_count_z
      - .offset:         140
        .size:           2
        .value_kind:     hidden_group_size_x
      - .offset:         142
        .size:           2
        .value_kind:     hidden_group_size_y
      - .offset:         144
        .size:           2
        .value_kind:     hidden_group_size_z
      - .offset:         146
        .size:           2
        .value_kind:     hidden_remainder_x
      - .offset:         148
        .size:           2
        .value_kind:     hidden_remainder_y
      - .offset:         150
        .size:           2
        .value_kind:     hidden_remainder_z
      - .offset:         168
        .size:           8
        .value_kind:     hidden_global_offset_x
      - .offset:         176
        .size:           8
        .value_kind:     hidden_global_offset_y
      - .offset:         184
        .size:           8
        .value_kind:     hidden_global_offset_z
      - .offset:         192
        .size:           2
        .value_kind:     hidden_grid_dims
    .group_segment_fixed_size: 0
    .kernarg_segment_align: 8
    .kernarg_segment_size: 384
    .language:       OpenCL C
    .language_version:
      - 2
      - 0
    .max_flat_workgroup_size: 1024
    .name:           _ZN4vllm38concat_and_cache_mla_rope_fused_kernelIN3c104HalfENS1_8BFloat16ELb0E14__hip_bfloat16hLNS_18Fp8KVCacheDataTypeE1EEEvPKlPT_S9_PKS8_PKT0_illlliPT3_S7_iiiiPKf
    .private_segment_fixed_size: 0
    .sgpr_count:     45
    .sgpr_spill_count: 0
    .symbol:         _ZN4vllm38concat_and_cache_mla_rope_fused_kernelIN3c104HalfENS1_8BFloat16ELb0E14__hip_bfloat16hLNS_18Fp8KVCacheDataTypeE1EEEvPKlPT_S9_PKS8_PKT0_illlliPT3_S7_iiiiPKf.kd
    .uniform_work_group_size: 1
    .uses_dynamic_stack: false
    .vgpr_count:     23
    .vgpr_spill_count: 0
    .wavefront_size: 32
    .workgroup_processor_mode: 1
  - .args:
      - .actual_access:  read_only
        .address_space:  global
        .offset:         0
        .size:           8
        .value_kind:     global_buffer
      - .address_space:  global
        .offset:         8
        .size:           8
        .value_kind:     global_buffer
      - .address_space:  global
        .offset:         16
        .size:           8
        .value_kind:     global_buffer
      - .actual_access:  read_only
        .address_space:  global
        .offset:         24
        .size:           8
        .value_kind:     global_buffer
      - .actual_access:  read_only
        .address_space:  global
        .offset:         32
        .size:           8
        .value_kind:     global_buffer
      - .offset:         40
        .size:           4
        .value_kind:     by_value
      - .offset:         48
        .size:           8
        .value_kind:     by_value
      - .offset:         56
        .size:           8
        .value_kind:     by_value
      - .offset:         64
        .size:           8
        .value_kind:     by_value
      - .offset:         72
        .size:           8
        .value_kind:     by_value
      - .offset:         80
        .size:           4
        .value_kind:     by_value
      - .actual_access:  write_only
        .address_space:  global
        .offset:         88
        .size:           8
        .value_kind:     global_buffer
      - .actual_access:  read_only
        .address_space:  global
        .offset:         96
        .size:           8
        .value_kind:     global_buffer
      - .offset:         104
        .size:           4
        .value_kind:     by_value
      - .offset:         108
        .size:           4
        .value_kind:     by_value
      - .offset:         112
        .size:           4
        .value_kind:     by_value
      - .offset:         116
        .size:           4
        .value_kind:     by_value
      - .address_space:  global
        .offset:         120
        .size:           8
        .value_kind:     global_buffer
      - .offset:         128
        .size:           4
        .value_kind:     hidden_block_count_x
      - .offset:         132
        .size:           4
        .value_kind:     hidden_block_count_y
      - .offset:         136
        .size:           4
        .value_kind:     hidden_block_count_z
      - .offset:         140
        .size:           2
        .value_kind:     hidden_group_size_x
      - .offset:         142
        .size:           2
        .value_kind:     hidden_group_size_y
      - .offset:         144
        .size:           2
        .value_kind:     hidden_group_size_z
      - .offset:         146
        .size:           2
        .value_kind:     hidden_remainder_x
      - .offset:         148
        .size:           2
        .value_kind:     hidden_remainder_y
      - .offset:         150
        .size:           2
        .value_kind:     hidden_remainder_z
      - .offset:         168
        .size:           8
        .value_kind:     hidden_global_offset_x
      - .offset:         176
        .size:           8
        .value_kind:     hidden_global_offset_y
      - .offset:         184
        .size:           8
        .value_kind:     hidden_global_offset_z
      - .offset:         192
        .size:           2
        .value_kind:     hidden_grid_dims
    .group_segment_fixed_size: 0
    .kernarg_segment_align: 8
    .kernarg_segment_size: 384
    .language:       OpenCL C
    .language_version:
      - 2
      - 0
    .max_flat_workgroup_size: 1024
    .name:           _ZN4vllm38concat_and_cache_mla_rope_fused_kernelIN3c108BFloat16EfLb1E14__hip_bfloat16hLNS_18Fp8KVCacheDataTypeE1EEEvPKlPT_S8_PKS7_PKT0_illlliPT3_S6_iiiiPKf
    .private_segment_fixed_size: 0
    .sgpr_count:     47
    .sgpr_spill_count: 0
    .symbol:         _ZN4vllm38concat_and_cache_mla_rope_fused_kernelIN3c108BFloat16EfLb1E14__hip_bfloat16hLNS_18Fp8KVCacheDataTypeE1EEEvPKlPT_S8_PKS7_PKT0_illlliPT3_S6_iiiiPKf.kd
    .uniform_work_group_size: 1
    .uses_dynamic_stack: false
    .vgpr_count:     19
    .vgpr_spill_count: 0
    .wavefront_size: 32
    .workgroup_processor_mode: 1
  - .args:
      - .actual_access:  read_only
        .address_space:  global
        .offset:         0
        .size:           8
        .value_kind:     global_buffer
      - .address_space:  global
        .offset:         8
        .size:           8
        .value_kind:     global_buffer
      - .address_space:  global
        .offset:         16
        .size:           8
        .value_kind:     global_buffer
      - .actual_access:  read_only
        .address_space:  global
        .offset:         24
        .size:           8
        .value_kind:     global_buffer
      - .actual_access:  read_only
        .address_space:  global
        .offset:         32
        .size:           8
        .value_kind:     global_buffer
      - .offset:         40
        .size:           4
        .value_kind:     by_value
      - .offset:         48
        .size:           8
        .value_kind:     by_value
      - .offset:         56
        .size:           8
        .value_kind:     by_value
      - .offset:         64
        .size:           8
        .value_kind:     by_value
      - .offset:         72
        .size:           8
        .value_kind:     by_value
      - .offset:         80
        .size:           4
        .value_kind:     by_value
      - .actual_access:  write_only
        .address_space:  global
        .offset:         88
        .size:           8
        .value_kind:     global_buffer
      - .actual_access:  read_only
        .address_space:  global
        .offset:         96
        .size:           8
        .value_kind:     global_buffer
      - .offset:         104
        .size:           4
        .value_kind:     by_value
      - .offset:         108
        .size:           4
        .value_kind:     by_value
      - .offset:         112
        .size:           4
        .value_kind:     by_value
      - .offset:         116
        .size:           4
        .value_kind:     by_value
      - .address_space:  global
        .offset:         120
        .size:           8
        .value_kind:     global_buffer
      - .offset:         128
        .size:           4
        .value_kind:     hidden_block_count_x
      - .offset:         132
        .size:           4
        .value_kind:     hidden_block_count_y
      - .offset:         136
        .size:           4
        .value_kind:     hidden_block_count_z
      - .offset:         140
        .size:           2
        .value_kind:     hidden_group_size_x
      - .offset:         142
        .size:           2
        .value_kind:     hidden_group_size_y
      - .offset:         144
        .size:           2
        .value_kind:     hidden_group_size_z
      - .offset:         146
        .size:           2
        .value_kind:     hidden_remainder_x
      - .offset:         148
        .size:           2
        .value_kind:     hidden_remainder_y
      - .offset:         150
        .size:           2
        .value_kind:     hidden_remainder_z
      - .offset:         168
        .size:           8
        .value_kind:     hidden_global_offset_x
      - .offset:         176
        .size:           8
        .value_kind:     hidden_global_offset_y
      - .offset:         184
        .size:           8
        .value_kind:     hidden_global_offset_z
      - .offset:         192
        .size:           2
        .value_kind:     hidden_grid_dims
    .group_segment_fixed_size: 0
    .kernarg_segment_align: 8
    .kernarg_segment_size: 384
    .language:       OpenCL C
    .language_version:
      - 2
      - 0
    .max_flat_workgroup_size: 1024
    .name:           _ZN4vllm38concat_and_cache_mla_rope_fused_kernelIN3c108BFloat16EfLb0E14__hip_bfloat16hLNS_18Fp8KVCacheDataTypeE1EEEvPKlPT_S8_PKS7_PKT0_illlliPT3_S6_iiiiPKf
    .private_segment_fixed_size: 0
    .sgpr_count:     45
    .sgpr_spill_count: 0
    .symbol:         _ZN4vllm38concat_and_cache_mla_rope_fused_kernelIN3c108BFloat16EfLb0E14__hip_bfloat16hLNS_18Fp8KVCacheDataTypeE1EEEvPKlPT_S8_PKS7_PKT0_illlliPT3_S6_iiiiPKf.kd
    .uniform_work_group_size: 1
    .uses_dynamic_stack: false
    .vgpr_count:     23
    .vgpr_spill_count: 0
    .wavefront_size: 32
    .workgroup_processor_mode: 1
  - .args:
      - .actual_access:  read_only
        .address_space:  global
        .offset:         0
        .size:           8
        .value_kind:     global_buffer
      - .address_space:  global
        .offset:         8
        .size:           8
        .value_kind:     global_buffer
      - .address_space:  global
        .offset:         16
        .size:           8
        .value_kind:     global_buffer
      - .actual_access:  read_only
        .address_space:  global
        .offset:         24
        .size:           8
        .value_kind:     global_buffer
      - .actual_access:  read_only
        .address_space:  global
        .offset:         32
        .size:           8
        .value_kind:     global_buffer
      - .offset:         40
        .size:           4
        .value_kind:     by_value
      - .offset:         48
        .size:           8
        .value_kind:     by_value
      - .offset:         56
        .size:           8
        .value_kind:     by_value
      - .offset:         64
        .size:           8
        .value_kind:     by_value
      - .offset:         72
        .size:           8
        .value_kind:     by_value
      - .offset:         80
        .size:           4
        .value_kind:     by_value
      - .actual_access:  write_only
        .address_space:  global
        .offset:         88
        .size:           8
        .value_kind:     global_buffer
      - .actual_access:  read_only
        .address_space:  global
        .offset:         96
        .size:           8
        .value_kind:     global_buffer
      - .offset:         104
        .size:           4
        .value_kind:     by_value
      - .offset:         108
        .size:           4
        .value_kind:     by_value
      - .offset:         112
        .size:           4
        .value_kind:     by_value
      - .offset:         116
        .size:           4
        .value_kind:     by_value
      - .address_space:  global
        .offset:         120
        .size:           8
        .value_kind:     global_buffer
      - .offset:         128
        .size:           4
        .value_kind:     hidden_block_count_x
      - .offset:         132
        .size:           4
        .value_kind:     hidden_block_count_y
      - .offset:         136
        .size:           4
        .value_kind:     hidden_block_count_z
      - .offset:         140
        .size:           2
        .value_kind:     hidden_group_size_x
      - .offset:         142
        .size:           2
        .value_kind:     hidden_group_size_y
      - .offset:         144
        .size:           2
        .value_kind:     hidden_group_size_z
      - .offset:         146
        .size:           2
        .value_kind:     hidden_remainder_x
      - .offset:         148
        .size:           2
        .value_kind:     hidden_remainder_y
      - .offset:         150
        .size:           2
        .value_kind:     hidden_remainder_z
      - .offset:         168
        .size:           8
        .value_kind:     hidden_global_offset_x
      - .offset:         176
        .size:           8
        .value_kind:     hidden_global_offset_y
      - .offset:         184
        .size:           8
        .value_kind:     hidden_global_offset_z
      - .offset:         192
        .size:           2
        .value_kind:     hidden_grid_dims
    .group_segment_fixed_size: 0
    .kernarg_segment_align: 8
    .kernarg_segment_size: 384
    .language:       OpenCL C
    .language_version:
      - 2
      - 0
    .max_flat_workgroup_size: 1024
    .name:           _ZN4vllm38concat_and_cache_mla_rope_fused_kernelIN3c108BFloat16ENS1_4HalfELb1E14__hip_bfloat16hLNS_18Fp8KVCacheDataTypeE1EEEvPKlPT_S9_PKS8_PKT0_illlliPT3_S7_iiiiPKf
    .private_segment_fixed_size: 0
    .sgpr_count:     49
    .sgpr_spill_count: 0
    .symbol:         _ZN4vllm38concat_and_cache_mla_rope_fused_kernelIN3c108BFloat16ENS1_4HalfELb1E14__hip_bfloat16hLNS_18Fp8KVCacheDataTypeE1EEEvPKlPT_S9_PKS8_PKT0_illlliPT3_S7_iiiiPKf.kd
    .uniform_work_group_size: 1
    .uses_dynamic_stack: false
    .vgpr_count:     21
    .vgpr_spill_count: 0
    .wavefront_size: 32
    .workgroup_processor_mode: 1
  - .args:
      - .actual_access:  read_only
        .address_space:  global
        .offset:         0
        .size:           8
        .value_kind:     global_buffer
      - .address_space:  global
        .offset:         8
        .size:           8
        .value_kind:     global_buffer
      - .address_space:  global
        .offset:         16
        .size:           8
        .value_kind:     global_buffer
      - .actual_access:  read_only
        .address_space:  global
        .offset:         24
        .size:           8
        .value_kind:     global_buffer
      - .actual_access:  read_only
        .address_space:  global
        .offset:         32
        .size:           8
        .value_kind:     global_buffer
      - .offset:         40
        .size:           4
        .value_kind:     by_value
      - .offset:         48
        .size:           8
        .value_kind:     by_value
      - .offset:         56
        .size:           8
        .value_kind:     by_value
      - .offset:         64
        .size:           8
        .value_kind:     by_value
      - .offset:         72
        .size:           8
        .value_kind:     by_value
      - .offset:         80
        .size:           4
        .value_kind:     by_value
      - .actual_access:  write_only
        .address_space:  global
        .offset:         88
        .size:           8
        .value_kind:     global_buffer
      - .actual_access:  read_only
        .address_space:  global
        .offset:         96
        .size:           8
        .value_kind:     global_buffer
      - .offset:         104
        .size:           4
        .value_kind:     by_value
      - .offset:         108
        .size:           4
        .value_kind:     by_value
      - .offset:         112
        .size:           4
        .value_kind:     by_value
      - .offset:         116
        .size:           4
        .value_kind:     by_value
      - .address_space:  global
        .offset:         120
        .size:           8
        .value_kind:     global_buffer
      - .offset:         128
        .size:           4
        .value_kind:     hidden_block_count_x
      - .offset:         132
        .size:           4
        .value_kind:     hidden_block_count_y
      - .offset:         136
        .size:           4
        .value_kind:     hidden_block_count_z
      - .offset:         140
        .size:           2
        .value_kind:     hidden_group_size_x
      - .offset:         142
        .size:           2
        .value_kind:     hidden_group_size_y
      - .offset:         144
        .size:           2
        .value_kind:     hidden_group_size_z
      - .offset:         146
        .size:           2
        .value_kind:     hidden_remainder_x
      - .offset:         148
        .size:           2
        .value_kind:     hidden_remainder_y
      - .offset:         150
        .size:           2
        .value_kind:     hidden_remainder_z
      - .offset:         168
        .size:           8
        .value_kind:     hidden_global_offset_x
      - .offset:         176
        .size:           8
        .value_kind:     hidden_global_offset_y
      - .offset:         184
        .size:           8
        .value_kind:     hidden_global_offset_z
      - .offset:         192
        .size:           2
        .value_kind:     hidden_grid_dims
    .group_segment_fixed_size: 0
    .kernarg_segment_align: 8
    .kernarg_segment_size: 384
    .language:       OpenCL C
    .language_version:
      - 2
      - 0
    .max_flat_workgroup_size: 1024
    .name:           _ZN4vllm38concat_and_cache_mla_rope_fused_kernelIN3c108BFloat16ENS1_4HalfELb0E14__hip_bfloat16hLNS_18Fp8KVCacheDataTypeE1EEEvPKlPT_S9_PKS8_PKT0_illlliPT3_S7_iiiiPKf
    .private_segment_fixed_size: 0
    .sgpr_count:     45
    .sgpr_spill_count: 0
    .symbol:         _ZN4vllm38concat_and_cache_mla_rope_fused_kernelIN3c108BFloat16ENS1_4HalfELb0E14__hip_bfloat16hLNS_18Fp8KVCacheDataTypeE1EEEvPKlPT_S9_PKS8_PKT0_illlliPT3_S7_iiiiPKf.kd
    .uniform_work_group_size: 1
    .uses_dynamic_stack: false
    .vgpr_count:     23
    .vgpr_spill_count: 0
    .wavefront_size: 32
    .workgroup_processor_mode: 1
  - .args:
      - .actual_access:  read_only
        .address_space:  global
        .offset:         0
        .size:           8
        .value_kind:     global_buffer
      - .address_space:  global
        .offset:         8
        .size:           8
        .value_kind:     global_buffer
      - .address_space:  global
        .offset:         16
        .size:           8
        .value_kind:     global_buffer
      - .actual_access:  read_only
        .address_space:  global
        .offset:         24
        .size:           8
        .value_kind:     global_buffer
      - .actual_access:  read_only
        .address_space:  global
        .offset:         32
        .size:           8
        .value_kind:     global_buffer
      - .offset:         40
        .size:           4
        .value_kind:     by_value
      - .offset:         48
        .size:           8
        .value_kind:     by_value
      - .offset:         56
        .size:           8
        .value_kind:     by_value
      - .offset:         64
        .size:           8
        .value_kind:     by_value
      - .offset:         72
        .size:           8
        .value_kind:     by_value
      - .offset:         80
        .size:           4
        .value_kind:     by_value
      - .actual_access:  write_only
        .address_space:  global
        .offset:         88
        .size:           8
        .value_kind:     global_buffer
      - .actual_access:  read_only
        .address_space:  global
        .offset:         96
        .size:           8
        .value_kind:     global_buffer
      - .offset:         104
        .size:           4
        .value_kind:     by_value
      - .offset:         108
        .size:           4
        .value_kind:     by_value
      - .offset:         112
        .size:           4
        .value_kind:     by_value
      - .offset:         116
        .size:           4
        .value_kind:     by_value
      - .address_space:  global
        .offset:         120
        .size:           8
        .value_kind:     global_buffer
      - .offset:         128
        .size:           4
        .value_kind:     hidden_block_count_x
      - .offset:         132
        .size:           4
        .value_kind:     hidden_block_count_y
      - .offset:         136
        .size:           4
        .value_kind:     hidden_block_count_z
      - .offset:         140
        .size:           2
        .value_kind:     hidden_group_size_x
      - .offset:         142
        .size:           2
        .value_kind:     hidden_group_size_y
      - .offset:         144
        .size:           2
        .value_kind:     hidden_group_size_z
      - .offset:         146
        .size:           2
        .value_kind:     hidden_remainder_x
      - .offset:         148
        .size:           2
        .value_kind:     hidden_remainder_y
      - .offset:         150
        .size:           2
        .value_kind:     hidden_remainder_z
      - .offset:         168
        .size:           8
        .value_kind:     hidden_global_offset_x
      - .offset:         176
        .size:           8
        .value_kind:     hidden_global_offset_y
      - .offset:         184
        .size:           8
        .value_kind:     hidden_global_offset_z
      - .offset:         192
        .size:           2
        .value_kind:     hidden_grid_dims
    .group_segment_fixed_size: 0
    .kernarg_segment_align: 8
    .kernarg_segment_size: 384
    .language:       OpenCL C
    .language_version:
      - 2
      - 0
    .max_flat_workgroup_size: 1024
    .name:           _ZN4vllm38concat_and_cache_mla_rope_fused_kernelIN3c108BFloat16ES2_Lb1E14__hip_bfloat16hLNS_18Fp8KVCacheDataTypeE1EEEvPKlPT_S8_PKS7_PKT0_illlliPT3_S6_iiiiPKf
    .private_segment_fixed_size: 0
    .sgpr_count:     49
    .sgpr_spill_count: 0
    .symbol:         _ZN4vllm38concat_and_cache_mla_rope_fused_kernelIN3c108BFloat16ES2_Lb1E14__hip_bfloat16hLNS_18Fp8KVCacheDataTypeE1EEEvPKlPT_S8_PKS7_PKT0_illlliPT3_S6_iiiiPKf.kd
    .uniform_work_group_size: 1
    .uses_dynamic_stack: false
    .vgpr_count:     21
    .vgpr_spill_count: 0
    .wavefront_size: 32
    .workgroup_processor_mode: 1
  - .args:
      - .actual_access:  read_only
        .address_space:  global
        .offset:         0
        .size:           8
        .value_kind:     global_buffer
      - .address_space:  global
        .offset:         8
        .size:           8
        .value_kind:     global_buffer
      - .address_space:  global
        .offset:         16
        .size:           8
        .value_kind:     global_buffer
      - .actual_access:  read_only
        .address_space:  global
        .offset:         24
        .size:           8
        .value_kind:     global_buffer
      - .actual_access:  read_only
        .address_space:  global
        .offset:         32
        .size:           8
        .value_kind:     global_buffer
      - .offset:         40
        .size:           4
        .value_kind:     by_value
      - .offset:         48
        .size:           8
        .value_kind:     by_value
      - .offset:         56
        .size:           8
        .value_kind:     by_value
      - .offset:         64
        .size:           8
        .value_kind:     by_value
      - .offset:         72
        .size:           8
        .value_kind:     by_value
      - .offset:         80
        .size:           4
        .value_kind:     by_value
      - .actual_access:  write_only
        .address_space:  global
        .offset:         88
        .size:           8
        .value_kind:     global_buffer
      - .actual_access:  read_only
        .address_space:  global
        .offset:         96
        .size:           8
        .value_kind:     global_buffer
      - .offset:         104
        .size:           4
        .value_kind:     by_value
      - .offset:         108
        .size:           4
        .value_kind:     by_value
      - .offset:         112
        .size:           4
        .value_kind:     by_value
      - .offset:         116
        .size:           4
        .value_kind:     by_value
      - .address_space:  global
        .offset:         120
        .size:           8
        .value_kind:     global_buffer
      - .offset:         128
        .size:           4
        .value_kind:     hidden_block_count_x
      - .offset:         132
        .size:           4
        .value_kind:     hidden_block_count_y
      - .offset:         136
        .size:           4
        .value_kind:     hidden_block_count_z
      - .offset:         140
        .size:           2
        .value_kind:     hidden_group_size_x
      - .offset:         142
        .size:           2
        .value_kind:     hidden_group_size_y
      - .offset:         144
        .size:           2
        .value_kind:     hidden_group_size_z
      - .offset:         146
        .size:           2
        .value_kind:     hidden_remainder_x
      - .offset:         148
        .size:           2
        .value_kind:     hidden_remainder_y
      - .offset:         150
        .size:           2
        .value_kind:     hidden_remainder_z
      - .offset:         168
        .size:           8
        .value_kind:     hidden_global_offset_x
      - .offset:         176
        .size:           8
        .value_kind:     hidden_global_offset_y
      - .offset:         184
        .size:           8
        .value_kind:     hidden_global_offset_z
      - .offset:         192
        .size:           2
        .value_kind:     hidden_grid_dims
    .group_segment_fixed_size: 0
    .kernarg_segment_align: 8
    .kernarg_segment_size: 384
    .language:       OpenCL C
    .language_version:
      - 2
      - 0
    .max_flat_workgroup_size: 1024
    .name:           _ZN4vllm38concat_and_cache_mla_rope_fused_kernelIN3c108BFloat16ES2_Lb0E14__hip_bfloat16hLNS_18Fp8KVCacheDataTypeE1EEEvPKlPT_S8_PKS7_PKT0_illlliPT3_S6_iiiiPKf
    .private_segment_fixed_size: 0
    .sgpr_count:     45
    .sgpr_spill_count: 0
    .symbol:         _ZN4vllm38concat_and_cache_mla_rope_fused_kernelIN3c108BFloat16ES2_Lb0E14__hip_bfloat16hLNS_18Fp8KVCacheDataTypeE1EEEvPKlPT_S8_PKS7_PKT0_illlliPT3_S6_iiiiPKf.kd
    .uniform_work_group_size: 1
    .uses_dynamic_stack: false
    .vgpr_count:     20
    .vgpr_spill_count: 0
    .wavefront_size: 32
    .workgroup_processor_mode: 1
amdhsa.target:   amdgcn-amd-amdhsa--gfx1100
amdhsa.version:
  - 1
  - 2
...

	.end_amdgpu_metadata
